;; amdgpu-corpus repo=ROCm/rocSOLVER kind=compiled arch=gfx90a opt=O3
	.text
	.amdgcn_target "amdgcn-amd-amdhsa--gfx90a"
	.amdhsa_code_object_version 6
	.section	.text._ZN9rocsolver6v33100L19stedc_update_splitsEiiiPi,"axG",@progbits,_ZN9rocsolver6v33100L19stedc_update_splitsEiiiPi,comdat
	.globl	_ZN9rocsolver6v33100L19stedc_update_splitsEiiiPi ; -- Begin function _ZN9rocsolver6v33100L19stedc_update_splitsEiiiPi
	.p2align	8
	.type	_ZN9rocsolver6v33100L19stedc_update_splitsEiiiPi,@function
_ZN9rocsolver6v33100L19stedc_update_splitsEiiiPi: ; @_ZN9rocsolver6v33100L19stedc_update_splitsEiiiPi
; %bb.0:
	s_load_dwordx4 s[8:11], s[4:5], 0x0
	s_load_dwordx2 s[0:1], s[4:5], 0x10
	s_waitcnt lgkmcnt(0)
	s_mul_i32 s2, s7, s10
	s_mul_i32 s2, s2, 13
	s_ashr_i32 s3, s2, 31
	s_lshl_b64 s[12:13], s[2:3], 2
	s_add_u32 s18, s0, s12
	s_addc_u32 s20, s1, s13
	s_lshl_b32 s2, s10, 2
	s_ashr_i32 s3, s2, 31
	s_lshl_b64 s[14:15], s[2:3], 2
	s_add_u32 s16, s18, s14
	s_addc_u32 s17, s20, s15
	s_ashr_i32 s11, s10, 31
	s_mul_i32 s3, s10, -12
	s_mul_hi_i32 s2, s10, -12
	s_add_u32 s19, s16, s3
	s_addc_u32 s21, s17, s2
	s_lshl_b32 s22, 1, s8
	s_cmp_eq_u32 s9, 0
	s_cselect_b64 s[2:3], -1, 0
	v_cmp_gt_i32_e32 vcc, s22, v0
	s_and_b64 s[6:7], s[2:3], vcc
	s_and_saveexec_b64 s[2:3], s[6:7]
	s_cbranch_execz .LBB0_11
; %bb.1:
	s_load_dword s23, s[4:5], 0x24
	s_mov_b64 s[6:7], 0
	v_mov_b32_e32 v1, s20
	v_mov_b32_e32 v2, v0
	s_waitcnt lgkmcnt(0)
	s_and_b32 s23, s23, 0xffff
	s_add_u32 s12, s12, s14
	s_addc_u32 s13, s13, s15
	s_add_u32 s24, s0, s12
	s_addc_u32 s25, s1, s13
	s_branch .LBB0_3
.LBB0_2:                                ;   in Loop: Header=BB0_3 Depth=1
	s_or_b64 exec, exec, s[12:13]
	v_add_u32_e32 v2, s23, v2
	v_cmp_le_i32_e32 vcc, s22, v2
	s_or_b64 s[6:7], vcc, s[6:7]
	s_andn2_b64 exec, exec, s[6:7]
	s_cbranch_execz .LBB0_11
.LBB0_3:                                ; =>This Loop Header: Depth=1
                                        ;     Child Loop BB0_6 Depth 2
                                        ;     Child Loop BB0_10 Depth 2
	v_ashrrev_i32_e32 v3, 31, v2
	v_lshlrev_b64 v[4:5], 2, v[2:3]
	v_add_co_u32_e32 v6, vcc, s18, v4
	s_waitcnt vmcnt(0)
	v_addc_co_u32_e32 v7, vcc, v1, v5, vcc
	global_load_dword v6, v[6:7], off
	s_waitcnt vmcnt(0)
	v_cmp_lt_i32_e32 vcc, 0, v6
	s_and_saveexec_b64 s[12:13], vcc
	s_cbranch_execz .LBB0_2
; %bb.4:                                ;   in Loop: Header=BB0_3 Depth=1
	v_mov_b32_e32 v3, s21
	v_add_co_u32_e32 v4, vcc, s19, v4
	v_addc_co_u32_e32 v5, vcc, v3, v5, vcc
	global_load_dword v7, v[4:5], off
	v_cmp_ne_u32_e32 vcc, 1, v6
	s_mov_b64 s[14:15], -1
	v_mov_b32_e32 v8, 0
	s_and_saveexec_b64 s[0:1], vcc
	s_cbranch_execz .LBB0_8
; %bb.5:                                ;   in Loop: Header=BB0_3 Depth=1
	v_and_b32_e32 v8, 0x7ffffffe, v6
	v_mov_b32_e32 v3, v2
	s_mov_b64 s[14:15], 0
	v_mov_b32_e32 v9, v8
	s_waitcnt vmcnt(0)
	v_mov_b32_e32 v4, v7
.LBB0_6:                                ;   Parent Loop BB0_3 Depth=1
                                        ; =>  This Inner Loop Header: Depth=2
	v_ashrrev_i32_e32 v5, 31, v4
	v_lshlrev_b64 v[10:11], 2, v[4:5]
	v_mov_b32_e32 v5, s17
	v_add_co_u32_e32 v10, vcc, s16, v10
	v_addc_co_u32_e32 v11, vcc, v5, v11, vcc
	v_add_u32_e32 v9, -2, v9
	v_cmp_eq_u32_e32 vcc, 0, v9
	s_or_b64 s[14:15], vcc, s[14:15]
	v_add_u32_e32 v4, 2, v4
	global_store_dwordx2 v[10:11], v[2:3], off
	s_andn2_b64 exec, exec, s[14:15]
	s_cbranch_execnz .LBB0_6
; %bb.7:                                ;   in Loop: Header=BB0_3 Depth=1
	s_or_b64 exec, exec, s[14:15]
	v_cmp_ne_u32_e32 vcc, v6, v8
	s_orn2_b64 s[14:15], vcc, exec
.LBB0_8:                                ;   in Loop: Header=BB0_3 Depth=1
	s_or_b64 exec, exec, s[0:1]
	s_and_b64 exec, exec, s[14:15]
	s_cbranch_execz .LBB0_2
; %bb.9:                                ;   in Loop: Header=BB0_3 Depth=1
	s_waitcnt vmcnt(0)
	v_ashrrev_i32_e32 v5, 31, v7
	v_add_co_u32_e32 v4, vcc, v7, v8
	v_addc_co_u32_e32 v5, vcc, 0, v5, vcc
	v_lshlrev_b64 v[4:5], 2, v[4:5]
	v_sub_u32_e32 v3, v6, v8
	v_mov_b32_e32 v6, s25
	v_add_co_u32_e32 v4, vcc, s24, v4
	v_addc_co_u32_e32 v5, vcc, v6, v5, vcc
	s_mov_b64 s[14:15], 0
.LBB0_10:                               ;   Parent Loop BB0_3 Depth=1
                                        ; =>  This Inner Loop Header: Depth=2
	v_add_u32_e32 v3, -1, v3
	global_store_dword v[4:5], v2, off
	v_add_co_u32_e32 v4, vcc, 4, v4
	v_cmp_eq_u32_e64 s[0:1], 0, v3
	s_or_b64 s[14:15], s[0:1], s[14:15]
	v_addc_co_u32_e32 v5, vcc, 0, v5, vcc
	s_andn2_b64 exec, exec, s[14:15]
	s_cbranch_execnz .LBB0_10
	s_branch .LBB0_2
.LBB0_11:
	s_or_b64 exec, exec, s[2:3]
	s_lshl_b64 s[0:1], s[10:11], 4
	s_add_u32 s12, s19, s0
	s_addc_u32 s13, s21, s1
	s_lshl_b64 s[0:1], s[10:11], 2
	s_add_u32 s11, s12, s0
	s_addc_u32 s14, s13, s1
	s_add_u32 s23, s0, s19
	s_addc_u32 s24, s1, s21
	;; [unrolled: 2-line block ×3, first 2 shown]
	s_not_b32 s2, s9
	s_add_i32 s8, s2, s8
	s_lshl_b32 s9, 2, s8
	v_cmp_gt_i32_e32 vcc, s9, v0
	s_and_saveexec_b64 s[2:3], vcc
	s_cbranch_execz .LBB0_14
; %bb.12:
	s_load_dword s25, s[4:5], 0x24
	s_mov_b64 s[6:7], 0
	v_mov_b32_e32 v1, s20
	v_mov_b32_e32 v4, s24
	;; [unrolled: 1-line block ×3, first 2 shown]
	s_waitcnt lgkmcnt(0)
	s_and_b32 s25, s25, 0xffff
	v_mov_b32_e32 v6, s22
	v_mov_b32_e32 v2, v0
.LBB0_13:                               ; =>This Inner Loop Header: Depth=1
	v_ashrrev_i32_e32 v3, 31, v2
	v_lshlrev_b64 v[8:9], 2, v[2:3]
	v_add_co_u32_e32 v10, vcc, s18, v8
	v_addc_co_u32_e32 v11, vcc, v1, v9, vcc
	global_load_dword v3, v[10:11], off
	v_add_co_u32_e32 v10, vcc, s23, v8
	v_addc_co_u32_e32 v11, vcc, v4, v9, vcc
	v_add_u32_e32 v2, s25, v2
	s_waitcnt vmcnt(0)
	global_store_dword v[10:11], v3, off
	v_add_co_u32_e32 v10, vcc, s19, v8
	v_addc_co_u32_e32 v11, vcc, v5, v9, vcc
	global_load_dword v3, v[10:11], off
	v_add_co_u32_e32 v8, vcc, s15, v8
	v_addc_co_u32_e32 v9, vcc, v6, v9, vcc
	v_cmp_le_i32_e32 vcc, s9, v2
	s_or_b64 s[6:7], vcc, s[6:7]
	s_waitcnt vmcnt(0)
	global_store_dword v[8:9], v3, off
	s_andn2_b64 exec, exec, s[6:7]
	s_cbranch_execnz .LBB0_13
.LBB0_14:
	s_or_b64 exec, exec, s[2:3]
	s_lshl_b32 s8, 1, s8
	v_cmp_gt_i32_e32 vcc, s8, v0
	s_barrier
	s_and_saveexec_b64 s[2:3], vcc
	s_cbranch_execz .LBB0_17
; %bb.15:
	s_load_dword s9, s[4:5], 0x24
	v_lshlrev_b32_e32 v2, 1, v0
	s_mov_b64 s[6:7], 0
	v_mov_b32_e32 v1, s24
	v_mov_b32_e32 v6, s22
	s_waitcnt lgkmcnt(0)
	s_and_b32 s9, s9, 0xffff
	s_lshl_b32 s24, s9, 1
	s_waitcnt vmcnt(0)
	v_mov_b32_e32 v7, s20
	v_mov_b32_e32 v8, s21
	;; [unrolled: 1-line block ×3, first 2 shown]
.LBB0_16:                               ; =>This Inner Loop Header: Depth=1
	v_ashrrev_i32_e32 v3, 31, v2
	v_lshlrev_b64 v[10:11], 2, v[2:3]
	v_add_co_u32_e32 v12, vcc, s23, v10
	v_addc_co_u32_e32 v13, vcc, v1, v11, vcc
	global_load_dwordx2 v[12:13], v[12:13], off
	v_add_co_u32_e32 v10, vcc, s15, v10
	v_addc_co_u32_e32 v11, vcc, v6, v11, vcc
	global_load_dword v3, v[10:11], off
	v_ashrrev_i32_e32 v5, 31, v4
	v_lshlrev_b64 v[10:11], 2, v[4:5]
	v_add_co_u32_e32 v14, vcc, s18, v10
	v_addc_co_u32_e32 v15, vcc, v7, v11, vcc
	v_add_co_u32_e32 v10, vcc, s19, v10
	v_add_u32_e32 v4, s9, v4
	v_addc_co_u32_e32 v11, vcc, v8, v11, vcc
	v_cmp_le_i32_e32 vcc, s8, v4
	s_or_b64 s[6:7], vcc, s[6:7]
	v_add_u32_e32 v2, s24, v2
	s_waitcnt vmcnt(1)
	v_add_u32_e32 v5, v13, v12
	global_store_dword v[14:15], v5, off
	s_waitcnt vmcnt(1)
	global_store_dword v[10:11], v3, off
	s_andn2_b64 exec, exec, s[6:7]
	s_cbranch_execnz .LBB0_16
.LBB0_17:
	s_or_b64 exec, exec, s[2:3]
	v_cmp_gt_i32_e32 vcc, s10, v0
	s_barrier
	s_and_saveexec_b64 s[2:3], vcc
	s_cbranch_execz .LBB0_20
; %bb.18:
	s_mul_i32 s7, s10, 28
	s_load_dword s23, s[4:5], 0x24
	s_mul_hi_i32 s6, s10, 28
	s_add_u32 s8, s15, s7
	s_addc_u32 s22, s22, s6
	s_sub_u32 s9, s8, s0
	s_subb_u32 s0, s22, s1
	s_waitcnt lgkmcnt(0)
	s_and_b32 s15, s23, 0xffff
	s_mov_b64 s[6:7], 0
	v_mov_b32_e32 v1, s17
	v_mov_b32_e32 v4, s20
	;; [unrolled: 1-line block ×4, first 2 shown]
	s_waitcnt vmcnt(0)
	v_mov_b32_e32 v7, s14
	v_mov_b32_e32 v8, s22
	;; [unrolled: 1-line block ×5, first 2 shown]
.LBB0_19:                               ; =>This Inner Loop Header: Depth=1
	v_ashrrev_i32_e32 v3, 31, v2
	v_lshlrev_b64 v[12:13], 2, v[2:3]
	v_add_co_u32_e64 v14, s[0:1], s16, v12
	v_addc_co_u32_e64 v15, s[0:1], v1, v13, s[0:1]
	global_load_dword v3, v[14:15], off
	v_add_u32_e32 v2, s15, v2
	s_waitcnt vmcnt(0)
	v_lshrrev_b32_e32 v11, 31, v3
	v_add_u32_e32 v3, v3, v11
	v_ashrrev_i32_e32 v14, 1, v3
	v_ashrrev_i32_e32 v15, 31, v14
	v_lshlrev_b64 v[14:15], 2, v[14:15]
	v_add_co_u32_e64 v16, s[0:1], s18, v14
	v_addc_co_u32_e64 v17, s[0:1], v4, v15, s[0:1]
	global_load_dword v3, v[16:17], off
	v_add_co_u32_e64 v16, s[0:1], s12, v12
	v_addc_co_u32_e64 v17, s[0:1], v5, v13, s[0:1]
	v_add_co_u32_e64 v14, s[0:1], s19, v14
	v_addc_co_u32_e64 v15, s[0:1], v6, v15, s[0:1]
	s_waitcnt vmcnt(0)
	global_store_dword v[16:17], v3, off
	global_load_dword v3, v[14:15], off
	v_add_co_u32_e64 v14, s[0:1], s11, v12
	v_addc_co_u32_e64 v15, s[0:1], v7, v13, s[0:1]
	v_add_co_u32_e64 v16, s[0:1], s8, v12
	v_addc_co_u32_e64 v17, s[0:1], v8, v13, s[0:1]
	;; [unrolled: 2-line block ×3, first 2 shown]
	v_cmp_le_i32_e64 s[0:1], s10, v2
	s_or_b64 s[6:7], s[0:1], s[6:7]
	s_waitcnt vmcnt(0)
	global_store_dword v[14:15], v3, off
	global_store_dword v[16:17], v9, off
	global_store_dword v[12:13], v9, off
	s_andn2_b64 exec, exec, s[6:7]
	s_cbranch_execnz .LBB0_19
.LBB0_20:
	s_or_b64 exec, exec, s[2:3]
	s_barrier
	s_and_saveexec_b64 s[0:1], vcc
	s_cbranch_execz .LBB0_23
; %bb.21:
	s_load_dword s2, s[4:5], 0x24
	s_mov_b64 s[0:1], 0
	v_mov_b32_e32 v2, s17
	s_waitcnt lgkmcnt(0)
	s_and_b32 s2, s2, 0xffff
.LBB0_22:                               ; =>This Inner Loop Header: Depth=1
	v_ashrrev_i32_e32 v1, 31, v0
	v_lshlrev_b64 v[4:5], 2, v[0:1]
	v_add_co_u32_e32 v4, vcc, s16, v4
	v_addc_co_u32_e32 v5, vcc, v2, v5, vcc
	global_load_dword v1, v[4:5], off
	v_add_u32_e32 v0, s2, v0
	v_cmp_le_i32_e32 vcc, s10, v0
	s_or_b64 s[0:1], vcc, s[0:1]
	s_waitcnt vmcnt(0)
	v_lshrrev_b32_e32 v3, 31, v1
	v_add_u32_e32 v1, v1, v3
	v_ashrrev_i32_e32 v1, 1, v1
	global_store_dword v[4:5], v1, off
	s_andn2_b64 exec, exec, s[0:1]
	s_cbranch_execnz .LBB0_22
.LBB0_23:
	s_endpgm
	.section	.rodata,"a",@progbits
	.p2align	6, 0x0
	.amdhsa_kernel _ZN9rocsolver6v33100L19stedc_update_splitsEiiiPi
		.amdhsa_group_segment_fixed_size 0
		.amdhsa_private_segment_fixed_size 0
		.amdhsa_kernarg_size 280
		.amdhsa_user_sgpr_count 6
		.amdhsa_user_sgpr_private_segment_buffer 1
		.amdhsa_user_sgpr_dispatch_ptr 0
		.amdhsa_user_sgpr_queue_ptr 0
		.amdhsa_user_sgpr_kernarg_segment_ptr 1
		.amdhsa_user_sgpr_dispatch_id 0
		.amdhsa_user_sgpr_flat_scratch_init 0
		.amdhsa_user_sgpr_kernarg_preload_length 0
		.amdhsa_user_sgpr_kernarg_preload_offset 0
		.amdhsa_user_sgpr_private_segment_size 0
		.amdhsa_uses_dynamic_stack 0
		.amdhsa_system_sgpr_private_segment_wavefront_offset 0
		.amdhsa_system_sgpr_workgroup_id_x 1
		.amdhsa_system_sgpr_workgroup_id_y 1
		.amdhsa_system_sgpr_workgroup_id_z 0
		.amdhsa_system_sgpr_workgroup_info 0
		.amdhsa_system_vgpr_workitem_id 0
		.amdhsa_next_free_vgpr 18
		.amdhsa_next_free_sgpr 26
		.amdhsa_accum_offset 20
		.amdhsa_reserve_vcc 1
		.amdhsa_reserve_flat_scratch 0
		.amdhsa_float_round_mode_32 0
		.amdhsa_float_round_mode_16_64 0
		.amdhsa_float_denorm_mode_32 3
		.amdhsa_float_denorm_mode_16_64 3
		.amdhsa_dx10_clamp 1
		.amdhsa_ieee_mode 1
		.amdhsa_fp16_overflow 0
		.amdhsa_tg_split 0
		.amdhsa_exception_fp_ieee_invalid_op 0
		.amdhsa_exception_fp_denorm_src 0
		.amdhsa_exception_fp_ieee_div_zero 0
		.amdhsa_exception_fp_ieee_overflow 0
		.amdhsa_exception_fp_ieee_underflow 0
		.amdhsa_exception_fp_ieee_inexact 0
		.amdhsa_exception_int_div_zero 0
	.end_amdhsa_kernel
	.section	.text._ZN9rocsolver6v33100L19stedc_update_splitsEiiiPi,"axG",@progbits,_ZN9rocsolver6v33100L19stedc_update_splitsEiiiPi,comdat
.Lfunc_end0:
	.size	_ZN9rocsolver6v33100L19stedc_update_splitsEiiiPi, .Lfunc_end0-_ZN9rocsolver6v33100L19stedc_update_splitsEiiiPi
                                        ; -- End function
	.section	.AMDGPU.csdata,"",@progbits
; Kernel info:
; codeLenInByte = 1360
; NumSgprs: 30
; NumVgprs: 18
; NumAgprs: 0
; TotalNumVgprs: 18
; ScratchSize: 0
; MemoryBound: 0
; FloatMode: 240
; IeeeMode: 1
; LDSByteSize: 0 bytes/workgroup (compile time only)
; SGPRBlocks: 3
; VGPRBlocks: 2
; NumSGPRsForWavesPerEU: 30
; NumVGPRsForWavesPerEU: 18
; AccumOffset: 20
; Occupancy: 8
; WaveLimiterHint : 1
; COMPUTE_PGM_RSRC2:SCRATCH_EN: 0
; COMPUTE_PGM_RSRC2:USER_SGPR: 6
; COMPUTE_PGM_RSRC2:TRAP_HANDLER: 0
; COMPUTE_PGM_RSRC2:TGID_X_EN: 1
; COMPUTE_PGM_RSRC2:TGID_Y_EN: 1
; COMPUTE_PGM_RSRC2:TGID_Z_EN: 0
; COMPUTE_PGM_RSRC2:TIDIG_COMP_CNT: 0
; COMPUTE_PGM_RSRC3_GFX90A:ACCUM_OFFSET: 4
; COMPUTE_PGM_RSRC3_GFX90A:TG_SPLIT: 0
	.section	.text._ZN9rocsolver6v33100L6iota_nIfEEvPT_jS2_,"axG",@progbits,_ZN9rocsolver6v33100L6iota_nIfEEvPT_jS2_,comdat
	.globl	_ZN9rocsolver6v33100L6iota_nIfEEvPT_jS2_ ; -- Begin function _ZN9rocsolver6v33100L6iota_nIfEEvPT_jS2_
	.p2align	8
	.type	_ZN9rocsolver6v33100L6iota_nIfEEvPT_jS2_,@function
_ZN9rocsolver6v33100L6iota_nIfEEvPT_jS2_: ; @_ZN9rocsolver6v33100L6iota_nIfEEvPT_jS2_
; %bb.0:
	s_load_dwordx2 s[0:1], s[4:5], 0x8
	s_waitcnt lgkmcnt(0)
	v_cmp_gt_u32_e32 vcc, s0, v0
	s_and_saveexec_b64 s[2:3], vcc
	s_cbranch_execz .LBB1_2
; %bb.1:
	s_load_dwordx2 s[2:3], s[4:5], 0x0
	v_lshlrev_b32_e32 v1, 2, v0
	v_cvt_f32_ubyte0_e32 v0, v0
	v_add_f32_e32 v0, s1, v0
	s_waitcnt lgkmcnt(0)
	global_store_dword v1, v0, s[2:3]
.LBB1_2:
	s_endpgm
	.section	.rodata,"a",@progbits
	.p2align	6, 0x0
	.amdhsa_kernel _ZN9rocsolver6v33100L6iota_nIfEEvPT_jS2_
		.amdhsa_group_segment_fixed_size 0
		.amdhsa_private_segment_fixed_size 0
		.amdhsa_kernarg_size 16
		.amdhsa_user_sgpr_count 6
		.amdhsa_user_sgpr_private_segment_buffer 1
		.amdhsa_user_sgpr_dispatch_ptr 0
		.amdhsa_user_sgpr_queue_ptr 0
		.amdhsa_user_sgpr_kernarg_segment_ptr 1
		.amdhsa_user_sgpr_dispatch_id 0
		.amdhsa_user_sgpr_flat_scratch_init 0
		.amdhsa_user_sgpr_kernarg_preload_length 0
		.amdhsa_user_sgpr_kernarg_preload_offset 0
		.amdhsa_user_sgpr_private_segment_size 0
		.amdhsa_uses_dynamic_stack 0
		.amdhsa_system_sgpr_private_segment_wavefront_offset 0
		.amdhsa_system_sgpr_workgroup_id_x 1
		.amdhsa_system_sgpr_workgroup_id_y 0
		.amdhsa_system_sgpr_workgroup_id_z 0
		.amdhsa_system_sgpr_workgroup_info 0
		.amdhsa_system_vgpr_workitem_id 0
		.amdhsa_next_free_vgpr 2
		.amdhsa_next_free_sgpr 6
		.amdhsa_accum_offset 4
		.amdhsa_reserve_vcc 1
		.amdhsa_reserve_flat_scratch 0
		.amdhsa_float_round_mode_32 0
		.amdhsa_float_round_mode_16_64 0
		.amdhsa_float_denorm_mode_32 3
		.amdhsa_float_denorm_mode_16_64 3
		.amdhsa_dx10_clamp 1
		.amdhsa_ieee_mode 1
		.amdhsa_fp16_overflow 0
		.amdhsa_tg_split 0
		.amdhsa_exception_fp_ieee_invalid_op 0
		.amdhsa_exception_fp_denorm_src 0
		.amdhsa_exception_fp_ieee_div_zero 0
		.amdhsa_exception_fp_ieee_overflow 0
		.amdhsa_exception_fp_ieee_underflow 0
		.amdhsa_exception_fp_ieee_inexact 0
		.amdhsa_exception_int_div_zero 0
	.end_amdhsa_kernel
	.section	.text._ZN9rocsolver6v33100L6iota_nIfEEvPT_jS2_,"axG",@progbits,_ZN9rocsolver6v33100L6iota_nIfEEvPT_jS2_,comdat
.Lfunc_end1:
	.size	_ZN9rocsolver6v33100L6iota_nIfEEvPT_jS2_, .Lfunc_end1-_ZN9rocsolver6v33100L6iota_nIfEEvPT_jS2_
                                        ; -- End function
	.section	.AMDGPU.csdata,"",@progbits
; Kernel info:
; codeLenInByte = 60
; NumSgprs: 10
; NumVgprs: 2
; NumAgprs: 0
; TotalNumVgprs: 2
; ScratchSize: 0
; MemoryBound: 0
; FloatMode: 240
; IeeeMode: 1
; LDSByteSize: 0 bytes/workgroup (compile time only)
; SGPRBlocks: 1
; VGPRBlocks: 0
; NumSGPRsForWavesPerEU: 10
; NumVGPRsForWavesPerEU: 2
; AccumOffset: 4
; Occupancy: 8
; WaveLimiterHint : 0
; COMPUTE_PGM_RSRC2:SCRATCH_EN: 0
; COMPUTE_PGM_RSRC2:USER_SGPR: 6
; COMPUTE_PGM_RSRC2:TRAP_HANDLER: 0
; COMPUTE_PGM_RSRC2:TGID_X_EN: 1
; COMPUTE_PGM_RSRC2:TGID_Y_EN: 0
; COMPUTE_PGM_RSRC2:TGID_Z_EN: 0
; COMPUTE_PGM_RSRC2:TIDIG_COMP_CNT: 0
; COMPUTE_PGM_RSRC3_GFX90A:ACCUM_OFFSET: 0
; COMPUTE_PGM_RSRC3_GFX90A:TG_SPLIT: 0
	.section	.text._ZN9rocsolver6v33100L10reset_infoIiiiEEvPT_T0_T1_S4_,"axG",@progbits,_ZN9rocsolver6v33100L10reset_infoIiiiEEvPT_T0_T1_S4_,comdat
	.globl	_ZN9rocsolver6v33100L10reset_infoIiiiEEvPT_T0_T1_S4_ ; -- Begin function _ZN9rocsolver6v33100L10reset_infoIiiiEEvPT_T0_T1_S4_
	.p2align	8
	.type	_ZN9rocsolver6v33100L10reset_infoIiiiEEvPT_T0_T1_S4_,@function
_ZN9rocsolver6v33100L10reset_infoIiiiEEvPT_T0_T1_S4_: ; @_ZN9rocsolver6v33100L10reset_infoIiiiEEvPT_T0_T1_S4_
; %bb.0:
	s_load_dword s7, s[4:5], 0x24
	s_load_dwordx4 s[0:3], s[4:5], 0x8
	s_waitcnt lgkmcnt(0)
	s_and_b32 s3, s7, 0xffff
	s_mul_i32 s6, s6, s3
	v_add_u32_e32 v0, s6, v0
	v_cmp_gt_i32_e32 vcc, s0, v0
	s_and_saveexec_b64 s[6:7], vcc
	s_cbranch_execz .LBB2_2
; %bb.1:
	s_load_dwordx2 s[4:5], s[4:5], 0x0
	v_ashrrev_i32_e32 v1, 31, v0
	v_lshlrev_b64 v[2:3], 2, v[0:1]
	v_mul_lo_u32 v0, v0, s2
	v_add_u32_e32 v0, s1, v0
	s_waitcnt lgkmcnt(0)
	v_mov_b32_e32 v1, s5
	v_add_co_u32_e32 v2, vcc, s4, v2
	v_addc_co_u32_e32 v3, vcc, v1, v3, vcc
	global_store_dword v[2:3], v0, off
.LBB2_2:
	s_endpgm
	.section	.rodata,"a",@progbits
	.p2align	6, 0x0
	.amdhsa_kernel _ZN9rocsolver6v33100L10reset_infoIiiiEEvPT_T0_T1_S4_
		.amdhsa_group_segment_fixed_size 0
		.amdhsa_private_segment_fixed_size 0
		.amdhsa_kernarg_size 280
		.amdhsa_user_sgpr_count 6
		.amdhsa_user_sgpr_private_segment_buffer 1
		.amdhsa_user_sgpr_dispatch_ptr 0
		.amdhsa_user_sgpr_queue_ptr 0
		.amdhsa_user_sgpr_kernarg_segment_ptr 1
		.amdhsa_user_sgpr_dispatch_id 0
		.amdhsa_user_sgpr_flat_scratch_init 0
		.amdhsa_user_sgpr_kernarg_preload_length 0
		.amdhsa_user_sgpr_kernarg_preload_offset 0
		.amdhsa_user_sgpr_private_segment_size 0
		.amdhsa_uses_dynamic_stack 0
		.amdhsa_system_sgpr_private_segment_wavefront_offset 0
		.amdhsa_system_sgpr_workgroup_id_x 1
		.amdhsa_system_sgpr_workgroup_id_y 0
		.amdhsa_system_sgpr_workgroup_id_z 0
		.amdhsa_system_sgpr_workgroup_info 0
		.amdhsa_system_vgpr_workitem_id 0
		.amdhsa_next_free_vgpr 4
		.amdhsa_next_free_sgpr 8
		.amdhsa_accum_offset 4
		.amdhsa_reserve_vcc 1
		.amdhsa_reserve_flat_scratch 0
		.amdhsa_float_round_mode_32 0
		.amdhsa_float_round_mode_16_64 0
		.amdhsa_float_denorm_mode_32 3
		.amdhsa_float_denorm_mode_16_64 3
		.amdhsa_dx10_clamp 1
		.amdhsa_ieee_mode 1
		.amdhsa_fp16_overflow 0
		.amdhsa_tg_split 0
		.amdhsa_exception_fp_ieee_invalid_op 0
		.amdhsa_exception_fp_denorm_src 0
		.amdhsa_exception_fp_ieee_div_zero 0
		.amdhsa_exception_fp_ieee_overflow 0
		.amdhsa_exception_fp_ieee_underflow 0
		.amdhsa_exception_fp_ieee_inexact 0
		.amdhsa_exception_int_div_zero 0
	.end_amdhsa_kernel
	.section	.text._ZN9rocsolver6v33100L10reset_infoIiiiEEvPT_T0_T1_S4_,"axG",@progbits,_ZN9rocsolver6v33100L10reset_infoIiiiEEvPT_T0_T1_S4_,comdat
.Lfunc_end2:
	.size	_ZN9rocsolver6v33100L10reset_infoIiiiEEvPT_T0_T1_S4_, .Lfunc_end2-_ZN9rocsolver6v33100L10reset_infoIiiiEEvPT_T0_T1_S4_
                                        ; -- End function
	.section	.AMDGPU.csdata,"",@progbits
; Kernel info:
; codeLenInByte = 108
; NumSgprs: 12
; NumVgprs: 4
; NumAgprs: 0
; TotalNumVgprs: 4
; ScratchSize: 0
; MemoryBound: 0
; FloatMode: 240
; IeeeMode: 1
; LDSByteSize: 0 bytes/workgroup (compile time only)
; SGPRBlocks: 1
; VGPRBlocks: 0
; NumSGPRsForWavesPerEU: 12
; NumVGPRsForWavesPerEU: 4
; AccumOffset: 4
; Occupancy: 8
; WaveLimiterHint : 0
; COMPUTE_PGM_RSRC2:SCRATCH_EN: 0
; COMPUTE_PGM_RSRC2:USER_SGPR: 6
; COMPUTE_PGM_RSRC2:TRAP_HANDLER: 0
; COMPUTE_PGM_RSRC2:TGID_X_EN: 1
; COMPUTE_PGM_RSRC2:TGID_Y_EN: 0
; COMPUTE_PGM_RSRC2:TGID_Z_EN: 0
; COMPUTE_PGM_RSRC2:TIDIG_COMP_CNT: 0
; COMPUTE_PGM_RSRC3_GFX90A:ACCUM_OFFSET: 0
; COMPUTE_PGM_RSRC3_GFX90A:TG_SPLIT: 0
	.section	.text._ZN9rocsolver6v33100L16syev_scalar_caseIfPfTnNSt9enable_ifIXnt18rocblas_is_complexIT_EEiE4typeELi0EEEv14rocblas_evect_T0_lPS4_li,"axG",@progbits,_ZN9rocsolver6v33100L16syev_scalar_caseIfPfTnNSt9enable_ifIXnt18rocblas_is_complexIT_EEiE4typeELi0EEEv14rocblas_evect_T0_lPS4_li,comdat
	.globl	_ZN9rocsolver6v33100L16syev_scalar_caseIfPfTnNSt9enable_ifIXnt18rocblas_is_complexIT_EEiE4typeELi0EEEv14rocblas_evect_T0_lPS4_li ; -- Begin function _ZN9rocsolver6v33100L16syev_scalar_caseIfPfTnNSt9enable_ifIXnt18rocblas_is_complexIT_EEiE4typeELi0EEEv14rocblas_evect_T0_lPS4_li
	.p2align	8
	.type	_ZN9rocsolver6v33100L16syev_scalar_caseIfPfTnNSt9enable_ifIXnt18rocblas_is_complexIT_EEiE4typeELi0EEEv14rocblas_evect_T0_lPS4_li,@function
_ZN9rocsolver6v33100L16syev_scalar_caseIfPfTnNSt9enable_ifIXnt18rocblas_is_complexIT_EEiE4typeELi0EEEv14rocblas_evect_T0_lPS4_li: ; @_ZN9rocsolver6v33100L16syev_scalar_caseIfPfTnNSt9enable_ifIXnt18rocblas_is_complexIT_EEiE4typeELi0EEEv14rocblas_evect_T0_lPS4_li
; %bb.0:
	s_load_dword s0, s[4:5], 0x3c
	s_load_dword s1, s[4:5], 0x28
	s_waitcnt lgkmcnt(0)
	s_and_b32 s0, s0, 0xffff
	s_mul_i32 s6, s6, s0
	v_add_u32_e32 v2, s6, v0
	v_cmp_gt_i32_e32 vcc, s1, v2
	s_and_saveexec_b64 s[0:1], vcc
	s_cbranch_execz .LBB3_3
; %bb.1:
	s_load_dwordx8 s[8:15], s[4:5], 0x8
	v_ashrrev_i32_e32 v3, 31, v2
	s_load_dword s2, s[4:5], 0x0
	s_waitcnt lgkmcnt(0)
	v_mul_lo_u32 v4, v2, s11
	v_mul_lo_u32 v5, v3, s10
	v_mad_u64_u32 v[0:1], s[0:1], v2, s10, 0
	v_add3_u32 v1, v1, v4, v5
	v_lshlrev_b64 v[0:1], 2, v[0:1]
	v_mov_b32_e32 v4, s9
	v_add_co_u32_e32 v0, vcc, s8, v0
	v_addc_co_u32_e32 v1, vcc, v4, v1, vcc
	global_load_dword v4, v[0:1], off
	v_mul_lo_u32 v5, v2, s15
	v_mul_lo_u32 v6, v3, s14
	v_mad_u64_u32 v[2:3], s[0:1], v2, s14, 0
	v_add3_u32 v3, v3, v5, v6
	v_lshlrev_b64 v[2:3], 2, v[2:3]
	v_mov_b32_e32 v5, s13
	v_add_co_u32_e32 v2, vcc, s12, v2
	v_addc_co_u32_e32 v3, vcc, v5, v3, vcc
	s_cmpk_lg_i32 s2, 0xd3
	s_waitcnt vmcnt(0)
	global_store_dword v[2:3], v4, off
	s_cbranch_scc1 .LBB3_3
; %bb.2:
	v_mov_b32_e32 v2, 1.0
	global_store_dword v[0:1], v2, off
.LBB3_3:
	s_endpgm
	.section	.rodata,"a",@progbits
	.p2align	6, 0x0
	.amdhsa_kernel _ZN9rocsolver6v33100L16syev_scalar_caseIfPfTnNSt9enable_ifIXnt18rocblas_is_complexIT_EEiE4typeELi0EEEv14rocblas_evect_T0_lPS4_li
		.amdhsa_group_segment_fixed_size 0
		.amdhsa_private_segment_fixed_size 0
		.amdhsa_kernarg_size 304
		.amdhsa_user_sgpr_count 6
		.amdhsa_user_sgpr_private_segment_buffer 1
		.amdhsa_user_sgpr_dispatch_ptr 0
		.amdhsa_user_sgpr_queue_ptr 0
		.amdhsa_user_sgpr_kernarg_segment_ptr 1
		.amdhsa_user_sgpr_dispatch_id 0
		.amdhsa_user_sgpr_flat_scratch_init 0
		.amdhsa_user_sgpr_kernarg_preload_length 0
		.amdhsa_user_sgpr_kernarg_preload_offset 0
		.amdhsa_user_sgpr_private_segment_size 0
		.amdhsa_uses_dynamic_stack 0
		.amdhsa_system_sgpr_private_segment_wavefront_offset 0
		.amdhsa_system_sgpr_workgroup_id_x 1
		.amdhsa_system_sgpr_workgroup_id_y 0
		.amdhsa_system_sgpr_workgroup_id_z 0
		.amdhsa_system_sgpr_workgroup_info 0
		.amdhsa_system_vgpr_workitem_id 0
		.amdhsa_next_free_vgpr 7
		.amdhsa_next_free_sgpr 16
		.amdhsa_accum_offset 8
		.amdhsa_reserve_vcc 1
		.amdhsa_reserve_flat_scratch 0
		.amdhsa_float_round_mode_32 0
		.amdhsa_float_round_mode_16_64 0
		.amdhsa_float_denorm_mode_32 3
		.amdhsa_float_denorm_mode_16_64 3
		.amdhsa_dx10_clamp 1
		.amdhsa_ieee_mode 1
		.amdhsa_fp16_overflow 0
		.amdhsa_tg_split 0
		.amdhsa_exception_fp_ieee_invalid_op 0
		.amdhsa_exception_fp_denorm_src 0
		.amdhsa_exception_fp_ieee_div_zero 0
		.amdhsa_exception_fp_ieee_overflow 0
		.amdhsa_exception_fp_ieee_underflow 0
		.amdhsa_exception_fp_ieee_inexact 0
		.amdhsa_exception_int_div_zero 0
	.end_amdhsa_kernel
	.section	.text._ZN9rocsolver6v33100L16syev_scalar_caseIfPfTnNSt9enable_ifIXnt18rocblas_is_complexIT_EEiE4typeELi0EEEv14rocblas_evect_T0_lPS4_li,"axG",@progbits,_ZN9rocsolver6v33100L16syev_scalar_caseIfPfTnNSt9enable_ifIXnt18rocblas_is_complexIT_EEiE4typeELi0EEEv14rocblas_evect_T0_lPS4_li,comdat
.Lfunc_end3:
	.size	_ZN9rocsolver6v33100L16syev_scalar_caseIfPfTnNSt9enable_ifIXnt18rocblas_is_complexIT_EEiE4typeELi0EEEv14rocblas_evect_T0_lPS4_li, .Lfunc_end3-_ZN9rocsolver6v33100L16syev_scalar_caseIfPfTnNSt9enable_ifIXnt18rocblas_is_complexIT_EEiE4typeELi0EEEv14rocblas_evect_T0_lPS4_li
                                        ; -- End function
	.section	.AMDGPU.csdata,"",@progbits
; Kernel info:
; codeLenInByte = 220
; NumSgprs: 20
; NumVgprs: 7
; NumAgprs: 0
; TotalNumVgprs: 7
; ScratchSize: 0
; MemoryBound: 0
; FloatMode: 240
; IeeeMode: 1
; LDSByteSize: 0 bytes/workgroup (compile time only)
; SGPRBlocks: 2
; VGPRBlocks: 0
; NumSGPRsForWavesPerEU: 20
; NumVGPRsForWavesPerEU: 7
; AccumOffset: 8
; Occupancy: 8
; WaveLimiterHint : 0
; COMPUTE_PGM_RSRC2:SCRATCH_EN: 0
; COMPUTE_PGM_RSRC2:USER_SGPR: 6
; COMPUTE_PGM_RSRC2:TRAP_HANDLER: 0
; COMPUTE_PGM_RSRC2:TGID_X_EN: 1
; COMPUTE_PGM_RSRC2:TGID_Y_EN: 0
; COMPUTE_PGM_RSRC2:TGID_Z_EN: 0
; COMPUTE_PGM_RSRC2:TIDIG_COMP_CNT: 0
; COMPUTE_PGM_RSRC3_GFX90A:ACCUM_OFFSET: 1
; COMPUTE_PGM_RSRC3_GFX90A:TG_SPLIT: 0
	.section	.text._ZN9rocsolver6v33100L24sytd2_lower_kernel_smallILi256EfifPfEEvT1_T3_lS3_lPT2_lS6_lPT0_l,"axG",@progbits,_ZN9rocsolver6v33100L24sytd2_lower_kernel_smallILi256EfifPfEEvT1_T3_lS3_lPT2_lS6_lPT0_l,comdat
	.globl	_ZN9rocsolver6v33100L24sytd2_lower_kernel_smallILi256EfifPfEEvT1_T3_lS3_lPT2_lS6_lPT0_l ; -- Begin function _ZN9rocsolver6v33100L24sytd2_lower_kernel_smallILi256EfifPfEEvT1_T3_lS3_lPT2_lS6_lPT0_l
	.p2align	8
	.type	_ZN9rocsolver6v33100L24sytd2_lower_kernel_smallILi256EfifPfEEvT1_T3_lS3_lPT2_lS6_lPT0_l,@function
_ZN9rocsolver6v33100L24sytd2_lower_kernel_smallILi256EfifPfEEvT1_T3_lS3_lPT2_lS6_lPT0_l: ; @_ZN9rocsolver6v33100L24sytd2_lower_kernel_smallILi256EfifPfEEvT1_T3_lS3_lPT2_lS6_lPT0_l
; %bb.0:
	s_load_dwordx2 s[8:9], s[4:5], 0x20
	s_load_dword s30, s[4:5], 0x0
	s_load_dwordx4 s[0:3], s[4:5], 0x8
	s_load_dword s34, s[4:5], 0x18
	s_ashr_i32 s6, s7, 31
	s_waitcnt lgkmcnt(0)
	s_mul_i32 s9, s7, s9
	s_mul_hi_u32 s10, s7, s8
	s_add_i32 s9, s10, s9
	s_mul_i32 s10, s6, s8
	s_add_i32 s9, s9, s10
	s_mul_i32 s8, s7, s8
	s_lshl_b64 s[8:9], s[8:9], 2
	s_add_u32 s8, s0, s8
	s_addc_u32 s9, s1, s9
	s_lshl_b64 s[0:1], s[2:3], 2
	s_add_u32 s31, s8, s0
	v_and_b32_e32 v2, 0x7f, v0
	s_addc_u32 s33, s9, s1
	v_cmp_gt_i32_e64 s[0:1], s30, v2
	v_lshrrev_b32_e32 v3, 7, v0
	v_lshlrev_b32_e32 v7, 2, v2
	s_and_saveexec_b64 s[16:17], s[0:1]
	s_cbranch_execz .LBB4_15
; %bb.1:
	v_lshrrev_b32_e32 v4, 7, v0
	v_or_b32_e32 v5, 2, v4
	s_lshl_b32 s35, s34, 1
	v_max_i32_e32 v1, s30, v5
	s_sub_i32 s10, 0, s35
	v_xad_u32 v6, v4, -1, v1
	s_cmp_lt_i32 s35, 0
	v_lshrrev_b32_e32 v8, 1, v6
	s_cselect_b64 s[12:13], -1, 0
	v_add_u32_e32 v9, 1, v8
	s_and_b64 s[8:9], s[12:13], exec
	s_cselect_b32 s8, s10, s35
	v_and_b32_e32 v16, -2, v9
	v_mul_lo_u32 v1, v4, s34
	v_cmp_gt_u32_e64 s[18:19], 26, v6
	v_cmp_lt_u32_e64 s[2:3], 25, v6
	v_mul_hi_u32 v6, s8, v8
	v_lshl_or_b32 v17, v16, 1, v4
	v_cmp_gt_u32_e32 vcc, s30, v4
	s_mov_b32 s36, 0
	v_add_u32_e32 v14, v1, v2
	v_mul_lo_u32 v15, s8, v8
	v_cmp_ne_u32_e64 s[8:9], 0, v6
	s_mov_b32 s37, s34
	s_mov_b32 s38, s30
	v_cmp_ne_u32_e64 s[10:11], v9, v16
	v_add3_u32 v6, v7, 0, 4
	s_lshl_b32 s39, s30, 2
	s_lshl_b32 s40, s30, 3
	s_mov_b64 s[20:21], 0
	v_mul_lo_u32 v18, s34, v17
	v_mov_b32_e32 v8, v2
	s_branch .LBB4_3
.LBB4_2:                                ;   in Loop: Header=BB4_3 Depth=1
	s_or_b64 exec, exec, s[22:23]
	v_add_u32_e32 v8, 0x80, v8
	s_add_i32 s36, s36, 1
	v_cmp_le_i32_e64 s[14:15], s30, v8
	s_or_b64 s[20:21], s[14:15], s[20:21]
	v_add_u32_e32 v6, 0x200, v6
	s_andn2_b64 exec, exec, s[20:21]
	s_cbranch_execz .LBB4_15
.LBB4_3:                                ; =>This Loop Header: Depth=1
                                        ;     Child Loop BB4_7 Depth 2
                                        ;     Child Loop BB4_14 Depth 2
	s_and_saveexec_b64 s[22:23], vcc
	s_cbranch_execz .LBB4_2
; %bb.4:                                ;   in Loop: Header=BB4_3 Depth=1
	s_mov_b64 s[14:15], s[18:19]
	v_mov_b32_e32 v9, v4
	v_mov_b32_e32 v12, v1
	s_and_saveexec_b64 s[24:25], s[2:3]
	s_cbranch_execz .LBB4_12
; %bb.5:                                ;   in Loop: Header=BB4_3 Depth=1
	v_lshl_add_u32 v9, s36, 7, v14
	v_sub_u32_e32 v11, v9, v15
	v_add_u32_e32 v10, v9, v15
	v_cmp_gt_i32_e64 s[14:15], v11, v9
	v_cndmask_b32_e64 v11, 0, 1, s[14:15]
	v_cmp_lt_i32_e64 s[14:15], v10, v9
	v_cndmask_b32_e64 v9, 0, 1, s[14:15]
	v_cndmask_b32_e64 v9, v9, v11, s[12:13]
	v_and_b32_e32 v9, 1, v9
	v_cmp_eq_u32_e64 s[14:15], 1, v9
	s_or_b64 s[26:27], s[14:15], s[8:9]
	s_mov_b64 s[14:15], -1
	s_xor_b64 s[28:29], s[26:27], -1
	v_mov_b32_e32 v9, v4
	v_mov_b32_e32 v12, v1
	s_and_saveexec_b64 s[26:27], s[28:29]
	s_cbranch_execz .LBB4_11
; %bb.6:                                ;   in Loop: Header=BB4_3 Depth=1
	v_lshlrev_b32_e32 v10, 2, v8
	v_mov_b32_e32 v9, v8
	v_add3_u32 v12, 0, v10, 4
	s_mov_b64 s[28:29], 0
	v_mov_b32_e32 v13, v16
	v_pk_mov_b32 v[10:11], v[4:5], v[4:5] op_sel:[0,1]
.LBB4_7:                                ;   Parent Loop BB4_3 Depth=1
                                        ; =>  This Inner Loop Header: Depth=2
	v_mad_u64_u32 v[20:21], s[14:15], v10, s34, v[8:9]
	v_mov_b32_e32 v22, v9
	v_ashrrev_i32_e32 v21, 31, v20
	v_mad_u64_u32 v[22:23], s[14:15], v11, s37, v[22:23]
	v_lshlrev_b64 v[20:21], 2, v[20:21]
	v_mov_b32_e32 v19, s33
	v_ashrrev_i32_e32 v23, 31, v22
	v_add_co_u32_e64 v20, s[14:15], s31, v20
	v_addc_co_u32_e64 v21, s[14:15], v19, v21, s[14:15]
	v_lshlrev_b64 v[22:23], 2, v[22:23]
	v_mov_b32_e32 v24, s33
	v_add_co_u32_e64 v22, s[14:15], s31, v22
	v_addc_co_u32_e64 v23, s[14:15], v24, v23, s[14:15]
	global_load_dword v19, v[20:21], off
	global_load_dword v24, v[22:23], off
	v_add_u32_e32 v13, -2, v13
	v_mul_lo_u32 v21, v10, s30
	v_cmp_eq_u32_e64 s[14:15], 0, v13
	v_mul_lo_u32 v20, v11, s38
	v_add_u32_e32 v10, 4, v10
	v_lshl_add_u32 v21, v21, 2, v12
	v_add_u32_e32 v11, 4, v11
	s_or_b64 s[28:29], s[14:15], s[28:29]
	v_lshl_add_u32 v20, v20, 2, v12
	s_waitcnt vmcnt(1)
	ds_write_b32 v21, v19
	s_waitcnt vmcnt(0)
	ds_write_b32 v20, v24
	s_andn2_b64 exec, exec, s[28:29]
	s_cbranch_execnz .LBB4_7
; %bb.8:                                ;   in Loop: Header=BB4_3 Depth=1
	s_or_b64 exec, exec, s[28:29]
	s_mov_b64 s[14:15], 0
	s_and_saveexec_b64 s[28:29], s[10:11]
	s_xor_b64 s[28:29], exec, s[28:29]
; %bb.9:                                ;   in Loop: Header=BB4_3 Depth=1
	s_mov_b64 s[14:15], exec
; %bb.10:                               ;   in Loop: Header=BB4_3 Depth=1
	s_or_b64 exec, exec, s[28:29]
	s_orn2_b64 s[14:15], s[14:15], exec
	v_mov_b32_e32 v9, v17
	v_mov_b32_e32 v12, v18
.LBB4_11:                               ;   in Loop: Header=BB4_3 Depth=1
	s_or_b64 exec, exec, s[26:27]
	s_andn2_b64 s[26:27], s[18:19], exec
	s_and_b64 s[14:15], s[14:15], exec
	s_or_b64 s[14:15], s[26:27], s[14:15]
.LBB4_12:                               ;   in Loop: Header=BB4_3 Depth=1
	s_or_b64 exec, exec, s[24:25]
	s_and_b64 exec, exec, s[14:15]
	s_cbranch_execz .LBB4_2
; %bb.13:                               ;   in Loop: Header=BB4_3 Depth=1
	v_mad_u64_u32 v[10:11], s[14:15], s39, v9, v[6:7]
	v_add_u32_e32 v12, v8, v12
	s_mov_b64 s[24:25], 0
.LBB4_14:                               ;   Parent Loop BB4_3 Depth=1
                                        ; =>  This Inner Loop Header: Depth=2
	v_ashrrev_i32_e32 v13, 31, v12
	v_lshlrev_b64 v[20:21], 2, v[12:13]
	v_mov_b32_e32 v11, s33
	v_add_co_u32_e64 v20, s[14:15], s31, v20
	v_addc_co_u32_e64 v21, s[14:15], v11, v21, s[14:15]
	global_load_dword v11, v[20:21], off
	v_add_u32_e32 v9, 2, v9
	v_cmp_le_i32_e64 s[14:15], s30, v9
	v_add_u32_e32 v12, s35, v12
	s_or_b64 s[24:25], s[14:15], s[24:25]
	s_waitcnt vmcnt(0)
	ds_write_b32 v10, v11
	v_add_u32_e32 v10, s40, v10
	s_andn2_b64 exec, exec, s[24:25]
	s_cbranch_execnz .LBB4_14
	s_branch .LBB4_2
.LBB4_15:
	s_or_b64 exec, exec, s[16:17]
	s_waitcnt lgkmcnt(0)
	s_barrier
	s_and_saveexec_b64 s[8:9], s[0:1]
	s_cbranch_execz .LBB4_23
; %bb.16:
	v_lshrrev_b32_e32 v1, 7, v0
	v_mul_lo_u32 v4, s30, v2
	v_lshlrev_b32_e32 v5, 2, v1
	v_lshl_add_u32 v4, v4, 2, v5
	v_mul_lo_u32 v5, s30, v1
	v_lshl_add_u32 v5, v5, 2, v7
	v_cmp_gt_u32_e32 vcc, s30, v1
	v_add3_u32 v4, v4, 0, 4
	s_lshl_b32 s18, s30, 9
	v_add3_u32 v5, v5, 0, 4
	s_lshl_b32 s19, s30, 3
	s_mov_b64 s[10:11], 0
	v_mov_b32_e32 v6, v2
	s_branch .LBB4_18
.LBB4_17:                               ;   in Loop: Header=BB4_18 Depth=1
	s_or_b64 exec, exec, s[12:13]
	v_add_u32_e32 v6, 0x80, v6
	v_cmp_le_i32_e64 s[2:3], s30, v6
	v_add_u32_e32 v4, s18, v4
	s_or_b64 s[10:11], s[2:3], s[10:11]
	v_add_u32_e32 v5, 0x200, v5
	s_andn2_b64 exec, exec, s[10:11]
	s_cbranch_execz .LBB4_23
.LBB4_18:                               ; =>This Loop Header: Depth=1
                                        ;     Child Loop BB4_21 Depth 2
	s_and_saveexec_b64 s[12:13], vcc
	s_cbranch_execz .LBB4_17
; %bb.19:                               ;   in Loop: Header=BB4_18 Depth=1
	s_mov_b64 s[14:15], 0
	v_mov_b32_e32 v8, v5
	v_mov_b32_e32 v9, v4
	;; [unrolled: 1-line block ×3, first 2 shown]
	s_branch .LBB4_21
.LBB4_20:                               ;   in Loop: Header=BB4_21 Depth=2
	s_or_b64 exec, exec, s[16:17]
	v_add_u32_e32 v10, 2, v10
	v_cmp_le_i32_e64 s[2:3], s30, v10
	v_add_u32_e32 v9, 8, v9
	s_or_b64 s[14:15], s[2:3], s[14:15]
	v_add_u32_e32 v8, s19, v8
	s_andn2_b64 exec, exec, s[14:15]
	s_cbranch_execz .LBB4_17
.LBB4_21:                               ;   Parent Loop BB4_18 Depth=1
                                        ; =>  This Inner Loop Header: Depth=2
	v_cmp_lt_u32_e64 s[2:3], v6, v10
	s_and_saveexec_b64 s[16:17], s[2:3]
	s_cbranch_execz .LBB4_20
; %bb.22:                               ;   in Loop: Header=BB4_21 Depth=2
	ds_read_b32 v11, v9
	s_waitcnt lgkmcnt(0)
	ds_write_b32 v8, v11
	s_branch .LBB4_20
.LBB4_23:
	s_or_b64 exec, exec, s[8:9]
	s_cmp_lt_i32 s30, 2
	s_waitcnt lgkmcnt(0)
	s_barrier
	s_cbranch_scc1 .LBB4_74
; %bb.24:
	s_load_dwordx8 s[8:15], s[4:5], 0x38
	v_mbcnt_lo_u32_b32 v1, -1, 0
	v_mbcnt_hi_u32_b32 v9, -1, v1
	v_and_b32_e32 v10, 63, v9
	v_cmp_ne_u32_e32 vcc, 63, v10
	s_waitcnt lgkmcnt(0)
	s_mul_i32 s3, s7, s11
	s_mul_hi_u32 s4, s7, s10
	s_mul_i32 s5, s6, s10
	s_add_i32 s3, s4, s3
	s_mul_i32 s2, s7, s10
	s_add_i32 s3, s3, s5
	s_lshl_b64 s[2:3], s[2:3], 2
	s_mul_i32 s10, s7, s15
	s_add_u32 s24, s8, s2
	s_mul_hi_u32 s2, s7, s14
	s_addc_u32 s25, s9, s3
	s_add_i32 s2, s2, s10
	s_mul_i32 s3, s6, s14
	s_add_i32 s3, s2, s3
	s_mul_i32 s2, s7, s14
	s_lshl_b64 s[2:3], s[2:3], 2
	s_add_u32 s26, s12, s2
	s_mul_i32 s2, s30, s30
	s_addc_u32 s27, s13, s3
	s_lshl_b32 s2, s2, 2
	v_addc_co_u32_e32 v1, vcc, 0, v9, vcc
	s_add_i32 s6, s2, 0
	s_lshl_b32 s29, s30, 2
	v_cmp_gt_u32_e32 vcc, 62, v10
	s_add_i32 s37, s6, s29
	v_cndmask_b32_e64 v4, 0, 1, vcc
	v_cmp_gt_u32_e32 vcc, 60, v10
	s_add_i32 s28, s6, 4
	s_add_i32 s35, s37, s29
	v_cndmask_b32_e64 v5, 0, 1, vcc
	v_cmp_gt_u32_e32 vcc, 56, v10
	v_cndmask_b32_e64 v6, 0, 1, vcc
	v_cmp_gt_u32_e32 vcc, 48, v10
	s_cmp_eq_u64 s[8:9], 0
	v_cndmask_b32_e64 v8, 0, 1, vcc
	v_cmp_gt_u32_e32 vcc, 32, v10
	s_cselect_b64 s[14:15], -1, 0
	s_cmp_lg_u64 s[8:9], 0
	v_lshlrev_b32_e32 v14, 2, v0
	v_cndmask_b32_e64 v10, 0, 1, vcc
	s_cselect_b64 s[16:17], -1, 0
	v_add_u32_e32 v12, s6, v14
	v_add_u32_e32 v13, 8, v14
	s_add_i32 s38, s29, 4
	s_add_i32 s6, s29, 0
	v_lshlrev_b32_e32 v4, 1, v4
	v_lshlrev_b32_e32 v5, 2, v5
	;; [unrolled: 1-line block ×5, first 2 shown]
	v_add_u32_e32 v11, 0, v13
	v_add_u32_e32 v13, s6, v13
	s_mul_i32 s6, s30, s38
	s_mov_b32 s13, 0
	v_add_lshl_u32 v4, v4, v9, 2
	v_add_lshl_u32 v5, v5, v9, 2
	;; [unrolled: 1-line block ×5, first 2 shown]
	v_and_b32_e32 v10, 63, v0
	v_lshrrev_b32_e32 v15, 4, v0
	s_add_i32 s6, s6, 0
	v_lshlrev_b32_e32 v1, 2, v1
	v_cmp_eq_u32_e64 s[2:3], 0, v10
	v_cmp_eq_u32_e64 s[4:5], 0, v0
	s_add_i32 s36, s30, -2
	s_add_i32 s37, s37, 4
	v_add_u32_e32 v10, 4, v12
	v_add_u32_e32 v12, 8, v12
	v_add3_u32 v14, s6, v14, 4
	v_add_u32_e32 v15, s35, v15
	v_mov_b32_e32 v16, 0
	s_mov_b32 s39, 0xf800000
	v_mov_b32_e32 v17, 0x260
	s_mov_b32 s12, s13
	s_branch .LBB4_26
.LBB4_25:                               ;   in Loop: Header=BB4_26 Depth=1
	s_or_b64 exec, exec, s[8:9]
	s_add_i32 s6, s12, 1
	v_add_u32_e32 v11, s38, v11
	v_add_u32_e32 v13, s38, v13
	s_cmp_eq_u32 s12, s36
	s_mov_b32 s12, s6
	s_waitcnt lgkmcnt(0)
	s_barrier
	s_cbranch_scc1 .LBB4_74
.LBB4_26:                               ; =>This Loop Header: Depth=1
                                        ;     Child Loop BB4_28 Depth 2
                                        ;     Child Loop BB4_31 Depth 2
	;; [unrolled: 1-line block ×4, first 2 shown]
                                        ;       Child Loop BB4_54 Depth 3
                                        ;     Child Loop BB4_57 Depth 2
                                        ;     Child Loop BB4_60 Depth 2
	;; [unrolled: 1-line block ×4, first 2 shown]
                                        ;       Child Loop BB4_72 Depth 3
	s_not_b32 s40, s12
	s_add_i32 s40, s40, s30
	v_cmp_gt_i32_e64 s[6:7], s40, v0
	s_and_saveexec_b64 s[8:9], s[6:7]
	s_cbranch_execz .LBB4_29
; %bb.27:                               ;   in Loop: Header=BB4_26 Depth=1
	s_mov_b64 s[10:11], 0
	v_mov_b32_e32 v18, v11
	v_mov_b32_e32 v19, v10
	v_mov_b32_e32 v20, v0
.LBB4_28:                               ;   Parent Loop BB4_26 Depth=1
                                        ; =>  This Inner Loop Header: Depth=2
	ds_read_b32 v21, v18
	v_add_u32_e32 v20, 0x100, v20
	v_cmp_le_i32_e32 vcc, s40, v20
	v_add_u32_e32 v18, 0x400, v18
	s_or_b64 s[10:11], vcc, s[10:11]
	s_waitcnt lgkmcnt(0)
	ds_write_b32 v19, v21
	v_add_u32_e32 v19, 0x400, v19
	s_andn2_b64 exec, exec, s[10:11]
	s_cbranch_execnz .LBB4_28
.LBB4_29:                               ;   in Loop: Header=BB4_26 Depth=1
	s_or_b64 exec, exec, s[8:9]
	s_add_i32 s41, s40, -1
	v_cmp_gt_i32_e64 s[8:9], s41, v0
	v_mov_b32_e32 v18, 0
	s_waitcnt lgkmcnt(0)
	s_barrier
	s_and_saveexec_b64 s[10:11], s[8:9]
	s_cbranch_execz .LBB4_33
; %bb.30:                               ;   in Loop: Header=BB4_26 Depth=1
	s_mov_b64 s[18:19], 0
	v_mov_b32_e32 v18, 0
	v_mov_b32_e32 v19, v12
	;; [unrolled: 1-line block ×3, first 2 shown]
.LBB4_31:                               ;   Parent Loop BB4_26 Depth=1
                                        ; =>  This Inner Loop Header: Depth=2
	ds_read_b32 v21, v19
	v_add_u32_e32 v20, 0x100, v20
	v_cmp_le_i32_e32 vcc, s41, v20
	v_add_u32_e32 v19, 0x400, v19
	s_or_b64 s[18:19], vcc, s[18:19]
	s_waitcnt lgkmcnt(0)
	v_mul_f32_e32 v21, v21, v21
	v_add_f32_e32 v18, v18, v21
	s_andn2_b64 exec, exec, s[18:19]
	s_cbranch_execnz .LBB4_31
; %bb.32:                               ;   in Loop: Header=BB4_26 Depth=1
	s_or_b64 exec, exec, s[18:19]
.LBB4_33:                               ;   in Loop: Header=BB4_26 Depth=1
	s_or_b64 exec, exec, s[10:11]
	ds_bpermute_b32 v19, v1, v18
	s_waitcnt lgkmcnt(0)
	v_add_f32_e32 v18, v18, v19
	ds_bpermute_b32 v19, v4, v18
	s_waitcnt lgkmcnt(0)
	v_add_f32_e32 v18, v18, v19
	;; [unrolled: 3-line block ×6, first 2 shown]
	s_and_saveexec_b64 s[10:11], s[2:3]
	s_cbranch_execz .LBB4_35
; %bb.34:                               ;   in Loop: Header=BB4_26 Depth=1
	ds_write_b32 v15, v18 offset:4
.LBB4_35:                               ;   in Loop: Header=BB4_26 Depth=1
	s_or_b64 exec, exec, s[10:11]
	s_waitcnt lgkmcnt(0)
	s_barrier
	s_and_saveexec_b64 s[18:19], s[4:5]
	s_cbranch_execz .LBB4_48
; %bb.36:                               ;   in Loop: Header=BB4_26 Depth=1
	v_mov_b32_e32 v19, s35
	ds_read2_b32 v[20:21], v19 offset0:2 offset1:3
	ds_read_b32 v19, v19 offset:16
	s_mov_b64 s[10:11], 0
	s_mov_b64 s[20:21], 0
                                        ; implicit-def: $sgpr42
                                        ; implicit-def: $sgpr43
                                        ; implicit-def: $sgpr45
                                        ; implicit-def: $sgpr44
	s_waitcnt lgkmcnt(1)
	v_add_f32_e32 v18, v18, v20
	v_add_f32_e32 v18, v18, v21
	s_waitcnt lgkmcnt(0)
	v_add_f32_e32 v21, v18, v19
	v_cmp_nlt_f32_e32 vcc, 0, v21
                                        ; implicit-def: $vgpr18
	s_and_saveexec_b64 s[22:23], vcc
	s_xor_b64 s[22:23], exec, s[22:23]
	s_cbranch_execz .LBB4_41
; %bb.37:                               ;   in Loop: Header=BB4_26 Depth=1
	s_and_b64 vcc, exec, s[16:17]
	ds_write_b32 v16, v16
	s_cbranch_vccz .LBB4_39
; %bb.38:                               ;   in Loop: Header=BB4_26 Depth=1
	v_mov_b32_e32 v18, s28
	ds_read_b32 v18, v18
	s_mov_b64 s[20:21], -1
	s_mov_b32 s44, 0
	s_mov_b32 s45, 1.0
	s_branch .LBB4_40
.LBB4_39:                               ;   in Loop: Header=BB4_26 Depth=1
                                        ; implicit-def: $vgpr18
                                        ; implicit-def: $sgpr45
                                        ; implicit-def: $sgpr44
.LBB4_40:                               ;   in Loop: Header=BB4_26 Depth=1
	s_mov_b32 s43, 0
	s_mov_b32 s42, 1.0
	s_and_b64 s[20:21], s[20:21], exec
                                        ; implicit-def: $vgpr21
.LBB4_41:                               ;   in Loop: Header=BB4_26 Depth=1
	s_or_saveexec_b64 s[22:23], s[22:23]
	v_mov_b32_e32 v19, s45
	v_mov_b32_e32 v20, s44
	s_xor_b64 exec, exec, s[22:23]
	s_cbranch_execz .LBB4_43
; %bb.42:                               ;   in Loop: Header=BB4_26 Depth=1
	s_waitcnt lgkmcnt(0)
	v_mov_b32_e32 v18, s28
	ds_read_b32 v19, v18
	s_andn2_b64 s[20:21], s[20:21], exec
	s_and_b64 s[44:45], s[16:17], exec
	s_or_b64 s[20:21], s[20:21], s[44:45]
	s_waitcnt lgkmcnt(0)
	v_fmac_f32_e32 v21, v19, v19
	v_mul_f32_e32 v18, 0x4f800000, v21
	v_cmp_gt_f32_e32 vcc, s39, v21
	v_cndmask_b32_e32 v18, v21, v18, vcc
	v_sqrt_f32_e32 v20, v18
	v_add_u32_e32 v21, -1, v20
	v_add_u32_e32 v22, 1, v20
	v_fma_f32 v23, -v21, v20, v18
	v_fma_f32 v24, -v22, v20, v18
	v_cmp_ge_f32_e64 s[10:11], 0, v23
	v_cndmask_b32_e64 v20, v20, v21, s[10:11]
	v_cmp_lt_f32_e64 s[10:11], 0, v24
	v_cndmask_b32_e64 v20, v20, v22, s[10:11]
	v_mul_f32_e32 v21, 0x37800000, v20
	v_cndmask_b32_e32 v20, v20, v21, vcc
	v_cmp_class_f32_e32 vcc, v18, v17
	v_cndmask_b32_e32 v18, v20, v18, vcc
	v_cmp_le_f32_e32 vcc, 0, v19
	v_cndmask_b32_e64 v18, v18, -v18, vcc
	v_sub_f32_e32 v20, v19, v18
	v_div_scale_f32 v21, s[10:11], v20, v20, 1.0
	v_rcp_f32_e32 v22, v21
	v_div_scale_f32 v23, vcc, 1.0, v20, 1.0
	v_fma_f32 v24, -v21, v22, 1.0
	v_fmac_f32_e32 v22, v24, v22
	v_mul_f32_e32 v24, v23, v22
	v_fma_f32 v25, -v21, v24, v23
	v_fmac_f32_e32 v24, v25, v22
	v_fma_f32 v21, -v21, v24, v23
	v_sub_f32_e32 v23, v18, v19
	v_div_scale_f32 v25, s[10:11], v18, v18, v23
	v_rcp_f32_e32 v26, v25
	v_div_fmas_f32 v19, v21, v22, v24
	v_div_fixup_f32 v19, v19, v20, 1.0
	s_and_b64 s[10:11], s[14:15], exec
	v_fma_f32 v20, -v25, v26, 1.0
	v_fmac_f32_e32 v26, v20, v26
	v_div_scale_f32 v20, vcc, v23, v18, v23
	v_mul_f32_e32 v21, v20, v26
	v_fma_f32 v22, -v25, v21, v20
	v_fmac_f32_e32 v21, v22, v26
	v_fma_f32 v20, -v25, v21, v20
	v_div_fmas_f32 v20, v20, v26, v21
	v_div_fixup_f32 v20, v20, v18, v23
	ds_write_b32 v16, v20
.LBB4_43:                               ;   in Loop: Header=BB4_26 Depth=1
	s_or_b64 exec, exec, s[22:23]
	s_and_saveexec_b64 s[22:23], s[20:21]
	s_cbranch_execz .LBB4_45
; %bb.44:                               ;   in Loop: Header=BB4_26 Depth=1
	s_lshl_b64 s[20:21], s[12:13], 2
	s_add_u32 s20, s24, s20
	s_addc_u32 s21, s25, s21
	s_waitcnt lgkmcnt(0)
	global_store_dword v16, v18, s[20:21]
	v_mov_b32_e32 v18, 1.0
	s_or_b64 s[10:11], s[10:11], exec
.LBB4_45:                               ;   in Loop: Header=BB4_26 Depth=1
	s_or_b64 exec, exec, s[22:23]
	v_mov_b32_e32 v21, s43
	v_mov_b32_e32 v22, s42
	s_and_saveexec_b64 s[20:21], s[10:11]
	s_cbranch_execz .LBB4_47
; %bb.46:                               ;   in Loop: Header=BB4_26 Depth=1
	v_mov_b32_e32 v21, s28
	s_waitcnt lgkmcnt(0)
	ds_write_b32 v21, v18
	v_mov_b32_e32 v21, v20
	v_mov_b32_e32 v22, v19
.LBB4_47:                               ;   in Loop: Header=BB4_26 Depth=1
	s_or_b64 exec, exec, s[20:21]
	s_lshl_b64 s[10:11], s[12:13], 2
	s_add_u32 s10, s26, s10
	s_addc_u32 s11, s27, s11
	s_waitcnt lgkmcnt(0)
	v_mov_b32_e32 v18, s35
	global_store_dword v16, v21, s[10:11]
	ds_write_b32 v18, v22 offset:4
.LBB4_48:                               ;   in Loop: Header=BB4_26 Depth=1
	s_or_b64 exec, exec, s[18:19]
	s_waitcnt lgkmcnt(0)
	s_barrier
	s_and_saveexec_b64 s[10:11], s[8:9]
	s_cbranch_execz .LBB4_51
; %bb.49:                               ;   in Loop: Header=BB4_26 Depth=1
	s_mov_b64 s[8:9], 0
	v_mov_b32_e32 v18, v12
	v_mov_b32_e32 v19, v0
.LBB4_50:                               ;   Parent Loop BB4_26 Depth=1
                                        ; =>  This Inner Loop Header: Depth=2
	v_mov_b32_e32 v20, s35
	ds_read_b32 v21, v18
	ds_read_b32 v20, v20 offset:4
	v_add_u32_e32 v19, 0x100, v19
	v_cmp_le_i32_e32 vcc, s41, v19
	s_or_b64 s[8:9], vcc, s[8:9]
	s_waitcnt lgkmcnt(0)
	v_mul_f32_e32 v20, v20, v21
	ds_write_b32 v18, v20
	v_add_u32_e32 v18, 0x400, v18
	s_andn2_b64 exec, exec, s[8:9]
	s_cbranch_execnz .LBB4_50
.LBB4_51:                               ;   in Loop: Header=BB4_26 Depth=1
	s_or_b64 exec, exec, s[10:11]
	s_waitcnt lgkmcnt(0)
	s_barrier
	s_and_saveexec_b64 s[8:9], s[6:7]
	s_cbranch_execz .LBB4_58
; %bb.52:                               ;   in Loop: Header=BB4_26 Depth=1
	s_mov_b64 s[10:11], 0
	v_mov_b32_e32 v18, v13
	v_mov_b32_e32 v19, v0
.LBB4_53:                               ;   Parent Loop BB4_26 Depth=1
                                        ; =>  This Loop Header: Depth=2
                                        ;       Child Loop BB4_54 Depth 3
	s_mov_b32 s18, 0
	v_mov_b32_e32 v20, 0
	v_mov_b32_e32 v21, v18
	s_mov_b32 s19, s28
.LBB4_54:                               ;   Parent Loop BB4_26 Depth=1
                                        ;     Parent Loop BB4_53 Depth=2
                                        ; =>    This Inner Loop Header: Depth=3
	v_mov_b32_e32 v23, s19
	ds_read_b32 v22, v21
	ds_read_b32 v23, v23
	s_add_i32 s18, s18, 1
	s_add_i32 s19, s19, 4
	v_add_u32_e32 v21, s29, v21
	s_cmp_ge_i32 s18, s40
	s_waitcnt lgkmcnt(0)
	v_fmac_f32_e32 v20, v22, v23
	s_cbranch_scc0 .LBB4_54
; %bb.55:                               ;   in Loop: Header=BB4_53 Depth=2
	ds_read_b32 v21, v16
	v_lshl_add_u32 v22, v19, 2, s37
	v_add_u32_e32 v19, 0x100, v19
	v_cmp_le_i32_e32 vcc, s40, v19
	s_or_b64 s[10:11], vcc, s[10:11]
	s_waitcnt lgkmcnt(0)
	v_mul_f32_e32 v20, v20, v21
	v_add_u32_e32 v18, 0x400, v18
	ds_write_b32 v22, v20
	s_andn2_b64 exec, exec, s[10:11]
	s_cbranch_execnz .LBB4_53
; %bb.56:                               ;   in Loop: Header=BB4_26 Depth=1
	s_or_b64 exec, exec, s[10:11]
	s_mov_b32 s18, 0
	s_mov_b64 s[10:11], 0
	v_mov_b32_e32 v18, v0
.LBB4_57:                               ;   Parent Loop BB4_26 Depth=1
                                        ; =>  This Inner Loop Header: Depth=2
	v_add_u32_e32 v19, s18, v10
	ds_read_b32 v19, v19
	v_add_u32_e32 v18, 0x100, v18
	v_add_u32_e32 v20, s18, v11
	s_addk_i32 s18, 0x400
	v_cmp_le_i32_e32 vcc, s40, v18
	s_or_b64 s[10:11], vcc, s[10:11]
	s_waitcnt lgkmcnt(0)
	ds_write_b32 v20, v19
	s_andn2_b64 exec, exec, s[10:11]
	s_cbranch_execnz .LBB4_57
.LBB4_58:                               ;   in Loop: Header=BB4_26 Depth=1
	s_or_b64 exec, exec, s[8:9]
	v_mov_b32_e32 v18, 0
	s_waitcnt lgkmcnt(0)
	s_barrier
	s_and_saveexec_b64 s[8:9], s[6:7]
	s_cbranch_execz .LBB4_62
; %bb.59:                               ;   in Loop: Header=BB4_26 Depth=1
	s_mov_b64 s[10:11], 0
	v_mov_b32_e32 v18, 0
	v_mov_b32_e32 v19, v10
	;; [unrolled: 1-line block ×4, first 2 shown]
.LBB4_60:                               ;   Parent Loop BB4_26 Depth=1
                                        ; =>  This Inner Loop Header: Depth=2
	ds_read_b32 v22, v19
	ds_read_b32 v23, v20
	v_add_u32_e32 v21, 0x100, v21
	v_cmp_le_i32_e32 vcc, s40, v21
	v_add_u32_e32 v20, 0x400, v20
	v_add_u32_e32 v19, 0x400, v19
	s_waitcnt lgkmcnt(0)
	v_mul_f32_e32 v22, v22, v23
	s_or_b64 s[10:11], vcc, s[10:11]
	v_add_f32_e32 v18, v18, v22
	s_andn2_b64 exec, exec, s[10:11]
	s_cbranch_execnz .LBB4_60
; %bb.61:                               ;   in Loop: Header=BB4_26 Depth=1
	s_or_b64 exec, exec, s[10:11]
.LBB4_62:                               ;   in Loop: Header=BB4_26 Depth=1
	s_or_b64 exec, exec, s[8:9]
	ds_bpermute_b32 v19, v1, v18
	s_waitcnt lgkmcnt(0)
	v_add_f32_e32 v18, v18, v19
	ds_bpermute_b32 v19, v4, v18
	s_waitcnt lgkmcnt(0)
	v_add_f32_e32 v18, v18, v19
	;; [unrolled: 3-line block ×6, first 2 shown]
	s_and_saveexec_b64 s[8:9], s[2:3]
	s_cbranch_execz .LBB4_64
; %bb.63:                               ;   in Loop: Header=BB4_26 Depth=1
	ds_write_b32 v15, v18 offset:4
.LBB4_64:                               ;   in Loop: Header=BB4_26 Depth=1
	s_or_b64 exec, exec, s[8:9]
	s_waitcnt lgkmcnt(0)
	s_barrier
	s_and_saveexec_b64 s[8:9], s[4:5]
	s_cbranch_execz .LBB4_66
; %bb.65:                               ;   in Loop: Header=BB4_26 Depth=1
	v_mov_b32_e32 v22, s35
	ds_read_b32 v23, v22 offset:16
	ds_read2_b32 v[20:21], v22 offset0:2 offset1:3
	ds_read_b32 v19, v16
	s_waitcnt lgkmcnt(1)
	v_add_f32_e32 v20, v18, v20
	v_add_f32_e32 v20, v20, v21
	s_waitcnt lgkmcnt(0)
	v_cvt_f64_f32_e32 v[18:19], v19
	v_add_f32_e32 v20, v20, v23
	v_mul_f64 v[18:19], v[18:19], -0.5
	v_cvt_f64_f32_e32 v[20:21], v20
	v_mul_f64 v[18:19], v[18:19], v[20:21]
	v_cvt_f32_f64_e32 v18, v[18:19]
	ds_write_b32 v22, v18 offset:4
.LBB4_66:                               ;   in Loop: Header=BB4_26 Depth=1
	s_or_b64 exec, exec, s[8:9]
	s_waitcnt lgkmcnt(0)
	s_barrier
	s_and_saveexec_b64 s[8:9], s[6:7]
	s_cbranch_execz .LBB4_69
; %bb.67:                               ;   in Loop: Header=BB4_26 Depth=1
	s_mov_b64 s[10:11], 0
	v_mov_b32_e32 v18, v10
	v_mov_b32_e32 v19, v14
	;; [unrolled: 1-line block ×3, first 2 shown]
.LBB4_68:                               ;   Parent Loop BB4_26 Depth=1
                                        ; =>  This Inner Loop Header: Depth=2
	v_mov_b32_e32 v21, s35
	ds_read_b32 v22, v18
	ds_read_b32 v23, v19
	ds_read_b32 v21, v21 offset:4
	v_add_u32_e32 v20, 0x100, v20
	v_cmp_le_i32_e32 vcc, s40, v20
	s_or_b64 s[10:11], vcc, s[10:11]
	v_add_u32_e32 v18, 0x400, v18
	s_waitcnt lgkmcnt(0)
	v_fmac_f32_e32 v23, v21, v22
	ds_write_b32 v19, v23
	v_add_u32_e32 v19, 0x400, v19
	s_andn2_b64 exec, exec, s[10:11]
	s_cbranch_execnz .LBB4_68
.LBB4_69:                               ;   in Loop: Header=BB4_26 Depth=1
	s_or_b64 exec, exec, s[8:9]
	s_waitcnt lgkmcnt(0)
	s_barrier
	s_and_saveexec_b64 s[8:9], s[6:7]
	s_cbranch_execz .LBB4_25
; %bb.70:                               ;   in Loop: Header=BB4_26 Depth=1
	s_mov_b64 s[6:7], 0
	v_mov_b32_e32 v18, v13
	v_mov_b32_e32 v19, v0
.LBB4_71:                               ;   Parent Loop BB4_26 Depth=1
                                        ; =>  This Loop Header: Depth=2
                                        ;       Child Loop BB4_72 Depth 3
	v_lshlrev_b32_e32 v21, 2, v19
	v_add_u32_e32 v20, s28, v21
	v_add_u32_e32 v21, s37, v21
	s_mov_b32 s10, 0
	v_mov_b32_e32 v22, v18
	s_mov_b32 s11, s37
	s_mov_b32 s18, s28
.LBB4_72:                               ;   Parent Loop BB4_26 Depth=1
                                        ;     Parent Loop BB4_71 Depth=2
                                        ; =>    This Inner Loop Header: Depth=3
	ds_read_b32 v23, v22
	v_mov_b32_e32 v24, s11
	v_mov_b32_e32 v27, s18
	ds_read_b32 v24, v24
	ds_read_b32 v25, v20
	;; [unrolled: 1-line block ×4, first 2 shown]
	s_add_i32 s10, s10, 1
	s_add_i32 s18, s18, 4
	s_waitcnt lgkmcnt(2)
	v_fma_f32 v23, -v25, v24, v23
	s_add_i32 s11, s11, 4
	s_waitcnt lgkmcnt(0)
	v_fma_f32 v23, -v26, v27, v23
	ds_write_b32 v22, v23
	s_cmp_ge_i32 s10, s40
	v_add_u32_e32 v22, s29, v22
	s_cbranch_scc0 .LBB4_72
; %bb.73:                               ;   in Loop: Header=BB4_71 Depth=2
	v_add_u32_e32 v19, 0x100, v19
	v_cmp_le_i32_e32 vcc, s40, v19
	s_or_b64 s[6:7], vcc, s[6:7]
	v_add_u32_e32 v18, 0x400, v18
	s_andn2_b64 exec, exec, s[6:7]
	s_cbranch_execnz .LBB4_71
	s_branch .LBB4_25
.LBB4_74:
	s_and_saveexec_b64 s[2:3], s[0:1]
	s_cbranch_execz .LBB4_82
; %bb.75:
	v_mad_u64_u32 v[0:1], s[0:1], s34, v3, v[2:3]
	v_mul_lo_u32 v1, s30, v3
	v_lshl_add_u32 v1, v1, 2, v7
	v_cmp_gt_u32_e32 vcc, s30, v3
	s_lshl_b32 s10, s34, 1
	v_add3_u32 v1, v1, 0, 4
	s_lshl_b32 s11, s30, 3
	s_mov_b64 s[2:3], 0
	s_branch .LBB4_77
.LBB4_76:                               ;   in Loop: Header=BB4_77 Depth=1
	s_or_b64 exec, exec, s[4:5]
	v_add_u32_e32 v2, 0x80, v2
	v_cmp_le_i32_e64 s[0:1], s30, v2
	v_add_u32_e32 v0, 0x80, v0
	s_or_b64 s[2:3], s[0:1], s[2:3]
	v_add_u32_e32 v1, 0x200, v1
	s_andn2_b64 exec, exec, s[2:3]
	s_cbranch_execz .LBB4_82
.LBB4_77:                               ; =>This Loop Header: Depth=1
                                        ;     Child Loop BB4_80 Depth 2
	s_and_saveexec_b64 s[4:5], vcc
	s_cbranch_execz .LBB4_76
; %bb.78:                               ;   in Loop: Header=BB4_77 Depth=1
	s_mov_b64 s[6:7], 0
	v_mov_b32_e32 v6, v1
	v_mov_b32_e32 v4, v0
	;; [unrolled: 1-line block ×3, first 2 shown]
	s_branch .LBB4_80
.LBB4_79:                               ;   in Loop: Header=BB4_80 Depth=2
	s_or_b64 exec, exec, s[8:9]
	v_add_u32_e32 v7, 2, v7
	v_cmp_le_i32_e64 s[0:1], s30, v7
	v_add_u32_e32 v4, s10, v4
	s_or_b64 s[6:7], s[0:1], s[6:7]
	v_add_u32_e32 v6, s11, v6
	s_andn2_b64 exec, exec, s[6:7]
	s_cbranch_execz .LBB4_76
.LBB4_80:                               ;   Parent Loop BB4_77 Depth=1
                                        ; =>  This Inner Loop Header: Depth=2
	v_cmp_ge_u32_e64 s[0:1], v2, v7
	s_and_saveexec_b64 s[8:9], s[0:1]
	s_cbranch_execz .LBB4_79
; %bb.81:                               ;   in Loop: Header=BB4_80 Depth=2
	ds_read_b32 v10, v6
	v_ashrrev_i32_e32 v5, 31, v4
	v_lshlrev_b64 v[8:9], 2, v[4:5]
	v_mov_b32_e32 v5, s33
	v_add_co_u32_e64 v8, s[0:1], s31, v8
	v_addc_co_u32_e64 v9, s[0:1], v5, v9, s[0:1]
	s_waitcnt lgkmcnt(0)
	global_store_dword v[8:9], v10, off
	s_branch .LBB4_79
.LBB4_82:
	s_endpgm
	.section	.rodata,"a",@progbits
	.p2align	6, 0x0
	.amdhsa_kernel _ZN9rocsolver6v33100L24sytd2_lower_kernel_smallILi256EfifPfEEvT1_T3_lS3_lPT2_lS6_lPT0_l
		.amdhsa_group_segment_fixed_size 0
		.amdhsa_private_segment_fixed_size 0
		.amdhsa_kernarg_size 88
		.amdhsa_user_sgpr_count 6
		.amdhsa_user_sgpr_private_segment_buffer 1
		.amdhsa_user_sgpr_dispatch_ptr 0
		.amdhsa_user_sgpr_queue_ptr 0
		.amdhsa_user_sgpr_kernarg_segment_ptr 1
		.amdhsa_user_sgpr_dispatch_id 0
		.amdhsa_user_sgpr_flat_scratch_init 0
		.amdhsa_user_sgpr_kernarg_preload_length 0
		.amdhsa_user_sgpr_kernarg_preload_offset 0
		.amdhsa_user_sgpr_private_segment_size 0
		.amdhsa_uses_dynamic_stack 0
		.amdhsa_system_sgpr_private_segment_wavefront_offset 0
		.amdhsa_system_sgpr_workgroup_id_x 1
		.amdhsa_system_sgpr_workgroup_id_y 0
		.amdhsa_system_sgpr_workgroup_id_z 1
		.amdhsa_system_sgpr_workgroup_info 0
		.amdhsa_system_vgpr_workitem_id 0
		.amdhsa_next_free_vgpr 28
		.amdhsa_next_free_sgpr 46
		.amdhsa_accum_offset 28
		.amdhsa_reserve_vcc 1
		.amdhsa_reserve_flat_scratch 0
		.amdhsa_float_round_mode_32 0
		.amdhsa_float_round_mode_16_64 0
		.amdhsa_float_denorm_mode_32 3
		.amdhsa_float_denorm_mode_16_64 3
		.amdhsa_dx10_clamp 1
		.amdhsa_ieee_mode 1
		.amdhsa_fp16_overflow 0
		.amdhsa_tg_split 0
		.amdhsa_exception_fp_ieee_invalid_op 0
		.amdhsa_exception_fp_denorm_src 0
		.amdhsa_exception_fp_ieee_div_zero 0
		.amdhsa_exception_fp_ieee_overflow 0
		.amdhsa_exception_fp_ieee_underflow 0
		.amdhsa_exception_fp_ieee_inexact 0
		.amdhsa_exception_int_div_zero 0
	.end_amdhsa_kernel
	.section	.text._ZN9rocsolver6v33100L24sytd2_lower_kernel_smallILi256EfifPfEEvT1_T3_lS3_lPT2_lS6_lPT0_l,"axG",@progbits,_ZN9rocsolver6v33100L24sytd2_lower_kernel_smallILi256EfifPfEEvT1_T3_lS3_lPT2_lS6_lPT0_l,comdat
.Lfunc_end4:
	.size	_ZN9rocsolver6v33100L24sytd2_lower_kernel_smallILi256EfifPfEEvT1_T3_lS3_lPT2_lS6_lPT0_l, .Lfunc_end4-_ZN9rocsolver6v33100L24sytd2_lower_kernel_smallILi256EfifPfEEvT1_T3_lS3_lPT2_lS6_lPT0_l
                                        ; -- End function
	.section	.AMDGPU.csdata,"",@progbits
; Kernel info:
; codeLenInByte = 3712
; NumSgprs: 50
; NumVgprs: 28
; NumAgprs: 0
; TotalNumVgprs: 28
; ScratchSize: 0
; MemoryBound: 0
; FloatMode: 240
; IeeeMode: 1
; LDSByteSize: 0 bytes/workgroup (compile time only)
; SGPRBlocks: 6
; VGPRBlocks: 3
; NumSGPRsForWavesPerEU: 50
; NumVGPRsForWavesPerEU: 28
; AccumOffset: 28
; Occupancy: 8
; WaveLimiterHint : 0
; COMPUTE_PGM_RSRC2:SCRATCH_EN: 0
; COMPUTE_PGM_RSRC2:USER_SGPR: 6
; COMPUTE_PGM_RSRC2:TRAP_HANDLER: 0
; COMPUTE_PGM_RSRC2:TGID_X_EN: 1
; COMPUTE_PGM_RSRC2:TGID_Y_EN: 0
; COMPUTE_PGM_RSRC2:TGID_Z_EN: 1
; COMPUTE_PGM_RSRC2:TIDIG_COMP_CNT: 0
; COMPUTE_PGM_RSRC3_GFX90A:ACCUM_OFFSET: 6
; COMPUTE_PGM_RSRC3_GFX90A:TG_SPLIT: 0
	.section	.text._ZN9rocsolver6v33100L16reset_batch_infoIfiiPfEEvT2_lT0_T1_,"axG",@progbits,_ZN9rocsolver6v33100L16reset_batch_infoIfiiPfEEvT2_lT0_T1_,comdat
	.globl	_ZN9rocsolver6v33100L16reset_batch_infoIfiiPfEEvT2_lT0_T1_ ; -- Begin function _ZN9rocsolver6v33100L16reset_batch_infoIfiiPfEEvT2_lT0_T1_
	.p2align	8
	.type	_ZN9rocsolver6v33100L16reset_batch_infoIfiiPfEEvT2_lT0_T1_,@function
_ZN9rocsolver6v33100L16reset_batch_infoIfiiPfEEvT2_lT0_T1_: ; @_ZN9rocsolver6v33100L16reset_batch_infoIfiiPfEEvT2_lT0_T1_
; %bb.0:
	s_load_dword s2, s[4:5], 0x24
	s_load_dwordx2 s[0:1], s[4:5], 0x10
	s_waitcnt lgkmcnt(0)
	s_and_b32 s2, s2, 0xffff
	s_mul_i32 s6, s6, s2
	v_add_u32_e32 v0, s6, v0
	v_cmp_gt_i32_e32 vcc, s0, v0
	s_and_saveexec_b64 s[2:3], vcc
	s_cbranch_execz .LBB5_2
; %bb.1:
	s_load_dwordx4 s[8:11], s[4:5], 0x0
	s_ashr_i32 s0, s7, 31
	v_ashrrev_i32_e32 v1, 31, v0
	v_cvt_f32_i32_e32 v3, s1
	v_lshlrev_b64 v[0:1], 2, v[0:1]
	s_waitcnt lgkmcnt(0)
	s_mul_i32 s3, s7, s11
	s_mul_hi_u32 s4, s7, s10
	s_mul_i32 s0, s0, s10
	s_add_i32 s3, s4, s3
	s_mul_i32 s2, s7, s10
	s_add_i32 s3, s3, s0
	s_lshl_b64 s[2:3], s[2:3], 2
	s_add_u32 s0, s8, s2
	s_addc_u32 s2, s9, s3
	v_mov_b32_e32 v2, s2
	v_add_co_u32_e32 v0, vcc, s0, v0
	v_addc_co_u32_e32 v1, vcc, v2, v1, vcc
	global_store_dword v[0:1], v3, off
.LBB5_2:
	s_endpgm
	.section	.rodata,"a",@progbits
	.p2align	6, 0x0
	.amdhsa_kernel _ZN9rocsolver6v33100L16reset_batch_infoIfiiPfEEvT2_lT0_T1_
		.amdhsa_group_segment_fixed_size 0
		.amdhsa_private_segment_fixed_size 0
		.amdhsa_kernarg_size 280
		.amdhsa_user_sgpr_count 6
		.amdhsa_user_sgpr_private_segment_buffer 1
		.amdhsa_user_sgpr_dispatch_ptr 0
		.amdhsa_user_sgpr_queue_ptr 0
		.amdhsa_user_sgpr_kernarg_segment_ptr 1
		.amdhsa_user_sgpr_dispatch_id 0
		.amdhsa_user_sgpr_flat_scratch_init 0
		.amdhsa_user_sgpr_kernarg_preload_length 0
		.amdhsa_user_sgpr_kernarg_preload_offset 0
		.amdhsa_user_sgpr_private_segment_size 0
		.amdhsa_uses_dynamic_stack 0
		.amdhsa_system_sgpr_private_segment_wavefront_offset 0
		.amdhsa_system_sgpr_workgroup_id_x 1
		.amdhsa_system_sgpr_workgroup_id_y 1
		.amdhsa_system_sgpr_workgroup_id_z 0
		.amdhsa_system_sgpr_workgroup_info 0
		.amdhsa_system_vgpr_workitem_id 0
		.amdhsa_next_free_vgpr 4
		.amdhsa_next_free_sgpr 12
		.amdhsa_accum_offset 4
		.amdhsa_reserve_vcc 1
		.amdhsa_reserve_flat_scratch 0
		.amdhsa_float_round_mode_32 0
		.amdhsa_float_round_mode_16_64 0
		.amdhsa_float_denorm_mode_32 3
		.amdhsa_float_denorm_mode_16_64 3
		.amdhsa_dx10_clamp 1
		.amdhsa_ieee_mode 1
		.amdhsa_fp16_overflow 0
		.amdhsa_tg_split 0
		.amdhsa_exception_fp_ieee_invalid_op 0
		.amdhsa_exception_fp_denorm_src 0
		.amdhsa_exception_fp_ieee_div_zero 0
		.amdhsa_exception_fp_ieee_overflow 0
		.amdhsa_exception_fp_ieee_underflow 0
		.amdhsa_exception_fp_ieee_inexact 0
		.amdhsa_exception_int_div_zero 0
	.end_amdhsa_kernel
	.section	.text._ZN9rocsolver6v33100L16reset_batch_infoIfiiPfEEvT2_lT0_T1_,"axG",@progbits,_ZN9rocsolver6v33100L16reset_batch_infoIfiiPfEEvT2_lT0_T1_,comdat
.Lfunc_end5:
	.size	_ZN9rocsolver6v33100L16reset_batch_infoIfiiPfEEvT2_lT0_T1_, .Lfunc_end5-_ZN9rocsolver6v33100L16reset_batch_infoIfiiPfEEvT2_lT0_T1_
                                        ; -- End function
	.section	.AMDGPU.csdata,"",@progbits
; Kernel info:
; codeLenInByte = 140
; NumSgprs: 16
; NumVgprs: 4
; NumAgprs: 0
; TotalNumVgprs: 4
; ScratchSize: 0
; MemoryBound: 0
; FloatMode: 240
; IeeeMode: 1
; LDSByteSize: 0 bytes/workgroup (compile time only)
; SGPRBlocks: 1
; VGPRBlocks: 0
; NumSGPRsForWavesPerEU: 16
; NumVGPRsForWavesPerEU: 4
; AccumOffset: 4
; Occupancy: 8
; WaveLimiterHint : 0
; COMPUTE_PGM_RSRC2:SCRATCH_EN: 0
; COMPUTE_PGM_RSRC2:USER_SGPR: 6
; COMPUTE_PGM_RSRC2:TRAP_HANDLER: 0
; COMPUTE_PGM_RSRC2:TGID_X_EN: 1
; COMPUTE_PGM_RSRC2:TGID_Y_EN: 1
; COMPUTE_PGM_RSRC2:TGID_Z_EN: 0
; COMPUTE_PGM_RSRC2:TIDIG_COMP_CNT: 0
; COMPUTE_PGM_RSRC3_GFX90A:ACCUM_OFFSET: 0
; COMPUTE_PGM_RSRC3_GFX90A:TG_SPLIT: 0
	.section	.text._ZN9rocsolver6v33100L8set_diagIfifPfTnNSt9enable_ifIXoont18rocblas_is_complexIT_E18rocblas_is_complexIT1_EEiE4typeELi0EEEvPS5_llT2_lT0_lSA_b,"axG",@progbits,_ZN9rocsolver6v33100L8set_diagIfifPfTnNSt9enable_ifIXoont18rocblas_is_complexIT_E18rocblas_is_complexIT1_EEiE4typeELi0EEEvPS5_llT2_lT0_lSA_b,comdat
	.globl	_ZN9rocsolver6v33100L8set_diagIfifPfTnNSt9enable_ifIXoont18rocblas_is_complexIT_E18rocblas_is_complexIT1_EEiE4typeELi0EEEvPS5_llT2_lT0_lSA_b ; -- Begin function _ZN9rocsolver6v33100L8set_diagIfifPfTnNSt9enable_ifIXoont18rocblas_is_complexIT_E18rocblas_is_complexIT1_EEiE4typeELi0EEEvPS5_llT2_lT0_lSA_b
	.p2align	8
	.type	_ZN9rocsolver6v33100L8set_diagIfifPfTnNSt9enable_ifIXoont18rocblas_is_complexIT_E18rocblas_is_complexIT1_EEiE4typeELi0EEEvPS5_llT2_lT0_lSA_b,@function
_ZN9rocsolver6v33100L8set_diagIfifPfTnNSt9enable_ifIXoont18rocblas_is_complexIT_E18rocblas_is_complexIT1_EEiE4typeELi0EEEvPS5_llT2_lT0_lSA_b: ; @_ZN9rocsolver6v33100L8set_diagIfifPfTnNSt9enable_ifIXoont18rocblas_is_complexIT_E18rocblas_is_complexIT1_EEiE4typeELi0EEEvPS5_llT2_lT0_lSA_b
; %bb.0:
	s_load_dword s2, s[4:5], 0x4c
	s_load_dwordx2 s[0:1], s[4:5], 0x38
	v_bfe_u32 v0, v0, 10, 10
	s_waitcnt lgkmcnt(0)
	s_lshr_b32 s2, s2, 16
	s_mul_i32 s7, s7, s2
	v_add_u32_e32 v0, s7, v0
	v_cmp_gt_i32_e32 vcc, s0, v0
	s_and_saveexec_b64 s[2:3], vcc
	s_cbranch_execz .LBB6_2
; %bb.1:
	s_load_dwordx2 s[2:3], s[4:5], 0x20
	s_load_dword s7, s[4:5], 0x28
	s_load_dwordx2 s[16:17], s[4:5], 0x30
	s_load_dwordx8 s[8:15], s[4:5], 0x0
	s_bitcmp1_b32 s1, 0
	s_cselect_b64 s[0:1], -1, 0
	s_ashr_i32 s18, s6, 31
	s_waitcnt lgkmcnt(0)
	s_mul_i32 s4, s6, s17
	s_mul_hi_u32 s5, s6, s16
	s_add_i32 s4, s5, s4
	s_mul_i32 s5, s18, s16
	s_add_i32 s5, s4, s5
	s_mul_i32 s4, s6, s16
	s_lshl_b64 s[4:5], s[4:5], 2
	s_add_u32 s4, s14, s4
	s_addc_u32 s5, s15, s5
	s_lshl_b64 s[2:3], s[2:3], 2
	s_add_u32 s4, s4, s2
	s_addc_u32 s5, s5, s3
	v_mad_u64_u32 v[2:3], s[2:3], v0, s7, v[0:1]
	v_ashrrev_i32_e32 v3, 31, v2
	v_lshlrev_b64 v[2:3], 2, v[2:3]
	v_mov_b32_e32 v1, s5
	v_add_co_u32_e32 v2, vcc, s4, v2
	v_addc_co_u32_e32 v3, vcc, v1, v3, vcc
	global_load_dword v4, v[2:3], off
	s_mul_i32 s3, s6, s13
	s_mul_hi_u32 s4, s6, s12
	s_mul_i32 s18, s18, s12
	s_add_i32 s3, s4, s3
	s_mul_i32 s2, s6, s12
	s_add_i32 s3, s3, s18
	s_lshl_b64 s[2:3], s[2:3], 2
	s_add_u32 s4, s8, s2
	s_addc_u32 s5, s9, s3
	s_lshl_b64 s[2:3], s[10:11], 2
	v_ashrrev_i32_e32 v1, 31, v0
	s_add_u32 s2, s4, s2
	v_lshlrev_b64 v[0:1], 2, v[0:1]
	s_addc_u32 s3, s5, s3
	v_mov_b32_e32 v5, s3
	v_add_co_u32_e32 v0, vcc, s2, v0
	v_addc_co_u32_e32 v1, vcc, v5, v1, vcc
	s_waitcnt vmcnt(0)
	global_store_dword v[0:1], v4, off
	v_cndmask_b32_e64 v0, v4, 1.0, s[0:1]
	global_store_dword v[2:3], v0, off
.LBB6_2:
	s_endpgm
	.section	.rodata,"a",@progbits
	.p2align	6, 0x0
	.amdhsa_kernel _ZN9rocsolver6v33100L8set_diagIfifPfTnNSt9enable_ifIXoont18rocblas_is_complexIT_E18rocblas_is_complexIT1_EEiE4typeELi0EEEvPS5_llT2_lT0_lSA_b
		.amdhsa_group_segment_fixed_size 0
		.amdhsa_private_segment_fixed_size 0
		.amdhsa_kernarg_size 320
		.amdhsa_user_sgpr_count 6
		.amdhsa_user_sgpr_private_segment_buffer 1
		.amdhsa_user_sgpr_dispatch_ptr 0
		.amdhsa_user_sgpr_queue_ptr 0
		.amdhsa_user_sgpr_kernarg_segment_ptr 1
		.amdhsa_user_sgpr_dispatch_id 0
		.amdhsa_user_sgpr_flat_scratch_init 0
		.amdhsa_user_sgpr_kernarg_preload_length 0
		.amdhsa_user_sgpr_kernarg_preload_offset 0
		.amdhsa_user_sgpr_private_segment_size 0
		.amdhsa_uses_dynamic_stack 0
		.amdhsa_system_sgpr_private_segment_wavefront_offset 0
		.amdhsa_system_sgpr_workgroup_id_x 1
		.amdhsa_system_sgpr_workgroup_id_y 1
		.amdhsa_system_sgpr_workgroup_id_z 0
		.amdhsa_system_sgpr_workgroup_info 0
		.amdhsa_system_vgpr_workitem_id 1
		.amdhsa_next_free_vgpr 6
		.amdhsa_next_free_sgpr 19
		.amdhsa_accum_offset 8
		.amdhsa_reserve_vcc 1
		.amdhsa_reserve_flat_scratch 0
		.amdhsa_float_round_mode_32 0
		.amdhsa_float_round_mode_16_64 0
		.amdhsa_float_denorm_mode_32 3
		.amdhsa_float_denorm_mode_16_64 3
		.amdhsa_dx10_clamp 1
		.amdhsa_ieee_mode 1
		.amdhsa_fp16_overflow 0
		.amdhsa_tg_split 0
		.amdhsa_exception_fp_ieee_invalid_op 0
		.amdhsa_exception_fp_denorm_src 0
		.amdhsa_exception_fp_ieee_div_zero 0
		.amdhsa_exception_fp_ieee_overflow 0
		.amdhsa_exception_fp_ieee_underflow 0
		.amdhsa_exception_fp_ieee_inexact 0
		.amdhsa_exception_int_div_zero 0
	.end_amdhsa_kernel
	.section	.text._ZN9rocsolver6v33100L8set_diagIfifPfTnNSt9enable_ifIXoont18rocblas_is_complexIT_E18rocblas_is_complexIT1_EEiE4typeELi0EEEvPS5_llT2_lT0_lSA_b,"axG",@progbits,_ZN9rocsolver6v33100L8set_diagIfifPfTnNSt9enable_ifIXoont18rocblas_is_complexIT_E18rocblas_is_complexIT1_EEiE4typeELi0EEEvPS5_llT2_lT0_lSA_b,comdat
.Lfunc_end6:
	.size	_ZN9rocsolver6v33100L8set_diagIfifPfTnNSt9enable_ifIXoont18rocblas_is_complexIT_E18rocblas_is_complexIT1_EEiE4typeELi0EEEvPS5_llT2_lT0_lSA_b, .Lfunc_end6-_ZN9rocsolver6v33100L8set_diagIfifPfTnNSt9enable_ifIXoont18rocblas_is_complexIT_E18rocblas_is_complexIT1_EEiE4typeELi0EEEvPS5_llT2_lT0_lSA_b
                                        ; -- End function
	.section	.AMDGPU.csdata,"",@progbits
; Kernel info:
; codeLenInByte = 292
; NumSgprs: 23
; NumVgprs: 6
; NumAgprs: 0
; TotalNumVgprs: 6
; ScratchSize: 0
; MemoryBound: 0
; FloatMode: 240
; IeeeMode: 1
; LDSByteSize: 0 bytes/workgroup (compile time only)
; SGPRBlocks: 2
; VGPRBlocks: 0
; NumSGPRsForWavesPerEU: 23
; NumVGPRsForWavesPerEU: 6
; AccumOffset: 8
; Occupancy: 8
; WaveLimiterHint : 0
; COMPUTE_PGM_RSRC2:SCRATCH_EN: 0
; COMPUTE_PGM_RSRC2:USER_SGPR: 6
; COMPUTE_PGM_RSRC2:TRAP_HANDLER: 0
; COMPUTE_PGM_RSRC2:TGID_X_EN: 1
; COMPUTE_PGM_RSRC2:TGID_Y_EN: 1
; COMPUTE_PGM_RSRC2:TGID_Z_EN: 0
; COMPUTE_PGM_RSRC2:TIDIG_COMP_CNT: 1
; COMPUTE_PGM_RSRC3_GFX90A:ACCUM_OFFSET: 1
; COMPUTE_PGM_RSRC3_GFX90A:TG_SPLIT: 0
	.section	.text._ZN9rocsolver6v33100L11set_taubetaIfifPfEEvPT_lS4_T2_llPT1_ll,"axG",@progbits,_ZN9rocsolver6v33100L11set_taubetaIfifPfEEvPT_lS4_T2_llPT1_ll,comdat
	.globl	_ZN9rocsolver6v33100L11set_taubetaIfifPfEEvPT_lS4_T2_llPT1_ll ; -- Begin function _ZN9rocsolver6v33100L11set_taubetaIfifPfEEvPT_lS4_T2_llPT1_ll
	.p2align	8
	.type	_ZN9rocsolver6v33100L11set_taubetaIfifPfEEvPT_lS4_T2_llPT1_ll,@function
_ZN9rocsolver6v33100L11set_taubetaIfifPfEEvPT_lS4_T2_llPT1_ll: ; @_ZN9rocsolver6v33100L11set_taubetaIfifPfEEvPT_lS4_T2_llPT1_ll
; %bb.0:
	s_load_dwordx16 s[8:23], s[4:5], 0x0
	s_ashr_i32 s7, s6, 31
	s_mov_b64 s[0:1], 0
	s_mov_b64 s[2:3], 0
	s_waitcnt lgkmcnt(0)
	s_cmp_eq_u64 s[20:21], 0
	s_cbranch_scc1 .LBB7_2
; %bb.1:
	s_load_dwordx2 s[2:3], s[4:5], 0x40
	s_waitcnt lgkmcnt(0)
	s_mul_i32 s3, s6, s3
	s_mul_hi_u32 s4, s6, s2
	s_mul_i32 s5, s7, s2
	s_add_i32 s3, s4, s3
	s_mul_i32 s2, s6, s2
	s_add_i32 s3, s3, s5
	s_lshl_b64 s[2:3], s[2:3], 2
	s_add_u32 s4, s20, s2
	s_addc_u32 s5, s21, s3
	s_lshl_b64 s[2:3], s[22:23], 2
	s_add_u32 s2, s4, s2
	s_addc_u32 s3, s5, s3
.LBB7_2:
	s_mul_i32 s4, s6, s19
	s_mul_hi_u32 s5, s6, s18
	s_add_i32 s4, s5, s4
	s_mul_i32 s5, s7, s18
	s_add_i32 s5, s4, s5
	s_mul_i32 s4, s6, s18
	s_lshl_b64 s[4:5], s[4:5], 2
	s_add_u32 s14, s14, s4
	s_addc_u32 s15, s15, s5
	s_lshl_b64 s[4:5], s[16:17], 2
	s_add_u32 s4, s14, s4
	s_mul_i32 s11, s6, s11
	s_mul_hi_u32 s14, s6, s10
	s_addc_u32 s5, s15, s5
	s_add_i32 s11, s14, s11
	s_mul_i32 s14, s7, s10
	s_add_i32 s11, s11, s14
	s_mul_i32 s10, s6, s10
	s_lshl_b64 s[10:11], s[10:11], 2
	s_add_u32 s8, s8, s10
	s_addc_u32 s9, s9, s11
	s_lshl_b64 s[6:7], s[6:7], 2
	s_add_u32 s12, s12, s6
	s_addc_u32 s13, s13, s7
	s_load_dword s16, s[12:13], 0x0
	s_cmp_eq_u64 s[2:3], 0
	s_cselect_b64 s[6:7], -1, 0
	s_cmp_lg_u64 s[2:3], 0
	s_cselect_b64 s[10:11], -1, 0
	s_waitcnt lgkmcnt(0)
	v_cmp_ngt_f32_e64 s[14:15], s16, 0
	s_and_b64 vcc, exec, s[14:15]
	s_cbranch_vccz .LBB7_6
; %bb.3:
	v_mov_b32_e32 v1, 1.0
	v_mov_b32_e32 v0, 0
	s_mov_b64 s[14:15], 0
	s_and_b64 vcc, exec, s[10:11]
	global_store_dword v0, v1, s[12:13]
	global_store_dword v0, v0, s[8:9]
	s_cbranch_vccz .LBB7_7
; %bb.4:
	global_load_dword v0, v0, s[4:5]
	s_mov_b64 s[0:1], -1
	s_and_b64 vcc, exec, s[14:15]
	s_cbranch_vccnz .LBB7_8
.LBB7_5:
	s_mov_b64 s[6:7], 0
	s_andn2_b64 vcc, exec, s[0:1]
	s_cbranch_vccz .LBB7_9
	s_branch .LBB7_10
.LBB7_6:
	s_mov_b64 s[14:15], -1
.LBB7_7:
                                        ; implicit-def: $vgpr0
	s_and_b64 vcc, exec, s[14:15]
	s_cbranch_vccz .LBB7_5
.LBB7_8:
	s_load_dword s14, s[4:5], 0x0
	s_waitcnt vmcnt(0)
	v_mov_b32_e32 v0, s16
	s_mov_b32 s0, 0xf800000
	s_waitcnt lgkmcnt(0)
	v_fmac_f32_e64 v0, s14, s14
	v_mul_f32_e32 v1, 0x4f800000, v0
	v_cmp_gt_f32_e32 vcc, s0, v0
	v_cndmask_b32_e32 v0, v0, v1, vcc
	v_sqrt_f32_e32 v1, v0
	v_add_u32_e32 v2, -1, v1
	v_add_u32_e32 v3, 1, v1
	v_fma_f32 v4, -v2, v1, v0
	v_fma_f32 v5, -v3, v1, v0
	v_cmp_ge_f32_e64 s[0:1], 0, v4
	v_cndmask_b32_e64 v1, v1, v2, s[0:1]
	v_cmp_lt_f32_e64 s[0:1], 0, v5
	v_cndmask_b32_e64 v1, v1, v3, s[0:1]
	v_mul_f32_e32 v2, 0x37800000, v1
	v_cndmask_b32_e32 v1, v1, v2, vcc
	v_mov_b32_e32 v2, 0x260
	v_cmp_class_f32_e32 vcc, v0, v2
	v_cndmask_b32_e32 v0, v1, v0, vcc
	v_cmp_ge_f32_e64 s[0:1], s14, 0
	v_cndmask_b32_e64 v0, v0, -v0, s[0:1]
	v_sub_f32_e32 v1, s14, v0
	v_div_scale_f32 v2, s[0:1], v1, v1, 1.0
	v_rcp_f32_e32 v3, v2
	v_mov_b32_e32 v4, 0
	v_fma_f32 v5, -v2, v3, 1.0
	v_fmac_f32_e32 v3, v5, v3
	v_div_scale_f32 v5, vcc, 1.0, v1, 1.0
	v_mul_f32_e32 v6, v5, v3
	v_fma_f32 v7, -v2, v6, v5
	v_fmac_f32_e32 v6, v7, v3
	v_fma_f32 v2, -v2, v6, v5
	v_div_fmas_f32 v2, v2, v3, v6
	v_div_fixup_f32 v1, v2, v1, 1.0
	global_store_dword v4, v1, s[12:13]
	global_load_dword v1, v4, s[4:5]
	s_waitcnt vmcnt(0)
	v_sub_f32_e32 v1, v0, v1
	v_div_scale_f32 v2, s[0:1], v0, v0, v1
	v_rcp_f32_e32 v3, v2
	v_div_scale_f32 v5, vcc, v1, v0, v1
	s_mov_b64 s[0:1], s[10:11]
	v_fma_f32 v6, -v2, v3, 1.0
	v_fmac_f32_e32 v3, v6, v3
	v_mul_f32_e32 v6, v5, v3
	v_fma_f32 v7, -v2, v6, v5
	v_fmac_f32_e32 v6, v7, v3
	v_fma_f32 v2, -v2, v6, v5
	v_div_fmas_f32 v2, v2, v3, v6
	v_div_fixup_f32 v1, v2, v0, v1
	global_store_dword v4, v1, s[8:9]
	s_andn2_b64 vcc, exec, s[0:1]
	s_cbranch_vccnz .LBB7_10
.LBB7_9:
	v_pk_mov_b32 v[2:3], s[2:3], s[2:3] op_sel:[0,1]
	s_waitcnt vmcnt(0)
	flat_store_dword v[2:3], v0
	s_mov_b64 s[6:7], -1
	v_mov_b32_e32 v0, 1.0
.LBB7_10:
	s_andn2_b64 vcc, exec, s[6:7]
	s_cbranch_vccz .LBB7_12
; %bb.11:
	s_endpgm
.LBB7_12:
	v_mov_b32_e32 v1, 0
	s_waitcnt vmcnt(0) lgkmcnt(0)
	global_store_dword v1, v0, s[4:5]
	s_endpgm
	.section	.rodata,"a",@progbits
	.p2align	6, 0x0
	.amdhsa_kernel _ZN9rocsolver6v33100L11set_taubetaIfifPfEEvPT_lS4_T2_llPT1_ll
		.amdhsa_group_segment_fixed_size 0
		.amdhsa_private_segment_fixed_size 0
		.amdhsa_kernarg_size 72
		.amdhsa_user_sgpr_count 6
		.amdhsa_user_sgpr_private_segment_buffer 1
		.amdhsa_user_sgpr_dispatch_ptr 0
		.amdhsa_user_sgpr_queue_ptr 0
		.amdhsa_user_sgpr_kernarg_segment_ptr 1
		.amdhsa_user_sgpr_dispatch_id 0
		.amdhsa_user_sgpr_flat_scratch_init 0
		.amdhsa_user_sgpr_kernarg_preload_length 0
		.amdhsa_user_sgpr_kernarg_preload_offset 0
		.amdhsa_user_sgpr_private_segment_size 0
		.amdhsa_uses_dynamic_stack 0
		.amdhsa_system_sgpr_private_segment_wavefront_offset 0
		.amdhsa_system_sgpr_workgroup_id_x 1
		.amdhsa_system_sgpr_workgroup_id_y 0
		.amdhsa_system_sgpr_workgroup_id_z 0
		.amdhsa_system_sgpr_workgroup_info 0
		.amdhsa_system_vgpr_workitem_id 0
		.amdhsa_next_free_vgpr 8
		.amdhsa_next_free_sgpr 24
		.amdhsa_accum_offset 8
		.amdhsa_reserve_vcc 1
		.amdhsa_reserve_flat_scratch 0
		.amdhsa_float_round_mode_32 0
		.amdhsa_float_round_mode_16_64 0
		.amdhsa_float_denorm_mode_32 3
		.amdhsa_float_denorm_mode_16_64 3
		.amdhsa_dx10_clamp 1
		.amdhsa_ieee_mode 1
		.amdhsa_fp16_overflow 0
		.amdhsa_tg_split 0
		.amdhsa_exception_fp_ieee_invalid_op 0
		.amdhsa_exception_fp_denorm_src 0
		.amdhsa_exception_fp_ieee_div_zero 0
		.amdhsa_exception_fp_ieee_overflow 0
		.amdhsa_exception_fp_ieee_underflow 0
		.amdhsa_exception_fp_ieee_inexact 0
		.amdhsa_exception_int_div_zero 0
	.end_amdhsa_kernel
	.section	.text._ZN9rocsolver6v33100L11set_taubetaIfifPfEEvPT_lS4_T2_llPT1_ll,"axG",@progbits,_ZN9rocsolver6v33100L11set_taubetaIfifPfEEvPT_lS4_T2_llPT1_ll,comdat
.Lfunc_end7:
	.size	_ZN9rocsolver6v33100L11set_taubetaIfifPfEEvPT_lS4_T2_llPT1_ll, .Lfunc_end7-_ZN9rocsolver6v33100L11set_taubetaIfifPfEEvPT_lS4_T2_llPT1_ll
                                        ; -- End function
	.section	.AMDGPU.csdata,"",@progbits
; Kernel info:
; codeLenInByte = 728
; NumSgprs: 28
; NumVgprs: 8
; NumAgprs: 0
; TotalNumVgprs: 8
; ScratchSize: 0
; MemoryBound: 0
; FloatMode: 240
; IeeeMode: 1
; LDSByteSize: 0 bytes/workgroup (compile time only)
; SGPRBlocks: 3
; VGPRBlocks: 0
; NumSGPRsForWavesPerEU: 28
; NumVGPRsForWavesPerEU: 8
; AccumOffset: 8
; Occupancy: 8
; WaveLimiterHint : 0
; COMPUTE_PGM_RSRC2:SCRATCH_EN: 0
; COMPUTE_PGM_RSRC2:USER_SGPR: 6
; COMPUTE_PGM_RSRC2:TRAP_HANDLER: 0
; COMPUTE_PGM_RSRC2:TGID_X_EN: 1
; COMPUTE_PGM_RSRC2:TGID_Y_EN: 0
; COMPUTE_PGM_RSRC2:TGID_Z_EN: 0
; COMPUTE_PGM_RSRC2:TIDIG_COMP_CNT: 0
; COMPUTE_PGM_RSRC3_GFX90A:ACCUM_OFFSET: 1
; COMPUTE_PGM_RSRC3_GFX90A:TG_SPLIT: 0
	.section	.text._ZN9rocsolver6v33100L20latrd_dot_scale_axpyILi64EfiPfEEvT1_T2_llPT0_llS6_l,"axG",@progbits,_ZN9rocsolver6v33100L20latrd_dot_scale_axpyILi64EfiPfEEvT1_T2_llPT0_llS6_l,comdat
	.globl	_ZN9rocsolver6v33100L20latrd_dot_scale_axpyILi64EfiPfEEvT1_T2_llPT0_llS6_l ; -- Begin function _ZN9rocsolver6v33100L20latrd_dot_scale_axpyILi64EfiPfEEvT1_T2_llPT0_llS6_l
	.p2align	8
	.type	_ZN9rocsolver6v33100L20latrd_dot_scale_axpyILi64EfiPfEEvT1_T2_llPT0_llS6_l,@function
_ZN9rocsolver6v33100L20latrd_dot_scale_axpyILi64EfiPfEEvT1_T2_llPT0_llS6_l: ; @_ZN9rocsolver6v33100L20latrd_dot_scale_axpyILi64EfiPfEEvT1_T2_llPT0_llS6_l
; %bb.0:
	s_load_dword s6, s[4:5], 0x0
	s_load_dwordx16 s[8:23], s[4:5], 0x8
	s_ashr_i32 s33, s7, 31
	v_mov_b32_e32 v6, 0
	v_lshlrev_b32_e32 v1, 2, v0
	s_waitcnt lgkmcnt(0)
	v_cmp_gt_i32_e64 s[0:1], s6, v0
	s_mul_i32 s29, s12, s33
	s_mul_hi_u32 s30, s12, s7
	s_mul_i32 s31, s13, s7
	s_mul_i32 s4, s12, s7
	;; [unrolled: 1-line block ×3, first 2 shown]
	s_mul_hi_u32 s27, s18, s7
	s_mul_i32 s28, s19, s7
	s_mul_i32 s2, s18, s7
	s_and_saveexec_b64 s[12:13], s[0:1]
	s_cbranch_execz .LBB8_6
; %bb.1:
	s_add_i32 s3, s30, s29
	s_add_i32 s5, s3, s31
	s_lshl_b64 s[18:19], s[4:5], 2
	s_lshl_b64 s[24:25], s[10:11], 2
	s_add_u32 s3, s18, s24
	s_addc_u32 s5, s19, s25
	v_lshlrev_b32_e32 v7, 2, v0
	s_add_u32 s3, s8, s3
	s_addc_u32 s5, s9, s5
	v_add_co_u32_e32 v2, vcc, s3, v7
	s_add_i32 s3, s27, s26
	s_add_i32 s3, s3, s28
	s_lshl_b64 s[18:19], s[2:3], 2
	s_lshl_b64 s[24:25], s[16:17], 2
	s_add_u32 s3, s18, s24
	v_mov_b32_e32 v3, s5
	s_addc_u32 s5, s19, s25
	s_add_u32 s3, s14, s3
	v_addc_co_u32_e32 v3, vcc, 0, v3, vcc
	s_addc_u32 s5, s15, s5
	v_mov_b32_e32 v5, s5
	v_add_co_u32_e32 v4, vcc, s3, v7
	v_mov_b32_e32 v6, 0
	v_addc_co_u32_e32 v5, vcc, 0, v5, vcc
	s_mov_b64 s[18:19], 0
	v_mov_b32_e32 v8, v0
	s_branch .LBB8_3
.LBB8_2:                                ;   in Loop: Header=BB8_3 Depth=1
	s_or_b64 exec, exec, s[24:25]
	v_add_co_u32_e32 v2, vcc, 0x100, v2
	v_addc_co_u32_e32 v3, vcc, 0, v3, vcc
	v_add_co_u32_e32 v4, vcc, 0x100, v4
	v_add_u32_e32 v8, 64, v8
	v_addc_co_u32_e32 v5, vcc, 0, v5, vcc
	s_waitcnt vmcnt(0)
	v_mul_f32_e32 v9, v9, v10
	v_cmp_le_i32_e32 vcc, s6, v8
	v_add_f32_e32 v6, v6, v9
	s_or_b64 s[18:19], vcc, s[18:19]
	v_add_u32_e32 v7, 0x100, v7
	s_andn2_b64 exec, exec, s[18:19]
	s_cbranch_execz .LBB8_5
.LBB8_3:                                ; =>This Inner Loop Header: Depth=1
	global_load_dword v9, v[2:3], off
	global_load_dword v10, v[4:5], off
	v_cmp_gt_u32_e32 vcc, 64, v8
	s_and_saveexec_b64 s[24:25], vcc
	s_cbranch_execz .LBB8_2
; %bb.4:                                ;   in Loop: Header=BB8_3 Depth=1
	s_waitcnt vmcnt(0)
	ds_write2st64_b32 v7, v9, v10 offset1:1
	s_branch .LBB8_2
.LBB8_5:
	s_or_b64 exec, exec, s[18:19]
.LBB8_6:
	s_or_b64 exec, exec, s[12:13]
	v_mbcnt_lo_u32_b32 v2, -1, 0
	v_mbcnt_hi_u32_b32 v2, -1, v2
	v_and_b32_e32 v3, 63, v2
	v_cmp_ne_u32_e32 vcc, 63, v3
	v_addc_co_u32_e32 v4, vcc, 0, v2, vcc
	v_lshlrev_b32_e32 v4, 2, v4
	ds_bpermute_b32 v4, v4, v6
	v_cmp_gt_u32_e32 vcc, 62, v3
	v_cndmask_b32_e64 v5, 0, 1, vcc
	v_lshlrev_b32_e32 v5, 1, v5
	v_add_lshl_u32 v5, v5, v2, 2
	s_waitcnt lgkmcnt(0)
	v_add_f32_e32 v4, v6, v4
	ds_bpermute_b32 v5, v5, v4
	v_cmp_gt_u32_e32 vcc, 60, v3
	v_cndmask_b32_e64 v6, 0, 1, vcc
	v_cmp_gt_u32_e32 vcc, 56, v3
	s_waitcnt lgkmcnt(0)
	v_add_f32_e32 v4, v4, v5
	v_lshlrev_b32_e32 v5, 2, v6
	v_add_lshl_u32 v5, v5, v2, 2
	ds_bpermute_b32 v5, v5, v4
	v_cndmask_b32_e64 v6, 0, 1, vcc
	v_cmp_gt_u32_e32 vcc, 48, v3
	s_waitcnt lgkmcnt(0)
	v_add_f32_e32 v4, v4, v5
	v_lshlrev_b32_e32 v5, 3, v6
	v_add_lshl_u32 v5, v5, v2, 2
	ds_bpermute_b32 v5, v5, v4
	v_cndmask_b32_e64 v6, 0, 1, vcc
	v_cmp_gt_u32_e32 vcc, 32, v3
	v_cndmask_b32_e64 v3, 0, 1, vcc
	v_lshlrev_b32_e32 v3, 5, v3
	s_waitcnt lgkmcnt(0)
	v_add_f32_e32 v4, v4, v5
	v_lshlrev_b32_e32 v5, 4, v6
	v_add_lshl_u32 v5, v5, v2, 2
	ds_bpermute_b32 v5, v5, v4
	v_add_lshl_u32 v2, v3, v2, 2
	v_cmp_eq_u32_e32 vcc, 0, v0
	s_waitcnt lgkmcnt(0)
	v_add_f32_e32 v4, v4, v5
	ds_bpermute_b32 v2, v2, v4
	s_waitcnt lgkmcnt(0)
	v_add_f32_e32 v2, v4, v2
	s_and_saveexec_b64 s[12:13], vcc
	s_cbranch_execz .LBB8_8
; %bb.7:
	v_mov_b32_e32 v3, 0
	ds_write_b32 v3, v2 offset:512
.LBB8_8:
	s_or_b64 exec, exec, s[12:13]
	v_cmp_eq_u32_e32 vcc, 0, v0
	s_waitcnt lgkmcnt(0)
	; wave barrier
	s_waitcnt lgkmcnt(0)
	s_and_saveexec_b64 s[12:13], vcc
	s_cbranch_execz .LBB8_10
; %bb.9:
	s_mul_i32 s3, s7, s23
	s_mul_hi_u32 s5, s7, s22
	s_add_i32 s3, s5, s3
	s_mul_i32 s5, s33, s22
	s_add_i32 s19, s3, s5
	s_mul_i32 s18, s7, s22
	s_lshl_b64 s[18:19], s[18:19], 2
	s_add_u32 s18, s20, s18
	s_addc_u32 s19, s21, s19
	s_load_dword s3, s[18:19], 0x0
	v_cvt_f64_f32_e32 v[2:3], v2
	s_waitcnt lgkmcnt(0)
	v_cvt_f64_f32_e32 v[4:5], s3
	v_mul_f64 v[4:5], v[4:5], -0.5
	v_mul_f64 v[2:3], v[4:5], v[2:3]
	v_cvt_f32_f64_e32 v2, v[2:3]
	v_mov_b32_e32 v3, 0
	ds_write_b32 v3, v2 offset:512
.LBB8_10:
	s_or_b64 exec, exec, s[12:13]
	s_waitcnt lgkmcnt(0)
	; wave barrier
	s_waitcnt lgkmcnt(0)
	s_and_saveexec_b64 s[12:13], s[0:1]
	s_cbranch_execz .LBB8_17
; %bb.11:
	s_add_i32 s0, s30, s29
	s_add_i32 s5, s0, s31
	s_lshl_b64 s[0:1], s[4:5], 2
	s_lshl_b64 s[4:5], s[10:11], 2
	s_add_u32 s0, s0, s4
	s_addc_u32 s1, s1, s5
	v_mov_b32_e32 v2, 0
	s_add_u32 s0, s8, s0
	ds_read_b32 v6, v2 offset:512
	s_addc_u32 s1, s9, s1
	v_add_co_u32_e32 v2, vcc, s0, v1
	s_add_i32 s0, s27, s26
	s_add_i32 s3, s0, s28
	v_mov_b32_e32 v3, s1
	s_lshl_b64 s[0:1], s[2:3], 2
	s_lshl_b64 s[2:3], s[16:17], 2
	s_add_u32 s0, s0, s2
	s_addc_u32 s1, s1, s3
	s_add_u32 s0, s14, s0
	v_addc_co_u32_e32 v3, vcc, 0, v3, vcc
	s_addc_u32 s1, s15, s1
	v_mov_b32_e32 v5, s1
	v_add_co_u32_e32 v4, vcc, s0, v1
	v_addc_co_u32_e32 v5, vcc, 0, v5, vcc
	s_mov_b64 s[0:1], 0
	s_branch .LBB8_13
.LBB8_12:                               ;   in Loop: Header=BB8_13 Depth=1
	s_or_b64 exec, exec, s[2:3]
	v_add_co_u32_e32 v2, vcc, 0x100, v2
	v_addc_co_u32_e32 v3, vcc, 0, v3, vcc
	v_add_co_u32_e32 v4, vcc, 0x100, v4
	v_add_u32_e32 v0, 64, v0
	v_addc_co_u32_e32 v5, vcc, 0, v5, vcc
	v_cmp_le_i32_e32 vcc, s6, v0
	s_or_b64 s[0:1], vcc, s[0:1]
	v_add_u32_e32 v1, 0x100, v1
	s_andn2_b64 exec, exec, s[0:1]
	s_cbranch_execz .LBB8_17
.LBB8_13:                               ; =>This Inner Loop Header: Depth=1
	v_cmp_lt_u32_e32 vcc, 63, v0
	s_and_saveexec_b64 s[2:3], vcc
	s_xor_b64 s[2:3], exec, s[2:3]
	s_cbranch_execz .LBB8_15
; %bb.14:                               ;   in Loop: Header=BB8_13 Depth=1
	global_load_dword v7, v[4:5], off
	global_load_dword v8, v[2:3], off
	s_waitcnt vmcnt(0) lgkmcnt(0)
	v_fmac_f32_e32 v7, v6, v8
	global_store_dword v[4:5], v7, off
.LBB8_15:                               ;   in Loop: Header=BB8_13 Depth=1
	s_andn2_saveexec_b64 s[2:3], s[2:3]
	s_cbranch_execz .LBB8_12
; %bb.16:                               ;   in Loop: Header=BB8_13 Depth=1
	ds_read2st64_b32 v[8:9], v1 offset1:1
	s_waitcnt lgkmcnt(0)
	v_fmac_f32_e32 v9, v6, v8
	global_store_dword v[4:5], v9, off
	s_branch .LBB8_12
.LBB8_17:
	s_endpgm
	.section	.rodata,"a",@progbits
	.p2align	6, 0x0
	.amdhsa_kernel _ZN9rocsolver6v33100L20latrd_dot_scale_axpyILi64EfiPfEEvT1_T2_llPT0_llS6_l
		.amdhsa_group_segment_fixed_size 516
		.amdhsa_private_segment_fixed_size 0
		.amdhsa_kernarg_size 72
		.amdhsa_user_sgpr_count 6
		.amdhsa_user_sgpr_private_segment_buffer 1
		.amdhsa_user_sgpr_dispatch_ptr 0
		.amdhsa_user_sgpr_queue_ptr 0
		.amdhsa_user_sgpr_kernarg_segment_ptr 1
		.amdhsa_user_sgpr_dispatch_id 0
		.amdhsa_user_sgpr_flat_scratch_init 0
		.amdhsa_user_sgpr_kernarg_preload_length 0
		.amdhsa_user_sgpr_kernarg_preload_offset 0
		.amdhsa_user_sgpr_private_segment_size 0
		.amdhsa_uses_dynamic_stack 0
		.amdhsa_system_sgpr_private_segment_wavefront_offset 0
		.amdhsa_system_sgpr_workgroup_id_x 1
		.amdhsa_system_sgpr_workgroup_id_y 0
		.amdhsa_system_sgpr_workgroup_id_z 1
		.amdhsa_system_sgpr_workgroup_info 0
		.amdhsa_system_vgpr_workitem_id 0
		.amdhsa_next_free_vgpr 11
		.amdhsa_next_free_sgpr 34
		.amdhsa_accum_offset 12
		.amdhsa_reserve_vcc 1
		.amdhsa_reserve_flat_scratch 0
		.amdhsa_float_round_mode_32 0
		.amdhsa_float_round_mode_16_64 0
		.amdhsa_float_denorm_mode_32 3
		.amdhsa_float_denorm_mode_16_64 3
		.amdhsa_dx10_clamp 1
		.amdhsa_ieee_mode 1
		.amdhsa_fp16_overflow 0
		.amdhsa_tg_split 0
		.amdhsa_exception_fp_ieee_invalid_op 0
		.amdhsa_exception_fp_denorm_src 0
		.amdhsa_exception_fp_ieee_div_zero 0
		.amdhsa_exception_fp_ieee_overflow 0
		.amdhsa_exception_fp_ieee_underflow 0
		.amdhsa_exception_fp_ieee_inexact 0
		.amdhsa_exception_int_div_zero 0
	.end_amdhsa_kernel
	.section	.text._ZN9rocsolver6v33100L20latrd_dot_scale_axpyILi64EfiPfEEvT1_T2_llPT0_llS6_l,"axG",@progbits,_ZN9rocsolver6v33100L20latrd_dot_scale_axpyILi64EfiPfEEvT1_T2_llPT0_llS6_l,comdat
.Lfunc_end8:
	.size	_ZN9rocsolver6v33100L20latrd_dot_scale_axpyILi64EfiPfEEvT1_T2_llPT0_llS6_l, .Lfunc_end8-_ZN9rocsolver6v33100L20latrd_dot_scale_axpyILi64EfiPfEEvT1_T2_llPT0_llS6_l
                                        ; -- End function
	.section	.AMDGPU.csdata,"",@progbits
; Kernel info:
; codeLenInByte = 964
; NumSgprs: 38
; NumVgprs: 11
; NumAgprs: 0
; TotalNumVgprs: 11
; ScratchSize: 0
; MemoryBound: 0
; FloatMode: 240
; IeeeMode: 1
; LDSByteSize: 516 bytes/workgroup (compile time only)
; SGPRBlocks: 4
; VGPRBlocks: 1
; NumSGPRsForWavesPerEU: 38
; NumVGPRsForWavesPerEU: 11
; AccumOffset: 12
; Occupancy: 8
; WaveLimiterHint : 0
; COMPUTE_PGM_RSRC2:SCRATCH_EN: 0
; COMPUTE_PGM_RSRC2:USER_SGPR: 6
; COMPUTE_PGM_RSRC2:TRAP_HANDLER: 0
; COMPUTE_PGM_RSRC2:TGID_X_EN: 1
; COMPUTE_PGM_RSRC2:TGID_Y_EN: 0
; COMPUTE_PGM_RSRC2:TGID_Z_EN: 1
; COMPUTE_PGM_RSRC2:TIDIG_COMP_CNT: 0
; COMPUTE_PGM_RSRC3_GFX90A:ACCUM_OFFSET: 2
; COMPUTE_PGM_RSRC3_GFX90A:TG_SPLIT: 0
	.section	.text._ZN9rocsolver6v33100L7set_tauIfEEviPT_S3_l,"axG",@progbits,_ZN9rocsolver6v33100L7set_tauIfEEviPT_S3_l,comdat
	.globl	_ZN9rocsolver6v33100L7set_tauIfEEviPT_S3_l ; -- Begin function _ZN9rocsolver6v33100L7set_tauIfEEviPT_S3_l
	.p2align	8
	.type	_ZN9rocsolver6v33100L7set_tauIfEEviPT_S3_l,@function
_ZN9rocsolver6v33100L7set_tauIfEEviPT_S3_l: ; @_ZN9rocsolver6v33100L7set_tauIfEEviPT_S3_l
; %bb.0:
	s_load_dword s0, s[4:5], 0x2c
	s_load_dword s1, s[4:5], 0x0
	s_waitcnt lgkmcnt(0)
	s_and_b32 s0, s0, 0xffff
	s_mul_i32 s6, s6, s0
	v_add_u32_e32 v0, s6, v0
	v_cmp_gt_i32_e32 vcc, s1, v0
	s_and_saveexec_b64 s[0:1], vcc
	s_cbranch_execz .LBB9_2
; %bb.1:
	s_load_dwordx4 s[0:3], s[4:5], 0x8
	s_load_dwordx2 s[6:7], s[4:5], 0x18
	v_ashrrev_i32_e32 v1, 31, v0
	v_lshlrev_b64 v[2:3], 2, v[0:1]
	s_waitcnt lgkmcnt(0)
	v_mov_b32_e32 v4, s1
	v_add_co_u32_e32 v2, vcc, s0, v2
	v_addc_co_u32_e32 v3, vcc, v4, v3, vcc
	global_load_dword v2, v[2:3], off
	v_mul_lo_u32 v3, v0, s7
	v_mul_lo_u32 v4, v1, s6
	v_mad_u64_u32 v[0:1], s[0:1], v0, s6, 0
	v_add3_u32 v1, v1, v3, v4
	v_lshlrev_b64 v[0:1], 2, v[0:1]
	v_mov_b32_e32 v3, s3
	v_add_co_u32_e32 v0, vcc, s2, v0
	v_addc_co_u32_e32 v1, vcc, v3, v1, vcc
	s_waitcnt vmcnt(0)
	global_store_dword v[0:1], v2, off
.LBB9_2:
	s_endpgm
	.section	.rodata,"a",@progbits
	.p2align	6, 0x0
	.amdhsa_kernel _ZN9rocsolver6v33100L7set_tauIfEEviPT_S3_l
		.amdhsa_group_segment_fixed_size 0
		.amdhsa_private_segment_fixed_size 0
		.amdhsa_kernarg_size 288
		.amdhsa_user_sgpr_count 6
		.amdhsa_user_sgpr_private_segment_buffer 1
		.amdhsa_user_sgpr_dispatch_ptr 0
		.amdhsa_user_sgpr_queue_ptr 0
		.amdhsa_user_sgpr_kernarg_segment_ptr 1
		.amdhsa_user_sgpr_dispatch_id 0
		.amdhsa_user_sgpr_flat_scratch_init 0
		.amdhsa_user_sgpr_kernarg_preload_length 0
		.amdhsa_user_sgpr_kernarg_preload_offset 0
		.amdhsa_user_sgpr_private_segment_size 0
		.amdhsa_uses_dynamic_stack 0
		.amdhsa_system_sgpr_private_segment_wavefront_offset 0
		.amdhsa_system_sgpr_workgroup_id_x 1
		.amdhsa_system_sgpr_workgroup_id_y 0
		.amdhsa_system_sgpr_workgroup_id_z 0
		.amdhsa_system_sgpr_workgroup_info 0
		.amdhsa_system_vgpr_workitem_id 0
		.amdhsa_next_free_vgpr 5
		.amdhsa_next_free_sgpr 8
		.amdhsa_accum_offset 8
		.amdhsa_reserve_vcc 1
		.amdhsa_reserve_flat_scratch 0
		.amdhsa_float_round_mode_32 0
		.amdhsa_float_round_mode_16_64 0
		.amdhsa_float_denorm_mode_32 3
		.amdhsa_float_denorm_mode_16_64 3
		.amdhsa_dx10_clamp 1
		.amdhsa_ieee_mode 1
		.amdhsa_fp16_overflow 0
		.amdhsa_tg_split 0
		.amdhsa_exception_fp_ieee_invalid_op 0
		.amdhsa_exception_fp_denorm_src 0
		.amdhsa_exception_fp_ieee_div_zero 0
		.amdhsa_exception_fp_ieee_overflow 0
		.amdhsa_exception_fp_ieee_underflow 0
		.amdhsa_exception_fp_ieee_inexact 0
		.amdhsa_exception_int_div_zero 0
	.end_amdhsa_kernel
	.section	.text._ZN9rocsolver6v33100L7set_tauIfEEviPT_S3_l,"axG",@progbits,_ZN9rocsolver6v33100L7set_tauIfEEviPT_S3_l,comdat
.Lfunc_end9:
	.size	_ZN9rocsolver6v33100L7set_tauIfEEviPT_S3_l, .Lfunc_end9-_ZN9rocsolver6v33100L7set_tauIfEEviPT_S3_l
                                        ; -- End function
	.section	.AMDGPU.csdata,"",@progbits
; Kernel info:
; codeLenInByte = 168
; NumSgprs: 12
; NumVgprs: 5
; NumAgprs: 0
; TotalNumVgprs: 5
; ScratchSize: 0
; MemoryBound: 0
; FloatMode: 240
; IeeeMode: 1
; LDSByteSize: 0 bytes/workgroup (compile time only)
; SGPRBlocks: 1
; VGPRBlocks: 0
; NumSGPRsForWavesPerEU: 12
; NumVGPRsForWavesPerEU: 5
; AccumOffset: 8
; Occupancy: 8
; WaveLimiterHint : 0
; COMPUTE_PGM_RSRC2:SCRATCH_EN: 0
; COMPUTE_PGM_RSRC2:USER_SGPR: 6
; COMPUTE_PGM_RSRC2:TRAP_HANDLER: 0
; COMPUTE_PGM_RSRC2:TGID_X_EN: 1
; COMPUTE_PGM_RSRC2:TGID_Y_EN: 0
; COMPUTE_PGM_RSRC2:TGID_Z_EN: 0
; COMPUTE_PGM_RSRC2:TIDIG_COMP_CNT: 0
; COMPUTE_PGM_RSRC3_GFX90A:ACCUM_OFFSET: 1
; COMPUTE_PGM_RSRC3_GFX90A:TG_SPLIT: 0
	.section	.text._ZN9rocsolver6v33100L24sytd2_upper_kernel_smallILi256EfifPfEEvT1_T3_lS3_lPT2_lS6_lPT0_l,"axG",@progbits,_ZN9rocsolver6v33100L24sytd2_upper_kernel_smallILi256EfifPfEEvT1_T3_lS3_lPT2_lS6_lPT0_l,comdat
	.globl	_ZN9rocsolver6v33100L24sytd2_upper_kernel_smallILi256EfifPfEEvT1_T3_lS3_lPT2_lS6_lPT0_l ; -- Begin function _ZN9rocsolver6v33100L24sytd2_upper_kernel_smallILi256EfifPfEEvT1_T3_lS3_lPT2_lS6_lPT0_l
	.p2align	8
	.type	_ZN9rocsolver6v33100L24sytd2_upper_kernel_smallILi256EfifPfEEvT1_T3_lS3_lPT2_lS6_lPT0_l,@function
_ZN9rocsolver6v33100L24sytd2_upper_kernel_smallILi256EfifPfEEvT1_T3_lS3_lPT2_lS6_lPT0_l: ; @_ZN9rocsolver6v33100L24sytd2_upper_kernel_smallILi256EfifPfEEvT1_T3_lS3_lPT2_lS6_lPT0_l
; %bb.0:
	s_load_dwordx2 s[8:9], s[4:5], 0x20
	s_load_dword s30, s[4:5], 0x0
	s_load_dwordx4 s[0:3], s[4:5], 0x8
	s_load_dword s34, s[4:5], 0x18
	s_ashr_i32 s6, s7, 31
	s_waitcnt lgkmcnt(0)
	s_mul_i32 s9, s7, s9
	s_mul_hi_u32 s10, s7, s8
	s_add_i32 s9, s10, s9
	s_mul_i32 s10, s6, s8
	s_add_i32 s9, s9, s10
	s_mul_i32 s8, s7, s8
	s_lshl_b64 s[8:9], s[8:9], 2
	s_add_u32 s8, s0, s8
	s_addc_u32 s9, s1, s9
	s_lshl_b64 s[0:1], s[2:3], 2
	s_add_u32 s31, s8, s0
	v_and_b32_e32 v2, 0x7f, v0
	s_addc_u32 s33, s9, s1
	v_cmp_gt_i32_e64 s[0:1], s30, v2
	v_lshrrev_b32_e32 v3, 7, v0
	v_lshlrev_b32_e32 v7, 2, v2
	s_and_saveexec_b64 s[16:17], s[0:1]
	s_cbranch_execz .LBB10_15
; %bb.1:
	v_lshrrev_b32_e32 v4, 7, v0
	v_or_b32_e32 v5, 2, v4
	s_lshl_b32 s35, s34, 1
	v_max_i32_e32 v1, s30, v5
	s_sub_i32 s10, 0, s35
	v_xad_u32 v6, v4, -1, v1
	s_cmp_lt_i32 s35, 0
	v_lshrrev_b32_e32 v8, 1, v6
	s_cselect_b64 s[12:13], -1, 0
	v_add_u32_e32 v9, 1, v8
	s_and_b64 s[8:9], s[12:13], exec
	s_cselect_b32 s8, s10, s35
	v_and_b32_e32 v16, -2, v9
	v_mul_lo_u32 v1, v4, s34
	v_cmp_gt_u32_e64 s[18:19], 26, v6
	v_cmp_lt_u32_e64 s[2:3], 25, v6
	v_mul_hi_u32 v6, s8, v8
	v_lshl_or_b32 v17, v16, 1, v4
	v_cmp_gt_u32_e32 vcc, s30, v4
	s_mov_b32 s36, 0
	v_add_u32_e32 v14, v1, v2
	v_mul_lo_u32 v15, s8, v8
	v_cmp_ne_u32_e64 s[8:9], 0, v6
	s_mov_b32 s37, s34
	s_mov_b32 s38, s30
	v_cmp_ne_u32_e64 s[10:11], v9, v16
	v_add3_u32 v6, v7, 0, 4
	s_lshl_b32 s39, s30, 2
	s_lshl_b32 s40, s30, 3
	s_mov_b64 s[20:21], 0
	v_mul_lo_u32 v18, s34, v17
	v_mov_b32_e32 v8, v2
	s_branch .LBB10_3
.LBB10_2:                               ;   in Loop: Header=BB10_3 Depth=1
	s_or_b64 exec, exec, s[22:23]
	v_add_u32_e32 v8, 0x80, v8
	s_add_i32 s36, s36, 1
	v_cmp_le_i32_e64 s[14:15], s30, v8
	s_or_b64 s[20:21], s[14:15], s[20:21]
	v_add_u32_e32 v6, 0x200, v6
	s_andn2_b64 exec, exec, s[20:21]
	s_cbranch_execz .LBB10_15
.LBB10_3:                               ; =>This Loop Header: Depth=1
                                        ;     Child Loop BB10_7 Depth 2
                                        ;     Child Loop BB10_14 Depth 2
	s_and_saveexec_b64 s[22:23], vcc
	s_cbranch_execz .LBB10_2
; %bb.4:                                ;   in Loop: Header=BB10_3 Depth=1
	s_mov_b64 s[14:15], s[18:19]
	v_mov_b32_e32 v9, v4
	v_mov_b32_e32 v12, v1
	s_and_saveexec_b64 s[24:25], s[2:3]
	s_cbranch_execz .LBB10_12
; %bb.5:                                ;   in Loop: Header=BB10_3 Depth=1
	v_lshl_add_u32 v9, s36, 7, v14
	v_sub_u32_e32 v11, v9, v15
	v_add_u32_e32 v10, v9, v15
	v_cmp_gt_i32_e64 s[14:15], v11, v9
	v_cndmask_b32_e64 v11, 0, 1, s[14:15]
	v_cmp_lt_i32_e64 s[14:15], v10, v9
	v_cndmask_b32_e64 v9, 0, 1, s[14:15]
	v_cndmask_b32_e64 v9, v9, v11, s[12:13]
	v_and_b32_e32 v9, 1, v9
	v_cmp_eq_u32_e64 s[14:15], 1, v9
	s_or_b64 s[26:27], s[14:15], s[8:9]
	s_mov_b64 s[14:15], -1
	s_xor_b64 s[28:29], s[26:27], -1
	v_mov_b32_e32 v9, v4
	v_mov_b32_e32 v12, v1
	s_and_saveexec_b64 s[26:27], s[28:29]
	s_cbranch_execz .LBB10_11
; %bb.6:                                ;   in Loop: Header=BB10_3 Depth=1
	v_lshlrev_b32_e32 v10, 2, v8
	v_mov_b32_e32 v9, v8
	v_add3_u32 v12, 0, v10, 4
	s_mov_b64 s[28:29], 0
	v_mov_b32_e32 v13, v16
	v_pk_mov_b32 v[10:11], v[4:5], v[4:5] op_sel:[0,1]
.LBB10_7:                               ;   Parent Loop BB10_3 Depth=1
                                        ; =>  This Inner Loop Header: Depth=2
	v_mad_u64_u32 v[20:21], s[14:15], v10, s34, v[8:9]
	v_mov_b32_e32 v22, v9
	v_ashrrev_i32_e32 v21, 31, v20
	v_mad_u64_u32 v[22:23], s[14:15], v11, s37, v[22:23]
	v_lshlrev_b64 v[20:21], 2, v[20:21]
	v_mov_b32_e32 v19, s33
	v_ashrrev_i32_e32 v23, 31, v22
	v_add_co_u32_e64 v20, s[14:15], s31, v20
	v_addc_co_u32_e64 v21, s[14:15], v19, v21, s[14:15]
	v_lshlrev_b64 v[22:23], 2, v[22:23]
	v_mov_b32_e32 v24, s33
	v_add_co_u32_e64 v22, s[14:15], s31, v22
	v_addc_co_u32_e64 v23, s[14:15], v24, v23, s[14:15]
	global_load_dword v19, v[20:21], off
	global_load_dword v24, v[22:23], off
	v_add_u32_e32 v13, -2, v13
	v_mul_lo_u32 v21, v10, s30
	v_cmp_eq_u32_e64 s[14:15], 0, v13
	v_mul_lo_u32 v20, v11, s38
	v_add_u32_e32 v10, 4, v10
	v_lshl_add_u32 v21, v21, 2, v12
	v_add_u32_e32 v11, 4, v11
	s_or_b64 s[28:29], s[14:15], s[28:29]
	v_lshl_add_u32 v20, v20, 2, v12
	s_waitcnt vmcnt(1)
	ds_write_b32 v21, v19
	s_waitcnt vmcnt(0)
	ds_write_b32 v20, v24
	s_andn2_b64 exec, exec, s[28:29]
	s_cbranch_execnz .LBB10_7
; %bb.8:                                ;   in Loop: Header=BB10_3 Depth=1
	s_or_b64 exec, exec, s[28:29]
	s_mov_b64 s[14:15], 0
	s_and_saveexec_b64 s[28:29], s[10:11]
	s_xor_b64 s[28:29], exec, s[28:29]
; %bb.9:                                ;   in Loop: Header=BB10_3 Depth=1
	s_mov_b64 s[14:15], exec
; %bb.10:                               ;   in Loop: Header=BB10_3 Depth=1
	s_or_b64 exec, exec, s[28:29]
	s_orn2_b64 s[14:15], s[14:15], exec
	v_mov_b32_e32 v9, v17
	v_mov_b32_e32 v12, v18
.LBB10_11:                              ;   in Loop: Header=BB10_3 Depth=1
	s_or_b64 exec, exec, s[26:27]
	s_andn2_b64 s[26:27], s[18:19], exec
	s_and_b64 s[14:15], s[14:15], exec
	s_or_b64 s[14:15], s[26:27], s[14:15]
.LBB10_12:                              ;   in Loop: Header=BB10_3 Depth=1
	s_or_b64 exec, exec, s[24:25]
	s_and_b64 exec, exec, s[14:15]
	s_cbranch_execz .LBB10_2
; %bb.13:                               ;   in Loop: Header=BB10_3 Depth=1
	v_mad_u64_u32 v[10:11], s[14:15], s39, v9, v[6:7]
	v_add_u32_e32 v12, v8, v12
	s_mov_b64 s[24:25], 0
.LBB10_14:                              ;   Parent Loop BB10_3 Depth=1
                                        ; =>  This Inner Loop Header: Depth=2
	v_ashrrev_i32_e32 v13, 31, v12
	v_lshlrev_b64 v[20:21], 2, v[12:13]
	v_mov_b32_e32 v11, s33
	v_add_co_u32_e64 v20, s[14:15], s31, v20
	v_addc_co_u32_e64 v21, s[14:15], v11, v21, s[14:15]
	global_load_dword v11, v[20:21], off
	v_add_u32_e32 v9, 2, v9
	v_cmp_le_i32_e64 s[14:15], s30, v9
	v_add_u32_e32 v12, s35, v12
	s_or_b64 s[24:25], s[14:15], s[24:25]
	s_waitcnt vmcnt(0)
	ds_write_b32 v10, v11
	v_add_u32_e32 v10, s40, v10
	s_andn2_b64 exec, exec, s[24:25]
	s_cbranch_execnz .LBB10_14
	s_branch .LBB10_2
.LBB10_15:
	s_or_b64 exec, exec, s[16:17]
	s_waitcnt lgkmcnt(0)
	s_barrier
	s_and_saveexec_b64 s[8:9], s[0:1]
	s_cbranch_execz .LBB10_23
; %bb.16:
	v_lshrrev_b32_e32 v1, 7, v0
	v_mul_lo_u32 v4, s30, v2
	v_lshlrev_b32_e32 v5, 2, v1
	v_lshl_add_u32 v4, v4, 2, v5
	v_mul_lo_u32 v5, s30, v1
	v_lshl_add_u32 v5, v5, 2, v7
	v_cmp_gt_u32_e32 vcc, s30, v1
	v_add3_u32 v4, v4, 0, 4
	s_lshl_b32 s18, s30, 9
	v_add3_u32 v5, v5, 0, 4
	s_lshl_b32 s19, s30, 3
	s_mov_b64 s[10:11], 0
	v_mov_b32_e32 v6, v2
	s_branch .LBB10_18
.LBB10_17:                              ;   in Loop: Header=BB10_18 Depth=1
	s_or_b64 exec, exec, s[12:13]
	v_add_u32_e32 v6, 0x80, v6
	v_cmp_le_i32_e64 s[2:3], s30, v6
	v_add_u32_e32 v4, s18, v4
	s_or_b64 s[10:11], s[2:3], s[10:11]
	v_add_u32_e32 v5, 0x200, v5
	s_andn2_b64 exec, exec, s[10:11]
	s_cbranch_execz .LBB10_23
.LBB10_18:                              ; =>This Loop Header: Depth=1
                                        ;     Child Loop BB10_21 Depth 2
	s_and_saveexec_b64 s[12:13], vcc
	s_cbranch_execz .LBB10_17
; %bb.19:                               ;   in Loop: Header=BB10_18 Depth=1
	s_mov_b64 s[14:15], 0
	v_mov_b32_e32 v8, v5
	v_mov_b32_e32 v9, v4
	;; [unrolled: 1-line block ×3, first 2 shown]
	s_branch .LBB10_21
.LBB10_20:                              ;   in Loop: Header=BB10_21 Depth=2
	s_or_b64 exec, exec, s[16:17]
	v_add_u32_e32 v10, 2, v10
	v_cmp_le_i32_e64 s[2:3], s30, v10
	v_add_u32_e32 v9, 8, v9
	s_or_b64 s[14:15], s[2:3], s[14:15]
	v_add_u32_e32 v8, s19, v8
	s_andn2_b64 exec, exec, s[14:15]
	s_cbranch_execz .LBB10_17
.LBB10_21:                              ;   Parent Loop BB10_18 Depth=1
                                        ; =>  This Inner Loop Header: Depth=2
	v_cmp_gt_u32_e64 s[2:3], v6, v10
	s_and_saveexec_b64 s[16:17], s[2:3]
	s_cbranch_execz .LBB10_20
; %bb.22:                               ;   in Loop: Header=BB10_21 Depth=2
	ds_read_b32 v11, v9
	s_waitcnt lgkmcnt(0)
	ds_write_b32 v8, v11
	s_branch .LBB10_20
.LBB10_23:
	s_or_b64 exec, exec, s[8:9]
	s_cmp_lt_i32 s30, 2
	s_waitcnt lgkmcnt(0)
	s_barrier
	s_cbranch_scc1 .LBB10_74
; %bb.24:
	s_load_dwordx8 s[8:15], s[4:5], 0x38
	v_mbcnt_lo_u32_b32 v1, -1, 0
	v_mbcnt_hi_u32_b32 v9, -1, v1
	v_and_b32_e32 v10, 63, v9
	v_cmp_ne_u32_e32 vcc, 63, v10
	s_waitcnt lgkmcnt(0)
	s_mul_i32 s3, s7, s11
	s_mul_hi_u32 s4, s7, s10
	s_mul_i32 s5, s6, s10
	s_add_i32 s3, s4, s3
	s_mul_i32 s2, s7, s10
	s_add_i32 s3, s3, s5
	s_lshl_b64 s[2:3], s[2:3], 2
	s_mul_i32 s10, s7, s15
	s_add_u32 s24, s8, s2
	s_mul_hi_u32 s2, s7, s14
	s_addc_u32 s25, s9, s3
	s_add_i32 s2, s2, s10
	s_mul_i32 s3, s6, s14
	s_add_i32 s3, s2, s3
	s_mul_i32 s2, s7, s14
	s_lshl_b64 s[2:3], s[2:3], 2
	s_add_u32 s26, s12, s2
	s_mul_i32 s2, s30, s30
	s_addc_u32 s27, s13, s3
	s_lshl_b32 s2, s2, 2
	s_add_i32 s2, s2, 0
	s_lshl_b32 s29, s30, 2
	v_addc_co_u32_e32 v1, vcc, 0, v9, vcc
	s_add_i32 s36, s2, s29
	v_cmp_gt_u32_e32 vcc, 62, v10
	s_add_i32 s28, s2, 4
	s_add_i32 s35, s36, s29
	v_cndmask_b32_e64 v4, 0, 1, vcc
	v_cmp_gt_u32_e32 vcc, 60, v10
	v_cndmask_b32_e64 v5, 0, 1, vcc
	v_cmp_gt_u32_e32 vcc, 56, v10
	s_cmp_eq_u64 s[8:9], 0
	v_cndmask_b32_e64 v6, 0, 1, vcc
	v_cmp_gt_u32_e32 vcc, 48, v10
	s_cselect_b64 s[14:15], -1, 0
	s_cmp_lg_u64 s[8:9], 0
	v_cndmask_b32_e64 v8, 0, 1, vcc
	v_cmp_gt_u32_e32 vcc, 32, v10
	s_cselect_b64 s[16:17], -1, 0
	s_add_i32 s6, s30, -1
	v_cndmask_b32_e64 v10, 0, 1, vcc
	s_mul_i32 s6, s30, s6
	v_lshlrev_b32_e32 v4, 1, v4
	v_lshlrev_b32_e32 v5, 2, v5
	;; [unrolled: 1-line block ×6, first 2 shown]
	s_lshl_b32 s6, s6, 2
	v_add_lshl_u32 v4, v4, v9, 2
	v_add_lshl_u32 v5, v5, v9, 2
	;; [unrolled: 1-line block ×5, first 2 shown]
	v_and_b32_e32 v10, 63, v0
	s_add_i32 s6, s6, 0
	v_add_u32_e32 v13, 4, v11
	v_cmp_eq_u32_e64 s[2:3], 0, v10
	v_add_u32_e32 v10, s28, v11
	v_add_u32_e32 v11, s6, v13
	s_add_i32 s6, s29, 4
	s_mul_i32 s6, s30, s6
	v_lshrrev_b32_e32 v14, 4, v0
	s_add_i32 s6, s6, 0
	s_mov_b32 s13, 0
	v_lshlrev_b32_e32 v1, 2, v1
	v_cmp_eq_u32_e64 s[4:5], 0, v0
	s_add_i32 s36, s36, 4
	s_sub_i32 s37, 0, s29
	v_add_u32_e32 v12, 0, v13
	v_add_u32_e32 v13, s6, v13
	;; [unrolled: 1-line block ×3, first 2 shown]
	v_mov_b32_e32 v15, 0
	s_mov_b32 s38, 0xf800000
	v_mov_b32_e32 v16, 0x260
	s_mov_b32 s39, s30
	s_branch .LBB10_26
.LBB10_25:                              ;   in Loop: Header=BB10_26 Depth=1
	s_or_b64 exec, exec, s[8:9]
	v_add_u32_e32 v11, s37, v11
	s_cmp_lt_i32 s39, 3
	s_mov_b32 s39, s40
	s_waitcnt lgkmcnt(0)
	s_barrier
	s_cbranch_scc1 .LBB10_74
.LBB10_26:                              ; =>This Loop Header: Depth=1
                                        ;     Child Loop BB10_28 Depth 2
                                        ;     Child Loop BB10_31 Depth 2
	;; [unrolled: 1-line block ×4, first 2 shown]
                                        ;       Child Loop BB10_49 Depth 3
                                        ;     Child Loop BB10_52 Depth 2
                                        ;     Child Loop BB10_55 Depth 2
	;; [unrolled: 1-line block ×4, first 2 shown]
                                        ;       Child Loop BB10_67 Depth 3
	s_add_i32 s40, s39, -1
	v_cmp_gt_i32_e64 s[6:7], s40, v0
	s_and_saveexec_b64 s[8:9], s[6:7]
	s_cbranch_execz .LBB10_29
; %bb.27:                               ;   in Loop: Header=BB10_26 Depth=1
	s_mov_b64 s[10:11], 0
	v_mov_b32_e32 v17, v11
	v_mov_b32_e32 v18, v10
	v_mov_b32_e32 v19, v0
.LBB10_28:                              ;   Parent Loop BB10_26 Depth=1
                                        ; =>  This Inner Loop Header: Depth=2
	ds_read_b32 v20, v17
	v_add_u32_e32 v19, 0x100, v19
	v_cmp_le_i32_e32 vcc, s40, v19
	v_add_u32_e32 v17, 0x400, v17
	s_or_b64 s[10:11], vcc, s[10:11]
	s_waitcnt lgkmcnt(0)
	ds_write_b32 v18, v20
	v_add_u32_e32 v18, 0x400, v18
	s_andn2_b64 exec, exec, s[10:11]
	s_cbranch_execnz .LBB10_28
.LBB10_29:                              ;   in Loop: Header=BB10_26 Depth=1
	s_or_b64 exec, exec, s[8:9]
	s_add_i32 s12, s39, -2
	v_cmp_gt_i32_e64 s[8:9], s12, v0
	v_mov_b32_e32 v17, 0
	s_waitcnt lgkmcnt(0)
	s_barrier
	s_and_saveexec_b64 s[10:11], s[8:9]
	s_cbranch_execz .LBB10_33
; %bb.30:                               ;   in Loop: Header=BB10_26 Depth=1
	s_mov_b64 s[18:19], 0
	v_mov_b32_e32 v17, 0
	v_mov_b32_e32 v18, v10
	;; [unrolled: 1-line block ×3, first 2 shown]
.LBB10_31:                              ;   Parent Loop BB10_26 Depth=1
                                        ; =>  This Inner Loop Header: Depth=2
	ds_read_b32 v20, v18
	v_add_u32_e32 v19, 0x100, v19
	v_cmp_le_i32_e32 vcc, s12, v19
	v_add_u32_e32 v18, 0x400, v18
	s_or_b64 s[18:19], vcc, s[18:19]
	s_waitcnt lgkmcnt(0)
	v_mul_f32_e32 v20, v20, v20
	v_add_f32_e32 v17, v17, v20
	s_andn2_b64 exec, exec, s[18:19]
	s_cbranch_execnz .LBB10_31
; %bb.32:                               ;   in Loop: Header=BB10_26 Depth=1
	s_or_b64 exec, exec, s[18:19]
.LBB10_33:                              ;   in Loop: Header=BB10_26 Depth=1
	s_or_b64 exec, exec, s[10:11]
	ds_bpermute_b32 v18, v1, v17
	s_waitcnt lgkmcnt(0)
	v_add_f32_e32 v17, v17, v18
	ds_bpermute_b32 v18, v4, v17
	s_waitcnt lgkmcnt(0)
	v_add_f32_e32 v17, v17, v18
	;; [unrolled: 3-line block ×6, first 2 shown]
	s_and_saveexec_b64 s[10:11], s[2:3]
	s_cbranch_execz .LBB10_35
; %bb.34:                               ;   in Loop: Header=BB10_26 Depth=1
	ds_write_b32 v14, v17 offset:4
.LBB10_35:                              ;   in Loop: Header=BB10_26 Depth=1
	s_or_b64 exec, exec, s[10:11]
	s_waitcnt lgkmcnt(0)
	s_barrier
	s_and_saveexec_b64 s[18:19], s[4:5]
	s_cbranch_execz .LBB10_43
; %bb.36:                               ;   in Loop: Header=BB10_26 Depth=1
	v_mov_b32_e32 v20, s35
	ds_read2_b32 v[18:19], v20 offset0:2 offset1:3
	ds_read_b32 v20, v20 offset:16
	s_lshl_b32 s20, s12, 2
	s_mov_b64 s[10:11], 0
	s_add_i32 s41, s28, s20
	s_waitcnt lgkmcnt(1)
	v_add_f32_e32 v17, v17, v18
	v_add_f32_e32 v17, v17, v19
	s_waitcnt lgkmcnt(0)
	v_add_f32_e32 v19, v17, v20
	v_cmp_nlt_f32_e32 vcc, 0, v19
	s_mov_b64 s[20:21], 0
                                        ; implicit-def: $sgpr42
                                        ; implicit-def: $sgpr43
                                        ; implicit-def: $vgpr17
                                        ; implicit-def: $sgpr44
	s_and_saveexec_b64 s[22:23], vcc
	s_xor_b64 s[22:23], exec, s[22:23]
	s_cbranch_execnz .LBB10_69
; %bb.37:                               ;   in Loop: Header=BB10_26 Depth=1
	s_or_saveexec_b64 s[22:23], s[22:23]
	v_mov_b32_e32 v18, s44
	s_xor_b64 exec, exec, s[22:23]
	s_cbranch_execnz .LBB10_73
.LBB10_38:                              ;   in Loop: Header=BB10_26 Depth=1
	s_or_b64 exec, exec, s[22:23]
	s_and_saveexec_b64 s[22:23], s[20:21]
	s_cbranch_execz .LBB10_40
.LBB10_39:                              ;   in Loop: Header=BB10_26 Depth=1
	s_lshl_b64 s[20:21], s[12:13], 2
	s_add_u32 s20, s24, s20
	s_addc_u32 s21, s25, s21
	s_waitcnt lgkmcnt(0)
	global_store_dword v15, v17, s[20:21]
	v_mov_b32_e32 v17, 1.0
	s_or_b64 s[10:11], s[10:11], exec
.LBB10_40:                              ;   in Loop: Header=BB10_26 Depth=1
	s_or_b64 exec, exec, s[22:23]
	v_mov_b32_e32 v19, s43
	v_mov_b32_e32 v20, s42
	s_and_saveexec_b64 s[20:21], s[10:11]
	s_cbranch_execz .LBB10_42
; %bb.41:                               ;   in Loop: Header=BB10_26 Depth=1
	v_mov_b32_e32 v19, s41
	s_waitcnt lgkmcnt(0)
	ds_write_b32 v19, v17
	ds_read_b32 v19, v15
	v_mov_b32_e32 v20, v18
.LBB10_42:                              ;   in Loop: Header=BB10_26 Depth=1
	s_or_b64 exec, exec, s[20:21]
	s_lshl_b64 s[10:11], s[12:13], 2
	s_add_u32 s10, s26, s10
	s_addc_u32 s11, s27, s11
	s_waitcnt lgkmcnt(0)
	v_mov_b32_e32 v17, s35
	global_store_dword v15, v19, s[10:11]
	ds_write_b32 v17, v20 offset:4
.LBB10_43:                              ;   in Loop: Header=BB10_26 Depth=1
	s_or_b64 exec, exec, s[18:19]
	s_waitcnt lgkmcnt(0)
	s_barrier
	s_and_saveexec_b64 s[10:11], s[8:9]
	s_cbranch_execz .LBB10_46
; %bb.44:                               ;   in Loop: Header=BB10_26 Depth=1
	s_mov_b64 s[8:9], 0
	v_mov_b32_e32 v17, v10
	v_mov_b32_e32 v18, v0
.LBB10_45:                              ;   Parent Loop BB10_26 Depth=1
                                        ; =>  This Inner Loop Header: Depth=2
	v_mov_b32_e32 v19, s35
	ds_read_b32 v20, v17
	ds_read_b32 v19, v19 offset:4
	v_add_u32_e32 v18, 0x100, v18
	v_cmp_le_i32_e32 vcc, s12, v18
	s_or_b64 s[8:9], vcc, s[8:9]
	s_waitcnt lgkmcnt(0)
	v_mul_f32_e32 v19, v19, v20
	ds_write_b32 v17, v19
	v_add_u32_e32 v17, 0x400, v17
	s_andn2_b64 exec, exec, s[8:9]
	s_cbranch_execnz .LBB10_45
.LBB10_46:                              ;   in Loop: Header=BB10_26 Depth=1
	s_or_b64 exec, exec, s[10:11]
	s_waitcnt lgkmcnt(0)
	s_barrier
	s_and_saveexec_b64 s[8:9], s[6:7]
	s_cbranch_execz .LBB10_53
; %bb.47:                               ;   in Loop: Header=BB10_26 Depth=1
	s_mov_b64 s[10:11], 0
	v_mov_b32_e32 v17, v12
	v_mov_b32_e32 v18, v0
.LBB10_48:                              ;   Parent Loop BB10_26 Depth=1
                                        ; =>  This Loop Header: Depth=2
                                        ;       Child Loop BB10_49 Depth 3
	s_mov_b32 s12, 0
	v_mov_b32_e32 v19, 0
	v_mov_b32_e32 v20, v17
	s_mov_b32 s18, s28
.LBB10_49:                              ;   Parent Loop BB10_26 Depth=1
                                        ;     Parent Loop BB10_48 Depth=2
                                        ; =>    This Inner Loop Header: Depth=3
	v_mov_b32_e32 v22, s18
	ds_read_b32 v21, v20
	ds_read_b32 v22, v22
	s_add_i32 s12, s12, 1
	s_add_i32 s18, s18, 4
	v_add_u32_e32 v20, s29, v20
	s_cmp_ge_i32 s12, s40
	s_waitcnt lgkmcnt(0)
	v_fmac_f32_e32 v19, v21, v22
	s_cbranch_scc0 .LBB10_49
; %bb.50:                               ;   in Loop: Header=BB10_48 Depth=2
	ds_read_b32 v20, v15
	v_lshl_add_u32 v21, v18, 2, s36
	v_add_u32_e32 v18, 0x100, v18
	v_cmp_le_i32_e32 vcc, s40, v18
	s_or_b64 s[10:11], vcc, s[10:11]
	s_waitcnt lgkmcnt(0)
	v_mul_f32_e32 v19, v19, v20
	v_add_u32_e32 v17, 0x400, v17
	ds_write_b32 v21, v19
	s_andn2_b64 exec, exec, s[10:11]
	s_cbranch_execnz .LBB10_48
; %bb.51:                               ;   in Loop: Header=BB10_26 Depth=1
	s_or_b64 exec, exec, s[10:11]
	s_mov_b32 s12, 0
	s_mov_b64 s[10:11], 0
	v_mov_b32_e32 v17, v0
.LBB10_52:                              ;   Parent Loop BB10_26 Depth=1
                                        ; =>  This Inner Loop Header: Depth=2
	v_add_u32_e32 v18, s12, v10
	ds_read_b32 v18, v18
	v_add_u32_e32 v17, 0x100, v17
	v_add_u32_e32 v19, s12, v11
	s_addk_i32 s12, 0x400
	v_cmp_le_i32_e32 vcc, s40, v17
	s_or_b64 s[10:11], vcc, s[10:11]
	s_waitcnt lgkmcnt(0)
	ds_write_b32 v19, v18
	s_andn2_b64 exec, exec, s[10:11]
	s_cbranch_execnz .LBB10_52
.LBB10_53:                              ;   in Loop: Header=BB10_26 Depth=1
	s_or_b64 exec, exec, s[8:9]
	v_mov_b32_e32 v17, 0
	s_waitcnt lgkmcnt(0)
	s_barrier
	s_and_saveexec_b64 s[8:9], s[6:7]
	s_cbranch_execz .LBB10_57
; %bb.54:                               ;   in Loop: Header=BB10_26 Depth=1
	s_mov_b64 s[10:11], 0
	v_mov_b32_e32 v17, 0
	v_mov_b32_e32 v18, v10
	;; [unrolled: 1-line block ×4, first 2 shown]
.LBB10_55:                              ;   Parent Loop BB10_26 Depth=1
                                        ; =>  This Inner Loop Header: Depth=2
	ds_read_b32 v21, v18
	ds_read_b32 v22, v19
	v_add_u32_e32 v20, 0x100, v20
	v_cmp_le_i32_e32 vcc, s40, v20
	v_add_u32_e32 v19, 0x400, v19
	v_add_u32_e32 v18, 0x400, v18
	s_waitcnt lgkmcnt(0)
	v_mul_f32_e32 v21, v21, v22
	s_or_b64 s[10:11], vcc, s[10:11]
	v_add_f32_e32 v17, v17, v21
	s_andn2_b64 exec, exec, s[10:11]
	s_cbranch_execnz .LBB10_55
; %bb.56:                               ;   in Loop: Header=BB10_26 Depth=1
	s_or_b64 exec, exec, s[10:11]
.LBB10_57:                              ;   in Loop: Header=BB10_26 Depth=1
	s_or_b64 exec, exec, s[8:9]
	ds_bpermute_b32 v18, v1, v17
	s_waitcnt lgkmcnt(0)
	v_add_f32_e32 v17, v17, v18
	ds_bpermute_b32 v18, v4, v17
	s_waitcnt lgkmcnt(0)
	v_add_f32_e32 v17, v17, v18
	;; [unrolled: 3-line block ×6, first 2 shown]
	s_and_saveexec_b64 s[8:9], s[2:3]
	s_cbranch_execz .LBB10_59
; %bb.58:                               ;   in Loop: Header=BB10_26 Depth=1
	ds_write_b32 v14, v17 offset:4
.LBB10_59:                              ;   in Loop: Header=BB10_26 Depth=1
	s_or_b64 exec, exec, s[8:9]
	s_waitcnt lgkmcnt(0)
	s_barrier
	s_and_saveexec_b64 s[8:9], s[4:5]
	s_cbranch_execz .LBB10_61
; %bb.60:                               ;   in Loop: Header=BB10_26 Depth=1
	v_mov_b32_e32 v22, s35
	ds_read_b32 v23, v22 offset:16
	ds_read2_b32 v[18:19], v22 offset0:2 offset1:3
	ds_read_b32 v20, v15
	s_waitcnt lgkmcnt(1)
	v_add_f32_e32 v17, v17, v18
	v_add_f32_e32 v17, v17, v19
	s_waitcnt lgkmcnt(0)
	v_cvt_f64_f32_e32 v[20:21], v20
	v_add_f32_e32 v17, v17, v23
	v_mul_f64 v[18:19], v[20:21], -0.5
	v_cvt_f64_f32_e32 v[20:21], v17
	v_mul_f64 v[18:19], v[18:19], v[20:21]
	v_cvt_f32_f64_e32 v17, v[18:19]
	ds_write_b32 v22, v17 offset:4
.LBB10_61:                              ;   in Loop: Header=BB10_26 Depth=1
	s_or_b64 exec, exec, s[8:9]
	s_waitcnt lgkmcnt(0)
	s_barrier
	s_and_saveexec_b64 s[8:9], s[6:7]
	s_cbranch_execz .LBB10_64
; %bb.62:                               ;   in Loop: Header=BB10_26 Depth=1
	s_mov_b64 s[10:11], 0
	v_mov_b32_e32 v17, v10
	v_mov_b32_e32 v18, v13
	;; [unrolled: 1-line block ×3, first 2 shown]
.LBB10_63:                              ;   Parent Loop BB10_26 Depth=1
                                        ; =>  This Inner Loop Header: Depth=2
	v_mov_b32_e32 v20, s35
	ds_read_b32 v21, v17
	ds_read_b32 v22, v18
	ds_read_b32 v20, v20 offset:4
	v_add_u32_e32 v19, 0x100, v19
	v_cmp_le_i32_e32 vcc, s40, v19
	s_or_b64 s[10:11], vcc, s[10:11]
	v_add_u32_e32 v17, 0x400, v17
	s_waitcnt lgkmcnt(0)
	v_fmac_f32_e32 v22, v20, v21
	ds_write_b32 v18, v22
	v_add_u32_e32 v18, 0x400, v18
	s_andn2_b64 exec, exec, s[10:11]
	s_cbranch_execnz .LBB10_63
.LBB10_64:                              ;   in Loop: Header=BB10_26 Depth=1
	s_or_b64 exec, exec, s[8:9]
	s_waitcnt lgkmcnt(0)
	s_barrier
	s_and_saveexec_b64 s[8:9], s[6:7]
	s_cbranch_execz .LBB10_25
; %bb.65:                               ;   in Loop: Header=BB10_26 Depth=1
	s_mov_b64 s[6:7], 0
	v_mov_b32_e32 v17, v12
	v_mov_b32_e32 v18, v0
.LBB10_66:                              ;   Parent Loop BB10_26 Depth=1
                                        ; =>  This Loop Header: Depth=2
                                        ;       Child Loop BB10_67 Depth 3
	v_lshlrev_b32_e32 v20, 2, v18
	v_add_u32_e32 v19, s28, v20
	v_add_u32_e32 v20, s36, v20
	s_mov_b32 s10, 0
	v_mov_b32_e32 v21, v17
	s_mov_b32 s11, s36
	s_mov_b32 s12, s28
.LBB10_67:                              ;   Parent Loop BB10_26 Depth=1
                                        ;     Parent Loop BB10_66 Depth=2
                                        ; =>    This Inner Loop Header: Depth=3
	ds_read_b32 v22, v21
	v_mov_b32_e32 v23, s11
	v_mov_b32_e32 v26, s12
	ds_read_b32 v23, v23
	ds_read_b32 v24, v19
	;; [unrolled: 1-line block ×4, first 2 shown]
	s_add_i32 s10, s10, 1
	s_add_i32 s12, s12, 4
	s_waitcnt lgkmcnt(2)
	v_fma_f32 v22, -v24, v23, v22
	s_add_i32 s11, s11, 4
	s_waitcnt lgkmcnt(0)
	v_fma_f32 v22, -v25, v26, v22
	ds_write_b32 v21, v22
	s_cmp_ge_i32 s10, s40
	v_add_u32_e32 v21, s29, v21
	s_cbranch_scc0 .LBB10_67
; %bb.68:                               ;   in Loop: Header=BB10_66 Depth=2
	v_add_u32_e32 v18, 0x100, v18
	v_cmp_le_i32_e32 vcc, s40, v18
	s_or_b64 s[6:7], vcc, s[6:7]
	v_add_u32_e32 v17, 0x400, v17
	s_andn2_b64 exec, exec, s[6:7]
	s_cbranch_execnz .LBB10_66
	s_branch .LBB10_25
.LBB10_69:                              ;   in Loop: Header=BB10_26 Depth=1
	s_and_b64 vcc, exec, s[16:17]
	ds_write_b32 v15, v15
	s_cbranch_vccz .LBB10_71
; %bb.70:                               ;   in Loop: Header=BB10_26 Depth=1
	v_mov_b32_e32 v17, s41
	ds_read_b32 v17, v17
	s_mov_b64 s[20:21], -1
	s_mov_b32 s44, 1.0
	s_branch .LBB10_72
.LBB10_71:                              ;   in Loop: Header=BB10_26 Depth=1
                                        ; implicit-def: $vgpr17
                                        ; implicit-def: $sgpr44
.LBB10_72:                              ;   in Loop: Header=BB10_26 Depth=1
	s_mov_b32 s43, 0
	s_mov_b32 s42, 1.0
	s_and_b64 s[20:21], s[20:21], exec
                                        ; implicit-def: $vgpr19
	s_or_saveexec_b64 s[22:23], s[22:23]
	v_mov_b32_e32 v18, s44
	s_xor_b64 exec, exec, s[22:23]
	s_cbranch_execz .LBB10_38
.LBB10_73:                              ;   in Loop: Header=BB10_26 Depth=1
	s_waitcnt lgkmcnt(0)
	v_mov_b32_e32 v17, s41
	ds_read_b32 v18, v17
	s_andn2_b64 s[20:21], s[20:21], exec
	s_and_b64 s[44:45], s[16:17], exec
	s_or_b64 s[20:21], s[20:21], s[44:45]
	s_waitcnt lgkmcnt(0)
	v_fmac_f32_e32 v19, v18, v18
	v_mul_f32_e32 v17, 0x4f800000, v19
	v_cmp_gt_f32_e32 vcc, s38, v19
	v_cndmask_b32_e32 v17, v19, v17, vcc
	v_sqrt_f32_e32 v19, v17
	v_add_u32_e32 v20, -1, v19
	v_add_u32_e32 v21, 1, v19
	v_fma_f32 v22, -v20, v19, v17
	v_fma_f32 v23, -v21, v19, v17
	v_cmp_ge_f32_e64 s[10:11], 0, v22
	v_cndmask_b32_e64 v19, v19, v20, s[10:11]
	v_cmp_lt_f32_e64 s[10:11], 0, v23
	v_cndmask_b32_e64 v19, v19, v21, s[10:11]
	v_mul_f32_e32 v20, 0x37800000, v19
	v_cndmask_b32_e32 v19, v19, v20, vcc
	v_cmp_class_f32_e32 vcc, v17, v16
	v_cndmask_b32_e32 v17, v19, v17, vcc
	v_cmp_le_f32_e32 vcc, 0, v18
	v_cndmask_b32_e64 v17, v17, -v17, vcc
	v_sub_f32_e32 v19, v18, v17
	v_div_scale_f32 v20, s[10:11], v19, v19, 1.0
	v_rcp_f32_e32 v21, v20
	v_div_scale_f32 v22, vcc, 1.0, v19, 1.0
	v_fma_f32 v23, -v20, v21, 1.0
	v_fmac_f32_e32 v21, v23, v21
	v_mul_f32_e32 v23, v22, v21
	v_fma_f32 v24, -v20, v23, v22
	v_fmac_f32_e32 v23, v24, v21
	v_fma_f32 v20, -v20, v23, v22
	v_sub_f32_e32 v22, v17, v18
	v_div_scale_f32 v24, s[10:11], v17, v17, v22
	v_rcp_f32_e32 v25, v24
	v_div_fmas_f32 v18, v20, v21, v23
	v_div_fixup_f32 v18, v18, v19, 1.0
	s_and_b64 s[10:11], s[14:15], exec
	v_fma_f32 v19, -v24, v25, 1.0
	v_fmac_f32_e32 v25, v19, v25
	v_div_scale_f32 v19, vcc, v22, v17, v22
	v_mul_f32_e32 v20, v19, v25
	v_fma_f32 v21, -v24, v20, v19
	v_fmac_f32_e32 v20, v21, v25
	v_fma_f32 v19, -v24, v20, v19
	v_div_fmas_f32 v19, v19, v25, v20
	v_div_fixup_f32 v19, v19, v17, v22
	ds_write_b32 v15, v19
	s_or_b64 exec, exec, s[22:23]
	s_and_saveexec_b64 s[22:23], s[20:21]
	s_cbranch_execnz .LBB10_39
	s_branch .LBB10_40
.LBB10_74:
	s_and_saveexec_b64 s[2:3], s[0:1]
	s_cbranch_execz .LBB10_82
; %bb.75:
	v_mad_u64_u32 v[0:1], s[0:1], s34, v3, v[2:3]
	v_mul_lo_u32 v1, s30, v3
	v_lshl_add_u32 v1, v1, 2, v7
	v_cmp_gt_u32_e32 vcc, s30, v3
	s_lshl_b32 s10, s34, 1
	v_add3_u32 v1, v1, 0, 4
	s_lshl_b32 s11, s30, 3
	s_mov_b64 s[2:3], 0
	s_branch .LBB10_77
.LBB10_76:                              ;   in Loop: Header=BB10_77 Depth=1
	s_or_b64 exec, exec, s[4:5]
	v_add_u32_e32 v2, 0x80, v2
	v_cmp_le_i32_e64 s[0:1], s30, v2
	v_add_u32_e32 v0, 0x80, v0
	s_or_b64 s[2:3], s[0:1], s[2:3]
	v_add_u32_e32 v1, 0x200, v1
	s_andn2_b64 exec, exec, s[2:3]
	s_cbranch_execz .LBB10_82
.LBB10_77:                              ; =>This Loop Header: Depth=1
                                        ;     Child Loop BB10_80 Depth 2
	s_and_saveexec_b64 s[4:5], vcc
	s_cbranch_execz .LBB10_76
; %bb.78:                               ;   in Loop: Header=BB10_77 Depth=1
	s_mov_b64 s[6:7], 0
	v_mov_b32_e32 v6, v1
	v_mov_b32_e32 v4, v0
	;; [unrolled: 1-line block ×3, first 2 shown]
	s_branch .LBB10_80
.LBB10_79:                              ;   in Loop: Header=BB10_80 Depth=2
	s_or_b64 exec, exec, s[8:9]
	v_add_u32_e32 v7, 2, v7
	v_cmp_le_i32_e64 s[0:1], s30, v7
	v_add_u32_e32 v4, s10, v4
	s_or_b64 s[6:7], s[0:1], s[6:7]
	v_add_u32_e32 v6, s11, v6
	s_andn2_b64 exec, exec, s[6:7]
	s_cbranch_execz .LBB10_76
.LBB10_80:                              ;   Parent Loop BB10_77 Depth=1
                                        ; =>  This Inner Loop Header: Depth=2
	v_cmp_le_u32_e64 s[0:1], v2, v7
	s_and_saveexec_b64 s[8:9], s[0:1]
	s_cbranch_execz .LBB10_79
; %bb.81:                               ;   in Loop: Header=BB10_80 Depth=2
	ds_read_b32 v10, v6
	v_ashrrev_i32_e32 v5, 31, v4
	v_lshlrev_b64 v[8:9], 2, v[4:5]
	v_mov_b32_e32 v5, s33
	v_add_co_u32_e64 v8, s[0:1], s31, v8
	v_addc_co_u32_e64 v9, s[0:1], v5, v9, s[0:1]
	s_waitcnt lgkmcnt(0)
	global_store_dword v[8:9], v10, off
	s_branch .LBB10_79
.LBB10_82:
	s_endpgm
	.section	.rodata,"a",@progbits
	.p2align	6, 0x0
	.amdhsa_kernel _ZN9rocsolver6v33100L24sytd2_upper_kernel_smallILi256EfifPfEEvT1_T3_lS3_lPT2_lS6_lPT0_l
		.amdhsa_group_segment_fixed_size 0
		.amdhsa_private_segment_fixed_size 0
		.amdhsa_kernarg_size 88
		.amdhsa_user_sgpr_count 6
		.amdhsa_user_sgpr_private_segment_buffer 1
		.amdhsa_user_sgpr_dispatch_ptr 0
		.amdhsa_user_sgpr_queue_ptr 0
		.amdhsa_user_sgpr_kernarg_segment_ptr 1
		.amdhsa_user_sgpr_dispatch_id 0
		.amdhsa_user_sgpr_flat_scratch_init 0
		.amdhsa_user_sgpr_kernarg_preload_length 0
		.amdhsa_user_sgpr_kernarg_preload_offset 0
		.amdhsa_user_sgpr_private_segment_size 0
		.amdhsa_uses_dynamic_stack 0
		.amdhsa_system_sgpr_private_segment_wavefront_offset 0
		.amdhsa_system_sgpr_workgroup_id_x 1
		.amdhsa_system_sgpr_workgroup_id_y 0
		.amdhsa_system_sgpr_workgroup_id_z 1
		.amdhsa_system_sgpr_workgroup_info 0
		.amdhsa_system_vgpr_workitem_id 0
		.amdhsa_next_free_vgpr 27
		.amdhsa_next_free_sgpr 46
		.amdhsa_accum_offset 28
		.amdhsa_reserve_vcc 1
		.amdhsa_reserve_flat_scratch 0
		.amdhsa_float_round_mode_32 0
		.amdhsa_float_round_mode_16_64 0
		.amdhsa_float_denorm_mode_32 3
		.amdhsa_float_denorm_mode_16_64 3
		.amdhsa_dx10_clamp 1
		.amdhsa_ieee_mode 1
		.amdhsa_fp16_overflow 0
		.amdhsa_tg_split 0
		.amdhsa_exception_fp_ieee_invalid_op 0
		.amdhsa_exception_fp_denorm_src 0
		.amdhsa_exception_fp_ieee_div_zero 0
		.amdhsa_exception_fp_ieee_overflow 0
		.amdhsa_exception_fp_ieee_underflow 0
		.amdhsa_exception_fp_ieee_inexact 0
		.amdhsa_exception_int_div_zero 0
	.end_amdhsa_kernel
	.section	.text._ZN9rocsolver6v33100L24sytd2_upper_kernel_smallILi256EfifPfEEvT1_T3_lS3_lPT2_lS6_lPT0_l,"axG",@progbits,_ZN9rocsolver6v33100L24sytd2_upper_kernel_smallILi256EfifPfEEvT1_T3_lS3_lPT2_lS6_lPT0_l,comdat
.Lfunc_end10:
	.size	_ZN9rocsolver6v33100L24sytd2_upper_kernel_smallILi256EfifPfEEvT1_T3_lS3_lPT2_lS6_lPT0_l, .Lfunc_end10-_ZN9rocsolver6v33100L24sytd2_upper_kernel_smallILi256EfifPfEEvT1_T3_lS3_lPT2_lS6_lPT0_l
                                        ; -- End function
	.section	.AMDGPU.csdata,"",@progbits
; Kernel info:
; codeLenInByte = 3736
; NumSgprs: 50
; NumVgprs: 27
; NumAgprs: 0
; TotalNumVgprs: 27
; ScratchSize: 0
; MemoryBound: 0
; FloatMode: 240
; IeeeMode: 1
; LDSByteSize: 0 bytes/workgroup (compile time only)
; SGPRBlocks: 6
; VGPRBlocks: 3
; NumSGPRsForWavesPerEU: 50
; NumVGPRsForWavesPerEU: 27
; AccumOffset: 28
; Occupancy: 8
; WaveLimiterHint : 0
; COMPUTE_PGM_RSRC2:SCRATCH_EN: 0
; COMPUTE_PGM_RSRC2:USER_SGPR: 6
; COMPUTE_PGM_RSRC2:TRAP_HANDLER: 0
; COMPUTE_PGM_RSRC2:TGID_X_EN: 1
; COMPUTE_PGM_RSRC2:TGID_Y_EN: 0
; COMPUTE_PGM_RSRC2:TGID_Z_EN: 1
; COMPUTE_PGM_RSRC2:TIDIG_COMP_CNT: 0
; COMPUTE_PGM_RSRC3_GFX90A:ACCUM_OFFSET: 6
; COMPUTE_PGM_RSRC3_GFX90A:TG_SPLIT: 0
	.section	.text._ZN9rocsolver6v33100L8copy_matIfPfNS0_7no_maskEEEvNS0_17copymat_directionEiiT0_iilPT_T1_13rocblas_fill_17rocblas_diagonal_,"axG",@progbits,_ZN9rocsolver6v33100L8copy_matIfPfNS0_7no_maskEEEvNS0_17copymat_directionEiiT0_iilPT_T1_13rocblas_fill_17rocblas_diagonal_,comdat
	.globl	_ZN9rocsolver6v33100L8copy_matIfPfNS0_7no_maskEEEvNS0_17copymat_directionEiiT0_iilPT_T1_13rocblas_fill_17rocblas_diagonal_ ; -- Begin function _ZN9rocsolver6v33100L8copy_matIfPfNS0_7no_maskEEEvNS0_17copymat_directionEiiT0_iilPT_T1_13rocblas_fill_17rocblas_diagonal_
	.p2align	8
	.type	_ZN9rocsolver6v33100L8copy_matIfPfNS0_7no_maskEEEvNS0_17copymat_directionEiiT0_iilPT_T1_13rocblas_fill_17rocblas_diagonal_,@function
_ZN9rocsolver6v33100L8copy_matIfPfNS0_7no_maskEEEvNS0_17copymat_directionEiiT0_iilPT_T1_13rocblas_fill_17rocblas_diagonal_: ; @_ZN9rocsolver6v33100L8copy_matIfPfNS0_7no_maskEEEvNS0_17copymat_directionEiiT0_iilPT_T1_13rocblas_fill_17rocblas_diagonal_
; %bb.0:
	s_load_dword s0, s[4:5], 0x4c
	s_load_dwordx4 s[12:15], s[4:5], 0x0
	v_bfe_u32 v1, v0, 10, 10
	v_and_b32_e32 v0, 0x3ff, v0
	s_waitcnt lgkmcnt(0)
	s_lshr_b32 s1, s0, 16
	s_and_b32 s0, s0, 0xffff
	s_mul_i32 s7, s7, s1
	s_mul_i32 s6, s6, s0
	v_add_u32_e32 v1, s7, v1
	v_add_u32_e32 v0, s6, v0
	v_cmp_gt_u32_e32 vcc, s13, v0
	v_cmp_gt_u32_e64 s[0:1], s14, v1
	s_and_b64 s[0:1], s[0:1], vcc
	s_and_saveexec_b64 s[2:3], s[0:1]
	s_cbranch_execz .LBB11_14
; %bb.1:
	s_load_dwordx2 s[2:3], s[4:5], 0x34
	s_waitcnt lgkmcnt(0)
	s_cmpk_lt_i32 s2, 0x7a
	s_cbranch_scc1 .LBB11_4
; %bb.2:
	s_cmpk_gt_i32 s2, 0x7a
	s_cbranch_scc0 .LBB11_5
; %bb.3:
	s_cmpk_lg_i32 s2, 0x7b
	s_mov_b64 s[6:7], -1
	s_cselect_b64 s[10:11], -1, 0
	s_cbranch_execz .LBB11_6
	s_branch .LBB11_7
.LBB11_4:
	s_mov_b64 s[10:11], 0
	s_mov_b64 s[6:7], 0
	s_cbranch_execnz .LBB11_8
	s_branch .LBB11_10
.LBB11_5:
	s_mov_b64 s[6:7], 0
	s_mov_b64 s[10:11], 0
.LBB11_6:
	v_cmp_gt_u32_e32 vcc, v0, v1
	v_cmp_le_u32_e64 s[0:1], v0, v1
	s_andn2_b64 s[6:7], s[6:7], exec
	s_and_b64 s[16:17], vcc, exec
	s_andn2_b64 s[10:11], s[10:11], exec
	s_and_b64 s[0:1], s[0:1], exec
	s_or_b64 s[6:7], s[6:7], s[16:17]
	s_or_b64 s[10:11], s[10:11], s[0:1]
.LBB11_7:
	s_branch .LBB11_10
.LBB11_8:
	s_cmpk_eq_i32 s2, 0x79
	s_mov_b64 s[10:11], -1
	s_cbranch_scc0 .LBB11_10
; %bb.9:
	v_cmp_gt_u32_e32 vcc, v1, v0
	v_cmp_le_u32_e64 s[0:1], v1, v0
	s_andn2_b64 s[6:7], s[6:7], exec
	s_and_b64 s[10:11], vcc, exec
	s_or_b64 s[6:7], s[6:7], s[10:11]
	s_orn2_b64 s[10:11], s[0:1], exec
.LBB11_10:
	s_and_saveexec_b64 s[0:1], s[10:11]
; %bb.11:
	s_cmpk_eq_i32 s3, 0x83
	s_cselect_b64 s[2:3], -1, 0
	v_cmp_eq_u32_e32 vcc, v0, v1
	s_and_b64 s[2:3], s[2:3], vcc
	s_andn2_b64 s[6:7], s[6:7], exec
	s_and_b64 s[2:3], s[2:3], exec
	s_or_b64 s[6:7], s[6:7], s[2:3]
; %bb.12:
	s_or_b64 exec, exec, s[0:1]
	s_and_b64 exec, exec, s[6:7]
	s_cbranch_execz .LBB11_14
; %bb.13:
	s_load_dwordx8 s[0:7], s[4:5], 0x10
	s_ashr_i32 s9, s13, 31
	s_ashr_i32 s15, s14, 31
	s_mul_i32 s9, s9, s8
	s_waitcnt lgkmcnt(0)
	s_ashr_i32 s11, s2, 31
	s_mov_b32 s10, s2
	s_mul_i32 s2, s8, s5
	s_mul_hi_u32 s5, s8, s4
	s_add_i32 s5, s5, s2
	s_mul_i32 s4, s8, s4
	s_lshl_b64 s[4:5], s[4:5], 2
	s_add_u32 s2, s0, s4
	s_addc_u32 s4, s1, s5
	s_lshl_b64 s[0:1], s[10:11], 2
	s_add_u32 s2, s2, s0
	s_mul_hi_u32 s0, s13, s8
	s_mul_i32 s5, s13, s8
	s_addc_u32 s4, s4, s1
	s_add_i32 s0, s0, s9
	s_mul_i32 s1, s5, s15
	s_mul_hi_u32 s8, s5, s14
	s_add_i32 s1, s8, s1
	s_mul_i32 s0, s0, s14
	s_add_i32 s1, s1, s0
	s_mul_i32 s0, s5, s14
	s_lshl_b64 s[0:1], s[0:1], 2
	s_add_u32 s5, s6, s0
	s_addc_u32 s6, s7, s1
	s_cmp_eq_u32 s12, 0
	s_cselect_b32 s0, s3, s13
	v_mad_u64_u32 v[2:3], s[0:1], v1, s0, v[0:1]
	v_mov_b32_e32 v3, 0
	s_cselect_b32 s7, s4, s6
	s_cselect_b32 s8, s2, s5
	v_lshlrev_b64 v[4:5], 2, v[2:3]
	v_mov_b32_e32 v2, s7
	v_add_co_u32_e32 v4, vcc, s8, v4
	v_addc_co_u32_e32 v5, vcc, v2, v5, vcc
	global_load_dword v2, v[4:5], off
	s_cselect_b32 s0, s13, s3
	v_mad_u64_u32 v[0:1], s[0:1], v1, s0, v[0:1]
	v_mov_b32_e32 v1, v3
	s_cselect_b32 s3, s6, s4
	s_cselect_b32 s2, s5, s2
	v_lshlrev_b64 v[0:1], 2, v[0:1]
	v_mov_b32_e32 v3, s3
	v_add_co_u32_e32 v0, vcc, s2, v0
	v_addc_co_u32_e32 v1, vcc, v3, v1, vcc
	s_waitcnt vmcnt(0)
	global_store_dword v[0:1], v2, off
.LBB11_14:
	s_endpgm
	.section	.rodata,"a",@progbits
	.p2align	6, 0x0
	.amdhsa_kernel _ZN9rocsolver6v33100L8copy_matIfPfNS0_7no_maskEEEvNS0_17copymat_directionEiiT0_iilPT_T1_13rocblas_fill_17rocblas_diagonal_
		.amdhsa_group_segment_fixed_size 0
		.amdhsa_private_segment_fixed_size 0
		.amdhsa_kernarg_size 320
		.amdhsa_user_sgpr_count 6
		.amdhsa_user_sgpr_private_segment_buffer 1
		.amdhsa_user_sgpr_dispatch_ptr 0
		.amdhsa_user_sgpr_queue_ptr 0
		.amdhsa_user_sgpr_kernarg_segment_ptr 1
		.amdhsa_user_sgpr_dispatch_id 0
		.amdhsa_user_sgpr_flat_scratch_init 0
		.amdhsa_user_sgpr_kernarg_preload_length 0
		.amdhsa_user_sgpr_kernarg_preload_offset 0
		.amdhsa_user_sgpr_private_segment_size 0
		.amdhsa_uses_dynamic_stack 0
		.amdhsa_system_sgpr_private_segment_wavefront_offset 0
		.amdhsa_system_sgpr_workgroup_id_x 1
		.amdhsa_system_sgpr_workgroup_id_y 1
		.amdhsa_system_sgpr_workgroup_id_z 1
		.amdhsa_system_sgpr_workgroup_info 0
		.amdhsa_system_vgpr_workitem_id 1
		.amdhsa_next_free_vgpr 6
		.amdhsa_next_free_sgpr 18
		.amdhsa_accum_offset 8
		.amdhsa_reserve_vcc 1
		.amdhsa_reserve_flat_scratch 0
		.amdhsa_float_round_mode_32 0
		.amdhsa_float_round_mode_16_64 0
		.amdhsa_float_denorm_mode_32 3
		.amdhsa_float_denorm_mode_16_64 3
		.amdhsa_dx10_clamp 1
		.amdhsa_ieee_mode 1
		.amdhsa_fp16_overflow 0
		.amdhsa_tg_split 0
		.amdhsa_exception_fp_ieee_invalid_op 0
		.amdhsa_exception_fp_denorm_src 0
		.amdhsa_exception_fp_ieee_div_zero 0
		.amdhsa_exception_fp_ieee_overflow 0
		.amdhsa_exception_fp_ieee_underflow 0
		.amdhsa_exception_fp_ieee_inexact 0
		.amdhsa_exception_int_div_zero 0
	.end_amdhsa_kernel
	.section	.text._ZN9rocsolver6v33100L8copy_matIfPfNS0_7no_maskEEEvNS0_17copymat_directionEiiT0_iilPT_T1_13rocblas_fill_17rocblas_diagonal_,"axG",@progbits,_ZN9rocsolver6v33100L8copy_matIfPfNS0_7no_maskEEEvNS0_17copymat_directionEiiT0_iilPT_T1_13rocblas_fill_17rocblas_diagonal_,comdat
.Lfunc_end11:
	.size	_ZN9rocsolver6v33100L8copy_matIfPfNS0_7no_maskEEEvNS0_17copymat_directionEiiT0_iilPT_T1_13rocblas_fill_17rocblas_diagonal_, .Lfunc_end11-_ZN9rocsolver6v33100L8copy_matIfPfNS0_7no_maskEEEvNS0_17copymat_directionEiiT0_iilPT_T1_13rocblas_fill_17rocblas_diagonal_
                                        ; -- End function
	.section	.AMDGPU.csdata,"",@progbits
; Kernel info:
; codeLenInByte = 520
; NumSgprs: 22
; NumVgprs: 6
; NumAgprs: 0
; TotalNumVgprs: 6
; ScratchSize: 0
; MemoryBound: 0
; FloatMode: 240
; IeeeMode: 1
; LDSByteSize: 0 bytes/workgroup (compile time only)
; SGPRBlocks: 2
; VGPRBlocks: 0
; NumSGPRsForWavesPerEU: 22
; NumVGPRsForWavesPerEU: 6
; AccumOffset: 8
; Occupancy: 8
; WaveLimiterHint : 0
; COMPUTE_PGM_RSRC2:SCRATCH_EN: 0
; COMPUTE_PGM_RSRC2:USER_SGPR: 6
; COMPUTE_PGM_RSRC2:TRAP_HANDLER: 0
; COMPUTE_PGM_RSRC2:TGID_X_EN: 1
; COMPUTE_PGM_RSRC2:TGID_Y_EN: 1
; COMPUTE_PGM_RSRC2:TGID_Z_EN: 1
; COMPUTE_PGM_RSRC2:TIDIG_COMP_CNT: 1
; COMPUTE_PGM_RSRC3_GFX90A:ACCUM_OFFSET: 1
; COMPUTE_PGM_RSRC3_GFX90A:TG_SPLIT: 0
	.section	.text._ZN9rocsolver6v33100L26latrd_lower_updateA_kernelIfPfEEviiT0_iilPT_iil,"axG",@progbits,_ZN9rocsolver6v33100L26latrd_lower_updateA_kernelIfPfEEviiT0_iilPT_iil,comdat
	.globl	_ZN9rocsolver6v33100L26latrd_lower_updateA_kernelIfPfEEviiT0_iilPT_iil ; -- Begin function _ZN9rocsolver6v33100L26latrd_lower_updateA_kernelIfPfEEviiT0_iilPT_iil
	.p2align	8
	.type	_ZN9rocsolver6v33100L26latrd_lower_updateA_kernelIfPfEEviiT0_iilPT_iil,@function
_ZN9rocsolver6v33100L26latrd_lower_updateA_kernelIfPfEEviiT0_iilPT_iil: ; @_ZN9rocsolver6v33100L26latrd_lower_updateA_kernelIfPfEEviiT0_iilPT_iil
; %bb.0:
	s_load_dword s0, s[4:5], 0x44
	s_load_dwordx2 s[24:25], s[4:5], 0x38
	s_load_dwordx2 s[10:11], s[4:5], 0x0
	s_mov_b32 s28, 0
	s_waitcnt lgkmcnt(0)
	s_and_b32 s26, s0, 0xffff
	v_cvt_f32_u32_e32 v1, s26
	s_sub_i32 s2, 0, s26
	s_sub_i32 s10, s10, s11
	s_add_i32 s1, s10, -1
	v_rcp_iflag_f32_e32 v1, v1
	s_ashr_i32 s3, s1, 31
	s_abs_i32 s1, s1
	v_mul_f32_e32 v1, 0x4f7ffffe, v1
	v_cvt_u32_f32_e32 v1, v1
	v_readfirstlane_b32 s9, v1
	s_mul_i32 s2, s2, s9
	s_mul_hi_u32 s2, s9, s2
	s_add_i32 s9, s9, s2
	s_mul_hi_u32 s2, s1, s9
	s_mul_i32 s9, s2, s26
	s_sub_i32 s1, s1, s9
	s_add_i32 s12, s2, 1
	s_sub_i32 s9, s1, s26
	s_cmp_ge_u32 s1, s26
	s_cselect_b32 s2, s12, s2
	s_cselect_b32 s1, s9, s1
	s_add_i32 s9, s2, 1
	s_cmp_ge_u32 s1, s26
	s_cselect_b32 s1, s9, s2
	s_abs_i32 s2, s24
	v_cvt_f32_u32_e32 v1, s2
	s_sub_i32 s9, 0, s2
	s_xor_b32 s1, s1, s3
	s_sub_i32 s1, s1, s3
	v_rcp_iflag_f32_e32 v1, v1
	s_xor_b32 s3, s1, s24
	s_abs_i32 s1, s1
	s_ashr_i32 s3, s3, 31
	v_mul_f32_e32 v1, 0x4f7ffffe, v1
	v_cvt_u32_f32_e32 v1, v1
	v_readfirstlane_b32 s12, v1
	s_mul_i32 s9, s9, s12
	s_mul_hi_u32 s9, s12, s9
	s_add_i32 s12, s12, s9
	s_mul_hi_u32 s9, s1, s12
	s_mul_i32 s12, s9, s2
	s_sub_i32 s1, s1, s12
	s_add_i32 s13, s9, 1
	s_sub_i32 s12, s1, s2
	s_cmp_ge_u32 s1, s2
	s_cselect_b32 s9, s13, s9
	s_cselect_b32 s1, s12, s1
	s_add_i32 s12, s9, 1
	s_cmp_ge_u32 s1, s2
	s_cselect_b32 s1, s12, s9
	s_xor_b32 s1, s1, s3
	s_sub_i32 s27, s1, s3
	s_cmp_lt_i32 s27, 0
	s_cbranch_scc1 .LBB12_20
; %bb.1:
	s_load_dwordx8 s[12:19], s[4:5], 0x8
	s_load_dwordx4 s[20:23], s[4:5], 0x28
	s_ashr_i32 s4, s8, 31
	s_lshr_b32 s29, s0, 16
	v_and_b32_e32 v6, 0x3ff, v0
	s_waitcnt lgkmcnt(0)
	s_mul_i32 s2, s8, s17
	s_mul_hi_u32 s3, s8, s16
	s_add_i32 s2, s3, s2
	s_mul_i32 s3, s4, s16
	s_add_i32 s3, s2, s3
	s_mul_i32 s2, s8, s16
	s_ashr_i32 s1, s14, 31
	s_lshl_b64 s[2:3], s[2:3], 2
	s_mov_b32 s0, s14
	s_add_u32 s2, s12, s2
	s_addc_u32 s3, s13, s3
	s_lshl_b64 s[0:1], s[0:1], 2
	s_add_u32 s5, s2, s0
	s_addc_u32 s9, s3, s1
	s_mul_i32 s2, s8, s23
	s_mul_hi_u32 s3, s8, s22
	s_add_i32 s2, s3, s2
	s_mul_i32 s4, s4, s22
	s_add_i32 s3, s2, s4
	s_mul_i32 s2, s8, s22
	s_ashr_i32 s1, s20, 31
	s_lshl_b64 s[2:3], s[2:3], 2
	s_mov_b32 s0, s20
	s_add_u32 s2, s18, s2
	v_bfe_u32 v7, v0, 10, 10
	s_addc_u32 s3, s19, s3
	s_lshl_b64 s[0:1], s[0:1], 2
	v_cvt_f32_u32_e32 v0, s29
	s_add_u32 s4, s2, s0
	s_addc_u32 s8, s3, s1
	s_ashr_i32 s1, s11, 31
	s_ashr_i32 s2, s15, 31
	s_add_u32 s12, s15, 1
	s_addc_u32 s2, s2, 0
	s_mul_i32 s3, s12, s1
	s_mul_hi_u32 s13, s12, s11
	v_rcp_iflag_f32_e32 v0, v0
	s_add_i32 s3, s13, s3
	s_mul_i32 s2, s2, s11
	s_add_i32 s3, s3, s2
	s_mul_i32 s2, s12, s11
	s_lshl_b64 s[2:3], s[2:3], 2
	s_mov_b32 s0, s11
	s_add_u32 s18, s5, s2
	v_mul_f32_e32 v0, 0x4f7ffffe, v0
	s_addc_u32 s19, s9, s3
	s_lshl_b64 s[0:1], s[0:1], 2
	v_cvt_u32_f32_e32 v0, v0
	s_add_u32 s20, s5, s0
	s_addc_u32 s22, s9, s1
	s_add_u32 s23, s4, s0
	s_addc_u32 s30, s8, s1
	s_sub_i32 s2, 0, s29
	v_readfirstlane_b32 s3, v0
	s_mul_i32 s2, s2, s3
	s_add_i32 s0, s11, -1
	s_mul_hi_u32 s2, s3, s2
	s_ashr_i32 s1, s0, 31
	s_abs_i32 s0, s0
	s_add_i32 s3, s3, s2
	s_mul_hi_u32 s2, s0, s3
	s_mul_i32 s3, s2, s29
	s_sub_i32 s0, s0, s3
	s_add_i32 s3, s2, 1
	s_sub_i32 s4, s0, s29
	s_cmp_ge_u32 s0, s29
	s_cselect_b32 s2, s3, s2
	s_cselect_b32 s0, s4, s0
	s_add_i32 s3, s2, 1
	s_cmp_ge_u32 s0, s29
	s_cselect_b32 s0, s3, s2
	s_abs_i32 s2, s25
	v_cvt_f32_u32_e32 v0, s2
	s_sub_i32 s3, 0, s2
	s_xor_b32 s0, s0, s1
	s_sub_i32 s0, s0, s1
	v_rcp_iflag_f32_e32 v0, v0
	s_xor_b32 s1, s0, s25
	s_abs_i32 s0, s0
	s_ashr_i32 s1, s1, 31
	v_mul_f32_e32 v0, 0x4f7ffffe, v0
	v_cvt_u32_f32_e32 v0, v0
	s_mul_i32 s7, s7, s29
	v_add_u32_e32 v8, s7, v7
	s_mul_i32 s31, s25, s29
	v_readfirstlane_b32 s4, v0
	s_mul_i32 s3, s3, s4
	s_mul_hi_u32 s3, s4, s3
	s_add_i32 s4, s4, s3
	s_mul_hi_u32 s3, s0, s4
	s_mul_i32 s4, s3, s2
	s_sub_i32 s0, s0, s4
	s_add_i32 s4, s3, 1
	s_sub_i32 s5, s0, s2
	s_cmp_ge_u32 s0, s2
	s_cselect_b32 s3, s4, s3
	s_cselect_b32 s0, s5, s0
	s_add_i32 s4, s3, 1
	s_cmp_ge_u32 s0, s2
	s_cselect_b32 s0, s4, s3
	s_xor_b32 s0, s0, s1
	s_sub_i32 s7, s0, s1
	s_cmp_gt_i32 s7, -1
	v_mul_u32_u24_e32 v0, s26, v7
	v_lshl_add_u32 v9, v6, 2, 0
	s_mul_i32 s4, s6, s26
	v_cmp_eq_u32_e64 s[0:1], 0, v8
	v_lshl_add_u32 v10, v0, 2, v9
	v_cmp_eq_u32_e64 s[2:3], 0, v7
	s_cselect_b64 s[12:13], -1, 0
	s_add_i32 s7, s7, 1
	v_add_u32_e32 v11, s4, v6
	s_mul_i32 s25, s24, s26
	v_mul_lo_u32 v12, s15, v8
	s_mul_i32 s33, s31, s15
	v_mul_lo_u32 v13, s21, v8
	s_mul_i32 s21, s31, s21
	v_cmp_gt_u16_e64 s[14:15], s29, 1
	s_branch .LBB12_3
.LBB12_2:                               ;   in Loop: Header=BB12_3 Depth=1
	s_or_b64 exec, exec, s[4:5]
	s_add_i32 s4, s28, 1
	v_add_u32_e32 v11, s25, v11
	s_cmp_eq_u32 s28, s27
	s_mov_b32 s28, s4
	s_cbranch_scc1 .LBB12_20
.LBB12_3:                               ; =>This Loop Header: Depth=1
                                        ;     Child Loop BB12_12 Depth 2
                                        ;     Child Loop BB12_9 Depth 2
	s_mul_i32 s4, s28, s24
	s_add_i32 s4, s4, s6
	s_mul_i32 s4, s4, s26
	v_add_u32_e32 v0, s4, v6
	v_cmp_gt_i32_e64 s[4:5], s10, v0
	s_and_b64 s[16:17], s[0:1], s[4:5]
	v_mov_b32_e32 v14, 0
	v_ashrrev_i32_e32 v1, 31, v0
	s_and_saveexec_b64 s[8:9], s[16:17]
	s_cbranch_execz .LBB12_5
; %bb.4:                                ;   in Loop: Header=BB12_3 Depth=1
	v_lshlrev_b64 v[2:3], 2, v[0:1]
	v_mov_b32_e32 v4, s19
	v_add_co_u32_e32 v2, vcc, s18, v2
	v_addc_co_u32_e32 v3, vcc, v4, v3, vcc
	global_load_dword v14, v[2:3], off
.LBB12_5:                               ;   in Loop: Header=BB12_3 Depth=1
	s_or_b64 exec, exec, s[8:9]
	s_andn2_b64 vcc, exec, s[12:13]
	v_mov_b32_e32 v15, v8
	v_mov_b32_e32 v2, v13
	v_mov_b32_e32 v4, v12
	s_mov_b32 s34, s7
	s_cbranch_vccz .LBB12_12
.LBB12_6:                               ;   in Loop: Header=BB12_3 Depth=1
	s_andn2_b64 vcc, exec, s[14:15]
	s_mov_b32 s16, s29
	s_waitcnt vmcnt(0)
	ds_write_b32 v10, v14
	s_waitcnt lgkmcnt(0)
	s_barrier
	s_cbranch_vccnz .LBB12_18
; %bb.7:                                ;   in Loop: Header=BB12_3 Depth=1
	s_lshr_b32 s17, s16, 1
	v_cmp_gt_u32_e32 vcc, s17, v7
	s_and_saveexec_b64 s[8:9], vcc
	s_cbranch_execz .LBB12_9
.LBB12_8:                               ;   in Loop: Header=BB12_3 Depth=1
	v_add_u32_e32 v2, s17, v7
	v_mul_u32_u24_e32 v2, s26, v2
	v_lshl_add_u32 v2, v2, 2, v9
	ds_read_b32 v2, v2
	s_waitcnt lgkmcnt(0)
	v_add_f32_e32 v14, v14, v2
	ds_write_b32 v10, v14
.LBB12_9:                               ;   Parent Loop BB12_3 Depth=1
                                        ; =>  This Inner Loop Header: Depth=2
	s_or_b64 exec, exec, s[8:9]
	s_cmp_lt_u32 s16, 4
	s_waitcnt lgkmcnt(0)
	s_barrier
	s_cbranch_scc1 .LBB12_18
; %bb.10:                               ;   in Loop: Header=BB12_9 Depth=2
	s_mov_b32 s16, s17
	s_lshr_b32 s17, s16, 1
	v_cmp_gt_u32_e32 vcc, s17, v7
	s_and_saveexec_b64 s[8:9], vcc
	s_cbranch_execnz .LBB12_8
	s_branch .LBB12_9
.LBB12_11:                              ;   in Loop: Header=BB12_12 Depth=2
	s_or_b64 exec, exec, s[8:9]
	s_add_i32 s34, s34, -1
	v_add_u32_e32 v4, s33, v4
	v_add_u32_e32 v2, s21, v2
	s_cmp_eq_u32 s34, 0
	v_add_u32_e32 v15, s31, v15
	s_cbranch_scc1 .LBB12_6
.LBB12_12:                              ;   Parent Loop BB12_3 Depth=1
                                        ; =>  This Inner Loop Header: Depth=2
	v_cmp_gt_i32_e32 vcc, s11, v15
	s_waitcnt vmcnt(0)
	v_mov_b32_e32 v5, 0
	v_mov_b32_e32 v3, 0
	s_and_saveexec_b64 s[16:17], vcc
	s_cbranch_execnz .LBB12_15
; %bb.13:                               ;   in Loop: Header=BB12_12 Depth=2
	s_or_b64 exec, exec, s[16:17]
	s_and_saveexec_b64 s[16:17], vcc
	s_cbranch_execnz .LBB12_16
.LBB12_14:                              ;   in Loop: Header=BB12_12 Depth=2
	s_or_b64 exec, exec, s[16:17]
	s_and_b64 s[16:17], s[4:5], vcc
	s_and_saveexec_b64 s[8:9], s[16:17]
	s_cbranch_execz .LBB12_11
	s_branch .LBB12_17
.LBB12_15:                              ;   in Loop: Header=BB12_12 Depth=2
	v_ashrrev_i32_e32 v3, 31, v2
	v_lshlrev_b64 v[16:17], 2, v[2:3]
	v_mov_b32_e32 v3, s30
	v_add_co_u32_e64 v16, s[8:9], s23, v16
	v_addc_co_u32_e64 v17, s[8:9], v3, v17, s[8:9]
	global_load_dword v3, v[16:17], off
	s_or_b64 exec, exec, s[16:17]
	s_and_saveexec_b64 s[16:17], vcc
	s_cbranch_execz .LBB12_14
.LBB12_16:                              ;   in Loop: Header=BB12_12 Depth=2
	v_ashrrev_i32_e32 v5, 31, v4
	v_lshlrev_b64 v[16:17], 2, v[4:5]
	v_mov_b32_e32 v5, s22
	v_add_co_u32_e64 v16, s[8:9], s20, v16
	v_addc_co_u32_e64 v17, s[8:9], v5, v17, s[8:9]
	global_load_dword v5, v[16:17], off
	s_or_b64 exec, exec, s[16:17]
	s_and_b64 s[16:17], s[4:5], vcc
	s_and_saveexec_b64 s[8:9], s[16:17]
	s_cbranch_execz .LBB12_11
.LBB12_17:                              ;   in Loop: Header=BB12_12 Depth=2
	v_add_u32_e32 v16, v11, v4
	v_ashrrev_i32_e32 v17, 31, v16
	v_lshlrev_b64 v[16:17], 2, v[16:17]
	v_mov_b32_e32 v18, s22
	v_add_co_u32_e32 v16, vcc, s20, v16
	v_addc_co_u32_e32 v17, vcc, v18, v17, vcc
	v_add_u32_e32 v18, v11, v2
	v_ashrrev_i32_e32 v19, 31, v18
	v_lshlrev_b64 v[18:19], 2, v[18:19]
	v_mov_b32_e32 v20, s30
	v_add_co_u32_e32 v18, vcc, s23, v18
	v_addc_co_u32_e32 v19, vcc, v20, v19, vcc
	global_load_dword v20, v[18:19], off
	global_load_dword v21, v[16:17], off
	s_waitcnt vmcnt(1)
	v_mul_f32_e32 v5, v5, v20
	s_waitcnt vmcnt(0)
	v_fmac_f32_e32 v5, v3, v21
	v_sub_f32_e32 v14, v14, v5
	s_branch .LBB12_11
.LBB12_18:                              ;   in Loop: Header=BB12_3 Depth=1
	s_and_b64 s[8:9], s[2:3], s[4:5]
	s_and_saveexec_b64 s[4:5], s[8:9]
	s_cbranch_execz .LBB12_2
; %bb.19:                               ;   in Loop: Header=BB12_3 Depth=1
	v_lshlrev_b64 v[0:1], 2, v[0:1]
	v_mov_b32_e32 v2, s19
	v_add_co_u32_e32 v0, vcc, s18, v0
	v_addc_co_u32_e32 v1, vcc, v2, v1, vcc
	global_store_dword v[0:1], v14, off
	s_branch .LBB12_2
.LBB12_20:
	s_endpgm
	.section	.rodata,"a",@progbits
	.p2align	6, 0x0
	.amdhsa_kernel _ZN9rocsolver6v33100L26latrd_lower_updateA_kernelIfPfEEviiT0_iilPT_iil
		.amdhsa_group_segment_fixed_size 0
		.amdhsa_private_segment_fixed_size 0
		.amdhsa_kernarg_size 312
		.amdhsa_user_sgpr_count 6
		.amdhsa_user_sgpr_private_segment_buffer 1
		.amdhsa_user_sgpr_dispatch_ptr 0
		.amdhsa_user_sgpr_queue_ptr 0
		.amdhsa_user_sgpr_kernarg_segment_ptr 1
		.amdhsa_user_sgpr_dispatch_id 0
		.amdhsa_user_sgpr_flat_scratch_init 0
		.amdhsa_user_sgpr_kernarg_preload_length 0
		.amdhsa_user_sgpr_kernarg_preload_offset 0
		.amdhsa_user_sgpr_private_segment_size 0
		.amdhsa_uses_dynamic_stack 0
		.amdhsa_system_sgpr_private_segment_wavefront_offset 0
		.amdhsa_system_sgpr_workgroup_id_x 1
		.amdhsa_system_sgpr_workgroup_id_y 1
		.amdhsa_system_sgpr_workgroup_id_z 1
		.amdhsa_system_sgpr_workgroup_info 0
		.amdhsa_system_vgpr_workitem_id 1
		.amdhsa_next_free_vgpr 22
		.amdhsa_next_free_sgpr 35
		.amdhsa_accum_offset 24
		.amdhsa_reserve_vcc 1
		.amdhsa_reserve_flat_scratch 0
		.amdhsa_float_round_mode_32 0
		.amdhsa_float_round_mode_16_64 0
		.amdhsa_float_denorm_mode_32 3
		.amdhsa_float_denorm_mode_16_64 3
		.amdhsa_dx10_clamp 1
		.amdhsa_ieee_mode 1
		.amdhsa_fp16_overflow 0
		.amdhsa_tg_split 0
		.amdhsa_exception_fp_ieee_invalid_op 0
		.amdhsa_exception_fp_denorm_src 0
		.amdhsa_exception_fp_ieee_div_zero 0
		.amdhsa_exception_fp_ieee_overflow 0
		.amdhsa_exception_fp_ieee_underflow 0
		.amdhsa_exception_fp_ieee_inexact 0
		.amdhsa_exception_int_div_zero 0
	.end_amdhsa_kernel
	.section	.text._ZN9rocsolver6v33100L26latrd_lower_updateA_kernelIfPfEEviiT0_iilPT_iil,"axG",@progbits,_ZN9rocsolver6v33100L26latrd_lower_updateA_kernelIfPfEEviiT0_iilPT_iil,comdat
.Lfunc_end12:
	.size	_ZN9rocsolver6v33100L26latrd_lower_updateA_kernelIfPfEEviiT0_iilPT_iil, .Lfunc_end12-_ZN9rocsolver6v33100L26latrd_lower_updateA_kernelIfPfEEviiT0_iilPT_iil
                                        ; -- End function
	.section	.AMDGPU.csdata,"",@progbits
; Kernel info:
; codeLenInByte = 1408
; NumSgprs: 39
; NumVgprs: 22
; NumAgprs: 0
; TotalNumVgprs: 22
; ScratchSize: 0
; MemoryBound: 0
; FloatMode: 240
; IeeeMode: 1
; LDSByteSize: 0 bytes/workgroup (compile time only)
; SGPRBlocks: 4
; VGPRBlocks: 2
; NumSGPRsForWavesPerEU: 39
; NumVGPRsForWavesPerEU: 22
; AccumOffset: 24
; Occupancy: 8
; WaveLimiterHint : 0
; COMPUTE_PGM_RSRC2:SCRATCH_EN: 0
; COMPUTE_PGM_RSRC2:USER_SGPR: 6
; COMPUTE_PGM_RSRC2:TRAP_HANDLER: 0
; COMPUTE_PGM_RSRC2:TGID_X_EN: 1
; COMPUTE_PGM_RSRC2:TGID_Y_EN: 1
; COMPUTE_PGM_RSRC2:TGID_Z_EN: 1
; COMPUTE_PGM_RSRC2:TIDIG_COMP_CNT: 1
; COMPUTE_PGM_RSRC3_GFX90A:ACCUM_OFFSET: 5
; COMPUTE_PGM_RSRC3_GFX90A:TG_SPLIT: 0
	.section	.text._ZN9rocsolver6v33100L33latrd_lower_computeW_gemvt_kernelILi256EfPfEEviiT1_iilPT0_iilS5_iilS5_l,"axG",@progbits,_ZN9rocsolver6v33100L33latrd_lower_computeW_gemvt_kernelILi256EfPfEEviiT1_iilPT0_iilS5_iilS5_l,comdat
	.globl	_ZN9rocsolver6v33100L33latrd_lower_computeW_gemvt_kernelILi256EfPfEEviiT1_iilPT0_iilS5_iilS5_l ; -- Begin function _ZN9rocsolver6v33100L33latrd_lower_computeW_gemvt_kernelILi256EfPfEEviiT1_iilPT0_iilS5_iilS5_l
	.p2align	8
	.type	_ZN9rocsolver6v33100L33latrd_lower_computeW_gemvt_kernelILi256EfPfEEviiT1_iilPT0_iilS5_iilS5_l,@function
_ZN9rocsolver6v33100L33latrd_lower_computeW_gemvt_kernelILi256EfPfEEviiT1_iilPT0_iilS5_iilS5_l: ; @_ZN9rocsolver6v33100L33latrd_lower_computeW_gemvt_kernelILi256EfPfEEviiT1_iilPT0_iilS5_iilS5_l
; %bb.0:
	s_load_dwordx2 s[24:25], s[4:5], 0x0
	s_load_dwordx4 s[0:3], s[4:5], 0x30
	s_ashr_i32 s26, s7, 31
	s_waitcnt lgkmcnt(0)
	s_cmp_lt_i32 s6, s25
	s_cselect_b64 s[18:19], -1, 0
	s_and_b64 s[8:9], s[18:19], exec
	s_cselect_b32 s8, 0, s25
	s_sub_i32 s16, s6, s8
	s_ashr_i32 s17, s16, 31
	s_cmp_eq_u32 s16, s25
	s_cbranch_scc1 .LBB13_12
; %bb.1:
	s_load_dwordx8 s[8:15], s[4:5], 0x8
	s_load_dwordx2 s[28:29], s[4:5], 0x28
	s_mul_i32 s1, s7, s1
	s_waitcnt lgkmcnt(0)
	s_ashr_i32 s23, s10, 31
	s_mov_b32 s22, s10
	s_mul_i32 s6, s7, s13
	s_mul_hi_u32 s10, s7, s12
	s_add_i32 s6, s10, s6
	s_mul_i32 s10, s26, s12
	s_add_i32 s13, s6, s10
	s_mul_i32 s12, s7, s12
	s_lshl_b64 s[20:21], s[12:13], 2
	s_add_u32 s6, s8, s20
	s_addc_u32 s10, s9, s21
	s_lshl_b64 s[22:23], s[22:23], 2
	s_add_u32 s6, s6, s22
	s_addc_u32 s27, s10, s23
	s_mul_hi_u32 s10, s7, s0
	s_add_i32 s1, s10, s1
	s_mul_i32 s10, s26, s0
	s_add_i32 s1, s1, s10
	s_mul_i32 s0, s7, s0
	s_ashr_i32 s13, s28, 31
	s_lshl_b64 s[0:1], s[0:1], 2
	s_mov_b32 s12, s28
	s_add_u32 s10, s14, s0
	s_addc_u32 s14, s15, s1
	s_lshl_b64 s[0:1], s[12:13], 2
	s_add_u32 s10, s10, s0
	s_addc_u32 s28, s14, s1
	s_not_b32 s0, s25
	s_add_i32 s24, s0, s24
	s_ashr_i32 s1, s11, 31
	s_ashr_i32 s15, s25, 31
	s_mov_b32 s14, s25
	s_and_b64 s[12:13], s[18:19], exec
	s_cselect_b32 s25, s28, s27
	s_cselect_b32 s10, s10, s6
	s_lshl_b64 s[12:13], s[14:15], 2
	s_add_u32 s10, s10, s12
	s_addc_u32 s25, s25, s13
	s_and_b64 s[30:31], s[18:19], exec
	s_cselect_b32 s28, s29, s11
	s_mul_hi_i32 s29, s28, s16
	s_mul_i32 s28, s28, s16
	s_lshl_b64 s[28:29], s[28:29], 2
	s_add_u32 s28, s28, s10
	s_addc_u32 s10, s29, s25
	v_cmp_gt_i32_e32 vcc, s24, v0
	v_mov_b32_e32 v3, s10
	s_ashr_i32 s10, s24, 31
	v_cndmask_b32_e32 v1, 0, v0, vcc
	s_lshr_b32 s10, s10, 24
	v_lshlrev_b32_e32 v2, 2, v1
	s_add_i32 s10, s24, s10
	s_and_b32 s10, s10, 0xffffff00
	v_add_co_u32_e32 v6, vcc, s28, v2
	s_mov_b32 s0, s11
	s_mov_b32 s11, 0
	v_mov_b32_e32 v1, 0
	s_cmpk_lt_i32 s24, 0x100
	v_addc_co_u32_e32 v7, vcc, 0, v3, vcc
	s_cbranch_scc1 .LBB13_4
; %bb.2:
	s_lshl_b64 s[28:29], s[0:1], 2
	s_add_u32 s1, s28, 4
	s_addc_u32 s25, s29, 0
	s_mul_i32 s15, s1, s15
	s_mul_hi_u32 s28, s1, s14
	s_add_i32 s15, s28, s15
	s_mul_i32 s25, s25, s14
	s_add_i32 s15, s15, s25
	s_mul_i32 s1, s1, s14
	s_add_u32 s1, s20, s1
	s_addc_u32 s15, s21, s15
	s_add_u32 s1, s1, s22
	s_addc_u32 s15, s15, s23
	v_add_co_u32_e32 v2, vcc, 4, v6
	s_add_u32 s1, s8, s1
	v_addc_co_u32_e32 v3, vcc, 0, v7, vcc
	v_lshlrev_b32_e32 v4, 2, v0
	s_addc_u32 s8, s9, s15
	v_mov_b32_e32 v5, s8
	v_add_co_u32_e32 v4, vcc, s1, v4
	v_addc_co_u32_e32 v5, vcc, 0, v5, vcc
	v_add_co_u32_e32 v4, vcc, 4, v4
	v_mov_b32_e32 v1, 0
	v_addc_co_u32_e32 v5, vcc, 0, v5, vcc
.LBB13_3:                               ; =>This Inner Loop Header: Depth=1
	global_load_dword v8, v[2:3], off
	global_load_dword v9, v[4:5], off
	v_add_co_u32_e32 v4, vcc, 0x400, v4
	v_addc_co_u32_e32 v5, vcc, 0, v5, vcc
	s_addk_i32 s11, 0x100
	v_add_co_u32_e32 v2, vcc, 0x400, v2
	s_cmp_ge_i32 s11, s10
	v_addc_co_u32_e32 v3, vcc, 0, v3, vcc
	s_waitcnt vmcnt(0)
	v_fmac_f32_e32 v1, v8, v9
	s_cbranch_scc0 .LBB13_3
.LBB13_4:
	v_add_u32_e32 v2, s10, v0
	v_cmp_gt_i32_e32 vcc, s24, v2
	s_and_saveexec_b64 s[8:9], vcc
	s_cbranch_execz .LBB13_6
; %bb.5:
	s_mul_hi_i32 s1, s0, s14
	s_mul_i32 s0, s0, s14
	s_lshl_b64 s[0:1], s[0:1], 2
	s_add_u32 s0, s6, s0
	s_addc_u32 s1, s27, s1
	s_add_u32 s0, s0, s12
	v_ashrrev_i32_e32 v3, 31, v2
	s_addc_u32 s1, s1, s13
	v_lshlrev_b64 v[2:3], 2, v[2:3]
	v_mov_b32_e32 v4, s1
	v_add_co_u32_e32 v2, vcc, s0, v2
	s_ashr_i32 s11, s10, 31
	v_addc_co_u32_e32 v3, vcc, v4, v3, vcc
	s_lshl_b64 s[0:1], s[10:11], 2
	v_mov_b32_e32 v5, s1
	v_add_co_u32_e32 v4, vcc, s0, v6
	v_addc_co_u32_e32 v5, vcc, v7, v5, vcc
	global_load_dword v6, v[4:5], off offset:4
	global_load_dword v7, v[2:3], off offset:4
	s_waitcnt vmcnt(0)
	v_fmac_f32_e32 v1, v6, v7
.LBB13_6:
	s_or_b64 exec, exec, s[8:9]
	v_mbcnt_lo_u32_b32 v2, -1, 0
	v_mbcnt_hi_u32_b32 v2, -1, v2
	v_and_b32_e32 v3, 63, v2
	v_cmp_ne_u32_e32 vcc, 63, v3
	v_addc_co_u32_e32 v4, vcc, 0, v2, vcc
	v_lshlrev_b32_e32 v4, 2, v4
	ds_bpermute_b32 v4, v4, v1
	v_cmp_gt_u32_e32 vcc, 62, v3
	v_cndmask_b32_e64 v5, 0, 1, vcc
	v_cmp_gt_u32_e32 vcc, 60, v3
	s_waitcnt lgkmcnt(0)
	v_add_f32_e32 v1, v1, v4
	v_lshlrev_b32_e32 v4, 1, v5
	v_add_lshl_u32 v4, v4, v2, 2
	ds_bpermute_b32 v4, v4, v1
	v_cndmask_b32_e64 v5, 0, 1, vcc
	v_cmp_gt_u32_e32 vcc, 56, v3
	s_waitcnt lgkmcnt(0)
	v_add_f32_e32 v1, v1, v4
	v_lshlrev_b32_e32 v4, 2, v5
	v_add_lshl_u32 v4, v4, v2, 2
	ds_bpermute_b32 v4, v4, v1
	;; [unrolled: 7-line block ×3, first 2 shown]
	v_cndmask_b32_e64 v5, 0, 1, vcc
	v_cmp_gt_u32_e32 vcc, 32, v3
	v_cndmask_b32_e64 v3, 0, 1, vcc
	v_lshlrev_b32_e32 v3, 5, v3
	s_waitcnt lgkmcnt(0)
	v_add_f32_e32 v1, v1, v4
	v_lshlrev_b32_e32 v4, 4, v5
	v_add_lshl_u32 v4, v4, v2, 2
	ds_bpermute_b32 v4, v4, v1
	v_add_lshl_u32 v2, v3, v2, 2
	v_and_b32_e32 v3, 63, v0
	v_cmp_eq_u32_e32 vcc, 0, v3
	s_waitcnt lgkmcnt(0)
	v_add_f32_e32 v1, v1, v4
	ds_bpermute_b32 v2, v2, v1
	s_waitcnt lgkmcnt(0)
	v_add_f32_e32 v2, v1, v2
	s_and_saveexec_b64 s[0:1], vcc
	s_cbranch_execz .LBB13_8
; %bb.7:
	v_lshrrev_b32_e32 v1, 4, v0
	ds_write_b32 v1, v2
.LBB13_8:
	s_or_b64 exec, exec, s[0:1]
	v_cmp_eq_u32_e32 vcc, 0, v0
	s_mov_b64 s[0:1], 0
	v_mov_b32_e32 v1, 0
	s_waitcnt lgkmcnt(0)
	s_barrier
	s_and_saveexec_b64 s[8:9], vcc
	s_cbranch_execz .LBB13_10
; %bb.9:
	v_mov_b32_e32 v1, 0
	ds_read2_b32 v[4:5], v1 offset0:1 offset1:2
	ds_read_b32 v1, v1 offset:12
	s_mov_b64 s[0:1], exec
	s_waitcnt lgkmcnt(1)
	v_add_f32_e32 v2, v2, v4
	v_add_f32_e32 v2, v2, v5
	s_waitcnt lgkmcnt(0)
	v_add_f32_e32 v1, v2, v1
.LBB13_10:
	s_or_b64 exec, exec, s[8:9]
	s_and_saveexec_b64 s[8:9], s[0:1]
	s_cbranch_execnz .LBB13_13
.LBB13_11:
	s_endpgm
.LBB13_12:
	s_mov_b64 s[0:1], -1
	v_mov_b32_e32 v1, 0
	s_and_saveexec_b64 s[8:9], s[0:1]
	s_cbranch_execz .LBB13_11
.LBB13_13:
	v_cmp_eq_u32_e32 vcc, 0, v0
	s_and_b64 exec, exec, vcc
	s_cbranch_execz .LBB13_11
; %bb.14:
	s_load_dword s0, s[4:5], 0x40
	s_load_dwordx2 s[12:13], s[4:5], 0x58
	s_load_dwordx4 s[8:11], s[4:5], 0x48
	v_mov_b32_e32 v0, 0
	s_waitcnt lgkmcnt(0)
	s_ashr_i32 s1, s0, 31
	s_mul_i32 s4, s7, s13
	s_mul_hi_u32 s5, s7, s12
	s_add_i32 s4, s5, s4
	s_mul_i32 s5, s26, s12
	s_add_i32 s5, s4, s5
	s_mul_i32 s4, s7, s12
	s_lshl_b64 s[4:5], s[4:5], 2
	s_add_u32 s6, s10, s4
	s_addc_u32 s10, s11, s5
	s_mul_i32 s4, s7, s9
	s_mul_hi_u32 s5, s7, s8
	s_add_i32 s4, s5, s4
	s_mul_i32 s5, s26, s8
	s_add_i32 s5, s4, s5
	s_mul_i32 s4, s7, s8
	s_lshl_b64 s[4:5], s[4:5], 2
	s_add_u32 s2, s2, s4
	s_addc_u32 s3, s3, s5
	s_lshl_b64 s[0:1], s[0:1], 2
	s_add_u32 s2, s2, s0
	s_addc_u32 s3, s3, s1
	s_and_b64 s[0:1], s[18:19], exec
	s_cselect_b32 s3, s10, s3
	s_cselect_b32 s2, s6, s2
	s_lshl_b64 s[0:1], s[16:17], 2
	s_add_u32 s0, s2, s0
	s_addc_u32 s1, s3, s1
	global_store_dword v0, v1, s[0:1]
	s_endpgm
	.section	.rodata,"a",@progbits
	.p2align	6, 0x0
	.amdhsa_kernel _ZN9rocsolver6v33100L33latrd_lower_computeW_gemvt_kernelILi256EfPfEEviiT1_iilPT0_iilS5_iilS5_l
		.amdhsa_group_segment_fixed_size 1024
		.amdhsa_private_segment_fixed_size 0
		.amdhsa_kernarg_size 96
		.amdhsa_user_sgpr_count 6
		.amdhsa_user_sgpr_private_segment_buffer 1
		.amdhsa_user_sgpr_dispatch_ptr 0
		.amdhsa_user_sgpr_queue_ptr 0
		.amdhsa_user_sgpr_kernarg_segment_ptr 1
		.amdhsa_user_sgpr_dispatch_id 0
		.amdhsa_user_sgpr_flat_scratch_init 0
		.amdhsa_user_sgpr_kernarg_preload_length 0
		.amdhsa_user_sgpr_kernarg_preload_offset 0
		.amdhsa_user_sgpr_private_segment_size 0
		.amdhsa_uses_dynamic_stack 0
		.amdhsa_system_sgpr_private_segment_wavefront_offset 0
		.amdhsa_system_sgpr_workgroup_id_x 1
		.amdhsa_system_sgpr_workgroup_id_y 0
		.amdhsa_system_sgpr_workgroup_id_z 1
		.amdhsa_system_sgpr_workgroup_info 0
		.amdhsa_system_vgpr_workitem_id 0
		.amdhsa_next_free_vgpr 10
		.amdhsa_next_free_sgpr 32
		.amdhsa_accum_offset 12
		.amdhsa_reserve_vcc 1
		.amdhsa_reserve_flat_scratch 0
		.amdhsa_float_round_mode_32 0
		.amdhsa_float_round_mode_16_64 0
		.amdhsa_float_denorm_mode_32 3
		.amdhsa_float_denorm_mode_16_64 3
		.amdhsa_dx10_clamp 1
		.amdhsa_ieee_mode 1
		.amdhsa_fp16_overflow 0
		.amdhsa_tg_split 0
		.amdhsa_exception_fp_ieee_invalid_op 0
		.amdhsa_exception_fp_denorm_src 0
		.amdhsa_exception_fp_ieee_div_zero 0
		.amdhsa_exception_fp_ieee_overflow 0
		.amdhsa_exception_fp_ieee_underflow 0
		.amdhsa_exception_fp_ieee_inexact 0
		.amdhsa_exception_int_div_zero 0
	.end_amdhsa_kernel
	.section	.text._ZN9rocsolver6v33100L33latrd_lower_computeW_gemvt_kernelILi256EfPfEEviiT1_iilPT0_iilS5_iilS5_l,"axG",@progbits,_ZN9rocsolver6v33100L33latrd_lower_computeW_gemvt_kernelILi256EfPfEEviiT1_iilPT0_iilS5_iilS5_l,comdat
.Lfunc_end13:
	.size	_ZN9rocsolver6v33100L33latrd_lower_computeW_gemvt_kernelILi256EfPfEEviiT1_iilPT0_iilS5_iilS5_l, .Lfunc_end13-_ZN9rocsolver6v33100L33latrd_lower_computeW_gemvt_kernelILi256EfPfEEviiT1_iilPT0_iilS5_iilS5_l
                                        ; -- End function
	.section	.AMDGPU.csdata,"",@progbits
; Kernel info:
; codeLenInByte = 1148
; NumSgprs: 36
; NumVgprs: 10
; NumAgprs: 0
; TotalNumVgprs: 10
; ScratchSize: 0
; MemoryBound: 0
; FloatMode: 240
; IeeeMode: 1
; LDSByteSize: 1024 bytes/workgroup (compile time only)
; SGPRBlocks: 4
; VGPRBlocks: 1
; NumSGPRsForWavesPerEU: 36
; NumVGPRsForWavesPerEU: 10
; AccumOffset: 12
; Occupancy: 8
; WaveLimiterHint : 0
; COMPUTE_PGM_RSRC2:SCRATCH_EN: 0
; COMPUTE_PGM_RSRC2:USER_SGPR: 6
; COMPUTE_PGM_RSRC2:TRAP_HANDLER: 0
; COMPUTE_PGM_RSRC2:TGID_X_EN: 1
; COMPUTE_PGM_RSRC2:TGID_Y_EN: 0
; COMPUTE_PGM_RSRC2:TGID_Z_EN: 1
; COMPUTE_PGM_RSRC2:TIDIG_COMP_CNT: 0
; COMPUTE_PGM_RSRC3_GFX90A:ACCUM_OFFSET: 2
; COMPUTE_PGM_RSRC3_GFX90A:TG_SPLIT: 0
	.section	.text._ZN9rocsolver6v33100L26latrd_lower_updateW_kernelIfPfEEviiT0_iilPT_iilS5_lS5_l,"axG",@progbits,_ZN9rocsolver6v33100L26latrd_lower_updateW_kernelIfPfEEviiT0_iilPT_iilS5_lS5_l,comdat
	.globl	_ZN9rocsolver6v33100L26latrd_lower_updateW_kernelIfPfEEviiT0_iilPT_iilS5_lS5_l ; -- Begin function _ZN9rocsolver6v33100L26latrd_lower_updateW_kernelIfPfEEviiT0_iilPT_iilS5_lS5_l
	.p2align	8
	.type	_ZN9rocsolver6v33100L26latrd_lower_updateW_kernelIfPfEEviiT0_iilPT_iilS5_lS5_l,@function
_ZN9rocsolver6v33100L26latrd_lower_updateW_kernelIfPfEEviiT0_iilPT_iilS5_lS5_l: ; @_ZN9rocsolver6v33100L26latrd_lower_updateW_kernelIfPfEEviiT0_iilPT_iilS5_lS5_l
; %bb.0:
	s_load_dword s0, s[4:5], 0x64
	s_load_dwordx2 s[10:11], s[4:5], 0x0
	s_load_dwordx2 s[28:29], s[4:5], 0x58
	s_mov_b32 s35, 0
	s_waitcnt lgkmcnt(0)
	s_not_b32 s1, s11
	s_and_b32 s33, s0, 0xffff
	v_cvt_f32_u32_e32 v1, s33
	s_add_i32 s10, s1, s10
	s_sub_i32 s1, 0, s33
	s_add_i32 s2, s10, -1
	v_rcp_iflag_f32_e32 v1, v1
	s_ashr_i32 s3, s2, 31
	s_abs_i32 s2, s2
	v_mul_f32_e32 v1, 0x4f7ffffe, v1
	v_cvt_u32_f32_e32 v1, v1
	v_readfirstlane_b32 s9, v1
	s_mul_i32 s1, s1, s9
	s_mul_hi_u32 s1, s9, s1
	s_add_i32 s9, s9, s1
	s_mul_hi_u32 s1, s2, s9
	s_mul_i32 s9, s1, s33
	s_sub_i32 s2, s2, s9
	s_add_i32 s12, s1, 1
	s_sub_i32 s9, s2, s33
	s_cmp_ge_u32 s2, s33
	s_cselect_b32 s1, s12, s1
	s_cselect_b32 s2, s9, s2
	s_add_i32 s9, s1, 1
	s_cmp_ge_u32 s2, s33
	s_cselect_b32 s1, s9, s1
	s_abs_i32 s2, s28
	v_cvt_f32_u32_e32 v1, s2
	s_sub_i32 s9, 0, s2
	s_xor_b32 s1, s1, s3
	s_sub_i32 s1, s1, s3
	v_rcp_iflag_f32_e32 v1, v1
	s_xor_b32 s3, s1, s28
	s_abs_i32 s1, s1
	s_ashr_i32 s3, s3, 31
	v_mul_f32_e32 v1, 0x4f7ffffe, v1
	v_cvt_u32_f32_e32 v1, v1
	v_readfirstlane_b32 s12, v1
	s_mul_i32 s9, s9, s12
	s_mul_hi_u32 s9, s12, s9
	s_add_i32 s12, s12, s9
	s_mul_hi_u32 s9, s1, s12
	s_mul_i32 s12, s9, s2
	s_sub_i32 s1, s1, s12
	s_add_i32 s13, s9, 1
	s_sub_i32 s12, s1, s2
	s_cmp_ge_u32 s1, s2
	s_cselect_b32 s9, s13, s9
	s_cselect_b32 s1, s12, s1
	s_add_i32 s12, s9, 1
	s_cmp_ge_u32 s1, s2
	s_cselect_b32 s1, s12, s9
	s_xor_b32 s1, s1, s3
	s_sub_i32 s34, s1, s3
	s_cmp_lt_i32 s34, 0
	s_cbranch_scc1 .LBB14_20
; %bb.1:
	s_load_dwordx8 s[12:19], s[4:5], 0x8
	s_load_dwordx2 s[30:31], s[4:5], 0x28
	s_load_dwordx8 s[20:27], s[4:5], 0x30
	s_load_dwordx2 s[2:3], s[4:5], 0x50
	s_ashr_i32 s9, s8, 31
	s_waitcnt lgkmcnt(0)
	s_mul_i32 s4, s8, s17
	s_mul_hi_u32 s5, s8, s16
	s_add_i32 s4, s5, s4
	s_mul_i32 s5, s9, s16
	s_add_i32 s5, s4, s5
	s_mul_i32 s4, s8, s16
	s_lshr_b32 s36, s0, 16
	s_ashr_i32 s1, s14, 31
	s_lshl_b64 s[4:5], s[4:5], 2
	s_mov_b32 s0, s14
	s_add_u32 s4, s12, s4
	s_addc_u32 s5, s13, s5
	s_lshl_b64 s[0:1], s[0:1], 2
	s_add_u32 s12, s4, s0
	s_addc_u32 s13, s5, s1
	s_mul_i32 s4, s8, s21
	s_mul_hi_u32 s5, s8, s20
	s_add_i32 s4, s5, s4
	s_mul_i32 s5, s9, s20
	s_add_i32 s5, s4, s5
	s_mul_i32 s4, s8, s20
	s_ashr_i32 s1, s30, 31
	s_lshl_b64 s[4:5], s[4:5], 2
	s_mov_b32 s0, s30
	s_add_u32 s4, s18, s4
	s_addc_u32 s5, s19, s5
	s_lshl_b64 s[0:1], s[0:1], 2
	s_add_u32 s4, s4, s0
	s_addc_u32 s5, s5, s1
	s_mul_i32 s0, s8, s25
	s_mul_hi_u32 s1, s8, s24
	s_add_i32 s0, s1, s0
	s_mul_i32 s1, s9, s24
	s_add_i32 s1, s0, s1
	s_mul_i32 s0, s8, s24
	s_lshl_b64 s[0:1], s[0:1], 2
	s_add_u32 s20, s22, s0
	s_addc_u32 s21, s23, s1
	s_mul_i32 s0, s8, s3
	s_mul_hi_u32 s1, s8, s2
	s_add_i32 s0, s1, s0
	s_mul_i32 s9, s9, s2
	v_and_b32_e32 v8, 0x3ff, v0
	v_bfe_u32 v9, v0, 10, 10
	s_add_i32 s1, s0, s9
	s_mul_i32 s0, s8, s2
	v_cvt_f32_u32_e32 v0, s36
	s_lshl_b64 s[0:1], s[0:1], 2
	s_add_u32 s8, s26, s0
	s_mul_hi_i32 s3, s31, s11
	s_mul_i32 s2, s31, s11
	s_addc_u32 s9, s27, s1
	s_ashr_i32 s1, s11, 31
	s_lshl_b64 s[2:3], s[2:3], 2
	s_mov_b32 s0, s11
	s_add_u32 s22, s4, s2
	v_rcp_iflag_f32_e32 v0, v0
	s_addc_u32 s23, s5, s3
	s_lshl_b64 s[0:1], s[0:1], 2
	s_add_u32 s14, s22, s0
	s_addc_u32 s18, s23, s1
	s_add_u32 s19, s12, s0
	v_mul_f32_e32 v0, 0x4f7ffffe, v0
	s_addc_u32 s27, s13, s1
	v_cvt_u32_f32_e32 v0, v0
	s_add_u32 s4, s4, s0
	s_addc_u32 s5, s5, s1
	s_add_u32 s12, s8, s0
	s_addc_u32 s13, s9, s1
	s_sub_i32 s2, 0, s36
	v_readfirstlane_b32 s3, v0
	s_mul_i32 s2, s2, s3
	s_add_i32 s0, s11, -1
	s_mul_hi_u32 s2, s3, s2
	s_ashr_i32 s1, s0, 31
	s_abs_i32 s0, s0
	s_add_i32 s3, s3, s2
	s_mul_hi_u32 s2, s0, s3
	s_mul_i32 s3, s2, s36
	s_sub_i32 s0, s0, s3
	s_add_i32 s3, s2, 1
	s_sub_i32 s8, s0, s36
	s_cmp_ge_u32 s0, s36
	s_cselect_b32 s2, s3, s2
	s_cselect_b32 s0, s8, s0
	s_add_i32 s3, s2, 1
	s_cmp_ge_u32 s0, s36
	s_cselect_b32 s0, s3, s2
	s_abs_i32 s2, s29
	v_cvt_f32_u32_e32 v0, s2
	s_mul_i32 s7, s7, s36
	v_add_u32_e32 v10, s7, v9
	s_sub_i32 s3, 0, s2
	v_rcp_iflag_f32_e32 v0, v0
	s_xor_b32 s0, s0, s1
	s_sub_i32 s0, s0, s1
	s_xor_b32 s1, s0, s29
	v_mul_f32_e32 v0, 0x4f7ffffe, v0
	v_cvt_u32_f32_e32 v0, v0
	s_abs_i32 s0, s0
	s_ashr_i32 s1, s1, 31
	v_lshl_add_u32 v11, v8, 2, 0
	v_readfirstlane_b32 s7, v0
	s_mul_i32 s3, s3, s7
	s_mul_hi_u32 s3, s7, s3
	s_add_i32 s7, s7, s3
	s_mul_hi_u32 s3, s0, s7
	s_mul_i32 s7, s3, s2
	s_sub_i32 s0, s0, s7
	s_add_i32 s7, s3, 1
	s_sub_i32 s8, s0, s2
	s_cmp_ge_u32 s0, s2
	s_cselect_b32 s3, s7, s3
	s_cselect_b32 s0, s8, s0
	s_add_i32 s7, s3, 1
	s_cmp_ge_u32 s0, s2
	s_cselect_b32 s0, s7, s3
	s_xor_b32 s0, s0, s1
	s_sub_i32 s37, s0, s1
	s_cmp_gt_i32 s37, -1
	s_cselect_b64 s[16:17], -1, 0
	s_add_u32 s7, s14, 4
	s_addc_u32 s25, s18, 0
	s_add_u32 s26, s19, 4
	v_mul_u32_u24_e32 v0, s33, v9
	s_addc_u32 s27, s27, 0
	s_mul_i32 s24, s29, s36
	v_lshl_add_u32 v12, v0, 2, v11
	s_add_u32 s29, s4, 4
	v_mul_lo_u32 v0, s15, v10
	s_mul_i32 s4, s6, s33
	v_add3_u32 v13, v8, v0, s4
	v_mul_lo_u32 v0, s31, v10
	v_cmp_eq_u32_e64 s[0:1], 0, v10
	v_cmp_eq_u32_e64 s[2:3], 0, v9
	s_addc_u32 s30, s5, 0
	s_add_i32 s37, s37, 1
	s_mul_i32 s38, s28, s33
	s_mul_i32 s39, s24, s15
	v_add3_u32 v14, v8, v0, s4
	s_mul_i32 s31, s24, s31
	v_cmp_gt_u16_e64 s[14:15], s36, 1
	v_mov_b32_e32 v15, 0
	s_branch .LBB14_3
.LBB14_2:                               ;   in Loop: Header=BB14_3 Depth=1
	s_or_b64 exec, exec, s[4:5]
	s_add_i32 s4, s35, 1
	v_add_u32_e32 v13, s38, v13
	v_add_u32_e32 v14, s38, v14
	s_cmp_eq_u32 s35, s34
	s_mov_b32 s35, s4
	s_cbranch_scc1 .LBB14_20
.LBB14_3:                               ; =>This Loop Header: Depth=1
                                        ;     Child Loop BB14_12 Depth 2
                                        ;     Child Loop BB14_9 Depth 2
	s_mul_i32 s4, s35, s28
	s_add_i32 s4, s4, s6
	s_mul_i32 s4, s4, s33
	v_add_u32_e32 v0, s4, v8
	v_cmp_gt_i32_e64 s[4:5], s10, v0
	s_and_b64 s[18:19], s[0:1], s[4:5]
	v_ashrrev_i32_e32 v1, 31, v0
	v_mov_b32_e32 v16, 0
	s_and_saveexec_b64 s[8:9], s[18:19]
	s_cbranch_execz .LBB14_5
; %bb.4:                                ;   in Loop: Header=BB14_3 Depth=1
	v_lshlrev_b64 v[2:3], 2, v[0:1]
	v_mov_b32_e32 v4, s25
	v_add_co_u32_e32 v2, vcc, s7, v2
	v_addc_co_u32_e32 v3, vcc, v4, v3, vcc
	global_load_dword v16, v[2:3], off
.LBB14_5:                               ;   in Loop: Header=BB14_3 Depth=1
	s_or_b64 exec, exec, s[8:9]
	s_andn2_b64 vcc, exec, s[16:17]
	v_mov_b32_e32 v2, v10
	v_mov_b32_e32 v4, v14
	;; [unrolled: 1-line block ×3, first 2 shown]
	s_mov_b32 s40, s37
	s_cbranch_vccz .LBB14_12
.LBB14_6:                               ;   in Loop: Header=BB14_3 Depth=1
	s_andn2_b64 vcc, exec, s[14:15]
	s_mov_b32 s18, s36
	s_waitcnt vmcnt(0)
	ds_write_b32 v12, v16
	s_waitcnt lgkmcnt(0)
	s_barrier
	s_cbranch_vccnz .LBB14_18
; %bb.7:                                ;   in Loop: Header=BB14_3 Depth=1
	s_lshr_b32 s19, s18, 1
	v_cmp_gt_u32_e32 vcc, s19, v9
	s_and_saveexec_b64 s[8:9], vcc
	s_cbranch_execz .LBB14_9
.LBB14_8:                               ;   in Loop: Header=BB14_3 Depth=1
	v_add_u32_e32 v2, s19, v9
	v_mul_u32_u24_e32 v2, s33, v2
	v_lshl_add_u32 v2, v2, 2, v11
	ds_read_b32 v2, v2
	s_waitcnt lgkmcnt(0)
	v_add_f32_e32 v16, v16, v2
	ds_write_b32 v12, v16
.LBB14_9:                               ;   Parent Loop BB14_3 Depth=1
                                        ; =>  This Inner Loop Header: Depth=2
	s_or_b64 exec, exec, s[8:9]
	s_cmp_lt_u32 s18, 4
	s_waitcnt lgkmcnt(0)
	s_barrier
	s_cbranch_scc1 .LBB14_18
; %bb.10:                               ;   in Loop: Header=BB14_9 Depth=2
	s_mov_b32 s18, s19
	s_lshr_b32 s19, s18, 1
	v_cmp_gt_u32_e32 vcc, s19, v9
	s_and_saveexec_b64 s[8:9], vcc
	s_cbranch_execnz .LBB14_8
	s_branch .LBB14_9
.LBB14_11:                              ;   in Loop: Header=BB14_12 Depth=2
	s_or_b64 exec, exec, s[8:9]
	s_add_i32 s40, s40, -1
	v_add_u32_e32 v6, s39, v6
	v_add_u32_e32 v4, s31, v4
	s_cmp_eq_u32 s40, 0
	v_add_u32_e32 v2, s24, v2
	s_cbranch_scc1 .LBB14_6
.LBB14_12:                              ;   Parent Loop BB14_3 Depth=1
                                        ; =>  This Inner Loop Header: Depth=2
	v_cmp_gt_i32_e32 vcc, s11, v2
	s_waitcnt vmcnt(0)
	v_mov_b32_e32 v18, 0
	v_ashrrev_i32_e32 v3, 31, v2
	v_mov_b32_e32 v17, 0
	s_and_saveexec_b64 s[18:19], vcc
	s_cbranch_execnz .LBB14_15
; %bb.13:                               ;   in Loop: Header=BB14_12 Depth=2
	s_or_b64 exec, exec, s[18:19]
	s_and_saveexec_b64 s[18:19], vcc
	s_cbranch_execnz .LBB14_16
.LBB14_14:                              ;   in Loop: Header=BB14_12 Depth=2
	s_or_b64 exec, exec, s[18:19]
	s_and_b64 s[18:19], s[4:5], vcc
	s_and_saveexec_b64 s[8:9], s[18:19]
	s_cbranch_execz .LBB14_11
	s_branch .LBB14_17
.LBB14_15:                              ;   in Loop: Header=BB14_12 Depth=2
	v_lshlrev_b64 v[20:21], 2, v[2:3]
	v_mov_b32_e32 v5, s21
	v_add_co_u32_e64 v20, s[8:9], s20, v20
	v_addc_co_u32_e64 v21, s[8:9], v5, v21, s[8:9]
	global_load_dword v17, v[20:21], off
	s_or_b64 exec, exec, s[18:19]
	s_and_saveexec_b64 s[18:19], vcc
	s_cbranch_execz .LBB14_14
.LBB14_16:                              ;   in Loop: Header=BB14_12 Depth=2
	v_lshlrev_b64 v[18:19], 2, v[2:3]
	v_mov_b32_e32 v3, s23
	v_add_co_u32_e64 v18, s[8:9], s22, v18
	v_addc_co_u32_e64 v19, s[8:9], v3, v19, s[8:9]
	global_load_dword v18, v[18:19], off
	s_or_b64 exec, exec, s[18:19]
	s_and_b64 s[18:19], s[4:5], vcc
	s_and_saveexec_b64 s[8:9], s[18:19]
	s_cbranch_execz .LBB14_11
.LBB14_17:                              ;   in Loop: Header=BB14_12 Depth=2
	v_ashrrev_i32_e32 v7, 31, v6
	v_lshlrev_b64 v[20:21], 2, v[6:7]
	v_mov_b32_e32 v3, s27
	v_add_co_u32_e32 v20, vcc, s26, v20
	v_ashrrev_i32_e32 v5, 31, v4
	v_addc_co_u32_e32 v21, vcc, v3, v21, vcc
	v_lshlrev_b64 v[22:23], 2, v[4:5]
	v_mov_b32_e32 v3, s30
	v_add_co_u32_e32 v22, vcc, s29, v22
	v_addc_co_u32_e32 v23, vcc, v3, v23, vcc
	global_load_dword v3, v[22:23], off
	global_load_dword v5, v[20:21], off
	s_waitcnt vmcnt(1)
	v_mul_f32_e32 v3, v18, v3
	s_waitcnt vmcnt(0)
	v_fmac_f32_e32 v3, v17, v5
	v_sub_f32_e32 v16, v16, v3
	s_branch .LBB14_11
.LBB14_18:                              ;   in Loop: Header=BB14_3 Depth=1
	s_and_b64 s[8:9], s[2:3], s[4:5]
	s_and_saveexec_b64 s[4:5], s[8:9]
	s_cbranch_execz .LBB14_2
; %bb.19:                               ;   in Loop: Header=BB14_3 Depth=1
	global_load_dword v2, v15, s[12:13]
	v_lshlrev_b64 v[0:1], 2, v[0:1]
	v_mov_b32_e32 v3, s25
	v_add_co_u32_e32 v0, vcc, s7, v0
	v_addc_co_u32_e32 v1, vcc, v3, v1, vcc
	s_waitcnt vmcnt(0)
	v_mul_f32_e32 v2, v16, v2
	global_store_dword v[0:1], v2, off
	s_branch .LBB14_2
.LBB14_20:
	s_endpgm
	.section	.rodata,"a",@progbits
	.p2align	6, 0x0
	.amdhsa_kernel _ZN9rocsolver6v33100L26latrd_lower_updateW_kernelIfPfEEviiT0_iilPT_iilS5_lS5_l
		.amdhsa_group_segment_fixed_size 0
		.amdhsa_private_segment_fixed_size 0
		.amdhsa_kernarg_size 344
		.amdhsa_user_sgpr_count 6
		.amdhsa_user_sgpr_private_segment_buffer 1
		.amdhsa_user_sgpr_dispatch_ptr 0
		.amdhsa_user_sgpr_queue_ptr 0
		.amdhsa_user_sgpr_kernarg_segment_ptr 1
		.amdhsa_user_sgpr_dispatch_id 0
		.amdhsa_user_sgpr_flat_scratch_init 0
		.amdhsa_user_sgpr_kernarg_preload_length 0
		.amdhsa_user_sgpr_kernarg_preload_offset 0
		.amdhsa_user_sgpr_private_segment_size 0
		.amdhsa_uses_dynamic_stack 0
		.amdhsa_system_sgpr_private_segment_wavefront_offset 0
		.amdhsa_system_sgpr_workgroup_id_x 1
		.amdhsa_system_sgpr_workgroup_id_y 1
		.amdhsa_system_sgpr_workgroup_id_z 1
		.amdhsa_system_sgpr_workgroup_info 0
		.amdhsa_system_vgpr_workitem_id 1
		.amdhsa_next_free_vgpr 24
		.amdhsa_next_free_sgpr 41
		.amdhsa_accum_offset 24
		.amdhsa_reserve_vcc 1
		.amdhsa_reserve_flat_scratch 0
		.amdhsa_float_round_mode_32 0
		.amdhsa_float_round_mode_16_64 0
		.amdhsa_float_denorm_mode_32 3
		.amdhsa_float_denorm_mode_16_64 3
		.amdhsa_dx10_clamp 1
		.amdhsa_ieee_mode 1
		.amdhsa_fp16_overflow 0
		.amdhsa_tg_split 0
		.amdhsa_exception_fp_ieee_invalid_op 0
		.amdhsa_exception_fp_denorm_src 0
		.amdhsa_exception_fp_ieee_div_zero 0
		.amdhsa_exception_fp_ieee_overflow 0
		.amdhsa_exception_fp_ieee_underflow 0
		.amdhsa_exception_fp_ieee_inexact 0
		.amdhsa_exception_int_div_zero 0
	.end_amdhsa_kernel
	.section	.text._ZN9rocsolver6v33100L26latrd_lower_updateW_kernelIfPfEEviiT0_iilPT_iilS5_lS5_l,"axG",@progbits,_ZN9rocsolver6v33100L26latrd_lower_updateW_kernelIfPfEEviiT0_iilPT_iilS5_lS5_l,comdat
.Lfunc_end14:
	.size	_ZN9rocsolver6v33100L26latrd_lower_updateW_kernelIfPfEEviiT0_iilPT_iilS5_lS5_l, .Lfunc_end14-_ZN9rocsolver6v33100L26latrd_lower_updateW_kernelIfPfEEviiT0_iilPT_iilS5_lS5_l
                                        ; -- End function
	.section	.AMDGPU.csdata,"",@progbits
; Kernel info:
; codeLenInByte = 1536
; NumSgprs: 45
; NumVgprs: 24
; NumAgprs: 0
; TotalNumVgprs: 24
; ScratchSize: 0
; MemoryBound: 0
; FloatMode: 240
; IeeeMode: 1
; LDSByteSize: 0 bytes/workgroup (compile time only)
; SGPRBlocks: 5
; VGPRBlocks: 2
; NumSGPRsForWavesPerEU: 45
; NumVGPRsForWavesPerEU: 24
; AccumOffset: 24
; Occupancy: 8
; WaveLimiterHint : 0
; COMPUTE_PGM_RSRC2:SCRATCH_EN: 0
; COMPUTE_PGM_RSRC2:USER_SGPR: 6
; COMPUTE_PGM_RSRC2:TRAP_HANDLER: 0
; COMPUTE_PGM_RSRC2:TGID_X_EN: 1
; COMPUTE_PGM_RSRC2:TGID_Y_EN: 1
; COMPUTE_PGM_RSRC2:TGID_Z_EN: 1
; COMPUTE_PGM_RSRC2:TIDIG_COMP_CNT: 1
; COMPUTE_PGM_RSRC3_GFX90A:ACCUM_OFFSET: 5
; COMPUTE_PGM_RSRC3_GFX90A:TG_SPLIT: 0
	.section	.text._ZN9rocsolver6v33100L20latrd_dot_scale_axpyILi1024EfiPfEEvT1_T2_llPT0_llS6_l,"axG",@progbits,_ZN9rocsolver6v33100L20latrd_dot_scale_axpyILi1024EfiPfEEvT1_T2_llPT0_llS6_l,comdat
	.globl	_ZN9rocsolver6v33100L20latrd_dot_scale_axpyILi1024EfiPfEEvT1_T2_llPT0_llS6_l ; -- Begin function _ZN9rocsolver6v33100L20latrd_dot_scale_axpyILi1024EfiPfEEvT1_T2_llPT0_llS6_l
	.p2align	8
	.type	_ZN9rocsolver6v33100L20latrd_dot_scale_axpyILi1024EfiPfEEvT1_T2_llPT0_llS6_l,@function
_ZN9rocsolver6v33100L20latrd_dot_scale_axpyILi1024EfiPfEEvT1_T2_llPT0_llS6_l: ; @_ZN9rocsolver6v33100L20latrd_dot_scale_axpyILi1024EfiPfEEvT1_T2_llPT0_llS6_l
; %bb.0:
	s_load_dwordx16 s[8:23], s[4:5], 0x8
	s_load_dword s6, s[4:5], 0x0
	s_ashr_i32 s30, s7, 31
	v_mov_b32_e32 v1, 0
	v_lshlrev_b32_e32 v6, 2, v0
	s_waitcnt lgkmcnt(0)
	s_mul_i32 s0, s7, s13
	s_mul_hi_u32 s1, s7, s12
	s_add_i32 s0, s1, s0
	s_mul_i32 s1, s30, s12
	s_add_i32 s5, s0, s1
	s_mul_i32 s0, s7, s19
	s_mul_hi_u32 s1, s7, s18
	s_add_i32 s0, s1, s0
	s_mul_i32 s1, s30, s18
	s_add_i32 s1, s0, s1
	s_mul_i32 s0, s7, s18
	s_mul_i32 s4, s7, s12
	s_lshl_b64 s[12:13], s[0:1], 2
	s_add_u32 s0, s14, s12
	s_addc_u32 s1, s15, s13
	s_lshl_b64 s[16:17], s[16:17], 2
	s_add_u32 s18, s0, s16
	s_addc_u32 s19, s1, s17
	v_cmp_gt_i32_e64 s[0:1], s6, v0
	s_and_saveexec_b64 s[24:25], s[0:1]
	s_cbranch_execz .LBB15_6
; %bb.1:
	s_lshl_b64 s[2:3], s[4:5], 2
	s_add_u32 s26, s8, s2
	s_addc_u32 s27, s9, s3
	s_lshl_b64 s[28:29], s[10:11], 2
	s_add_u32 s26, s26, s28
	s_addc_u32 s27, s27, s29
	global_load_dword v1, v6, s[26:27]
	global_load_dword v2, v6, s[18:19]
	v_or_b32_e32 v7, 0x400, v0
	v_cmp_gt_u32_e32 vcc, s6, v7
	s_waitcnt vmcnt(0)
	ds_write2st64_b32 v6, v1, v2 offset1:16
	v_mul_f32_e32 v1, v1, v2
	v_add_f32_e32 v1, 0, v1
	s_and_saveexec_b64 s[26:27], vcc
	s_cbranch_execz .LBB15_5
; %bb.2:
	s_add_u32 s2, s2, s28
	s_addc_u32 s3, s3, s29
	s_add_u32 s2, s8, s2
	s_addc_u32 s3, s9, s3
	v_mov_b32_e32 v2, s3
	v_add_co_u32_e32 v3, vcc, s2, v6
	s_add_u32 s2, s12, s16
	v_addc_co_u32_e32 v4, vcc, 0, v2, vcc
	s_addc_u32 s3, s13, s17
	v_add_co_u32_e32 v2, vcc, 0x1000, v3
	s_add_u32 s2, s14, s2
	v_addc_co_u32_e32 v3, vcc, 0, v4, vcc
	s_addc_u32 s3, s15, s3
	v_mov_b32_e32 v4, s3
	v_add_co_u32_e32 v5, vcc, s2, v6
	v_addc_co_u32_e32 v8, vcc, 0, v4, vcc
	v_add_co_u32_e32 v4, vcc, 0x1000, v5
	v_addc_co_u32_e32 v5, vcc, 0, v8, vcc
	s_mov_b64 s[28:29], 0
.LBB15_3:                               ; =>This Inner Loop Header: Depth=1
	global_load_dword v8, v[4:5], off
	global_load_dword v9, v[2:3], off
	v_add_co_u32_e32 v2, vcc, 0x1000, v2
	v_add_u32_e32 v7, 0x400, v7
	v_addc_co_u32_e32 v3, vcc, 0, v3, vcc
	v_add_co_u32_e32 v4, vcc, 0x1000, v4
	v_cmp_le_i32_e64 s[2:3], s6, v7
	v_addc_co_u32_e32 v5, vcc, 0, v5, vcc
	s_or_b64 s[28:29], s[2:3], s[28:29]
	s_waitcnt vmcnt(0)
	v_mul_f32_e32 v8, v9, v8
	v_add_f32_e32 v1, v1, v8
	s_andn2_b64 exec, exec, s[28:29]
	s_cbranch_execnz .LBB15_3
; %bb.4:
	s_or_b64 exec, exec, s[28:29]
.LBB15_5:
	s_or_b64 exec, exec, s[26:27]
.LBB15_6:
	s_or_b64 exec, exec, s[24:25]
	v_mbcnt_lo_u32_b32 v2, -1, 0
	v_mbcnt_hi_u32_b32 v2, -1, v2
	v_and_b32_e32 v3, 63, v2
	v_cmp_ne_u32_e32 vcc, 63, v3
	v_addc_co_u32_e32 v4, vcc, 0, v2, vcc
	v_lshlrev_b32_e32 v4, 2, v4
	ds_bpermute_b32 v4, v4, v1
	v_cmp_gt_u32_e32 vcc, 62, v3
	v_cndmask_b32_e64 v5, 0, 1, vcc
	v_cmp_gt_u32_e32 vcc, 60, v3
	s_waitcnt lgkmcnt(0)
	v_add_f32_e32 v1, v1, v4
	v_lshlrev_b32_e32 v4, 1, v5
	v_add_lshl_u32 v4, v4, v2, 2
	ds_bpermute_b32 v4, v4, v1
	v_cndmask_b32_e64 v5, 0, 1, vcc
	v_cmp_gt_u32_e32 vcc, 56, v3
	s_waitcnt lgkmcnt(0)
	v_add_f32_e32 v1, v1, v4
	v_lshlrev_b32_e32 v4, 2, v5
	v_add_lshl_u32 v4, v4, v2, 2
	ds_bpermute_b32 v4, v4, v1
	;; [unrolled: 7-line block ×3, first 2 shown]
	v_cndmask_b32_e64 v5, 0, 1, vcc
	v_cmp_gt_u32_e32 vcc, 32, v3
	v_cndmask_b32_e64 v3, 0, 1, vcc
	v_lshlrev_b32_e32 v3, 5, v3
	s_waitcnt lgkmcnt(0)
	v_add_f32_e32 v1, v1, v4
	v_lshlrev_b32_e32 v4, 4, v5
	v_add_lshl_u32 v4, v4, v2, 2
	ds_bpermute_b32 v4, v4, v1
	v_add_lshl_u32 v2, v3, v2, 2
	v_and_b32_e32 v3, 63, v0
	v_cmp_eq_u32_e32 vcc, 0, v3
	s_waitcnt lgkmcnt(0)
	v_add_f32_e32 v1, v1, v4
	ds_bpermute_b32 v2, v2, v1
	s_waitcnt lgkmcnt(0)
	v_add_f32_e32 v1, v1, v2
	s_and_saveexec_b64 s[2:3], vcc
	s_cbranch_execz .LBB15_8
; %bb.7:
	v_lshrrev_b32_e32 v2, 4, v0
	ds_write_b32 v2, v1 offset:8192
.LBB15_8:
	s_or_b64 exec, exec, s[2:3]
	v_cmp_eq_u32_e32 vcc, 0, v0
	s_waitcnt lgkmcnt(0)
	s_barrier
	s_and_saveexec_b64 s[2:3], vcc
	s_cbranch_execz .LBB15_10
; %bb.9:
	v_mov_b32_e32 v2, 0x2004
	ds_read2_b32 v[2:3], v2 offset1:1
	v_mov_b32_e32 v4, 0x200c
	v_mov_b32_e32 v10, 0x201c
	;; [unrolled: 1-line block ×3, first 2 shown]
	ds_read2_b32 v[4:5], v4 offset1:1
	ds_read2_b32 v[8:9], v7 offset1:1
	;; [unrolled: 1-line block ×3, first 2 shown]
	s_waitcnt lgkmcnt(3)
	v_add_f32_e32 v1, v1, v2
	v_add_f32_e32 v1, v1, v3
	s_waitcnt lgkmcnt(2)
	v_add_f32_e32 v1, v1, v4
	v_mov_b32_e32 v2, 0x2024
	s_mul_i32 s23, s7, s23
	s_mul_hi_u32 s24, s7, s22
	v_add_f32_e32 v1, v1, v5
	ds_read2_b32 v[2:3], v2 offset1:1
	s_add_i32 s23, s24, s23
	s_mul_i32 s24, s30, s22
	s_waitcnt lgkmcnt(2)
	v_add_f32_e32 v1, v1, v8
	s_add_i32 s23, s23, s24
	s_mul_i32 s22, s7, s22
	v_add_f32_e32 v1, v1, v9
	s_lshl_b64 s[22:23], s[22:23], 2
	s_waitcnt lgkmcnt(1)
	v_add_f32_e32 v1, v1, v10
	v_mov_b32_e32 v4, 0x202c
	v_mov_b32_e32 v7, 0x2034
	s_add_u32 s20, s20, s22
	v_add_f32_e32 v1, v1, v11
	v_mov_b32_e32 v10, 0
	ds_read2_b32 v[4:5], v4 offset1:1
	ds_read2_b32 v[8:9], v7 offset1:1
	ds_read_b32 v7, v10 offset:8252
	s_addc_u32 s21, s21, s23
	s_waitcnt lgkmcnt(3)
	v_add_f32_e32 v1, v1, v2
	v_add_f32_e32 v1, v1, v3
	s_load_dword s7, s[20:21], 0x0
	s_waitcnt lgkmcnt(0)
	v_add_f32_e32 v1, v1, v4
	v_add_f32_e32 v1, v1, v5
	;; [unrolled: 1-line block ×5, first 2 shown]
	v_cvt_f64_f32_e32 v[2:3], s7
	v_mul_f64 v[2:3], v[2:3], -0.5
	v_cvt_f64_f32_e32 v[4:5], v1
	v_mul_f64 v[2:3], v[2:3], v[4:5]
	v_cvt_f32_f64_e32 v1, v[2:3]
	ds_write_b32 v10, v1 offset:8192
.LBB15_10:
	s_or_b64 exec, exec, s[2:3]
	s_waitcnt lgkmcnt(0)
	s_barrier
	s_and_saveexec_b64 s[2:3], s[0:1]
	s_cbranch_execz .LBB15_14
; %bb.11:
	v_mov_b32_e32 v1, 0
	ds_read2st64_b32 v[2:3], v6 offset1:16
	ds_read_b32 v4, v1 offset:8192
	v_or_b32_e32 v5, 0x400, v0
	v_cmp_gt_i32_e32 vcc, s6, v5
	s_waitcnt lgkmcnt(0)
	v_fmac_f32_e32 v3, v4, v2
	global_store_dword v6, v3, s[18:19]
	s_and_b64 exec, exec, vcc
	s_cbranch_execz .LBB15_14
; %bb.12:
	s_add_u32 s0, s12, s16
	s_addc_u32 s1, s13, s17
	s_add_u32 s0, s14, s0
	s_addc_u32 s1, s15, s1
	v_mov_b32_e32 v0, s1
	v_add_co_u32_e32 v1, vcc, s0, v6
	s_lshl_b64 s[0:1], s[4:5], 2
	s_lshl_b64 s[2:3], s[10:11], 2
	s_add_u32 s0, s0, s2
	v_addc_co_u32_e32 v2, vcc, 0, v0, vcc
	s_addc_u32 s1, s1, s3
	v_add_co_u32_e32 v0, vcc, 0x1000, v1
	s_add_u32 s0, s8, s0
	v_addc_co_u32_e32 v1, vcc, 0, v2, vcc
	s_addc_u32 s1, s9, s1
	v_mov_b32_e32 v2, s1
	v_add_co_u32_e32 v3, vcc, s0, v6
	v_addc_co_u32_e32 v6, vcc, 0, v2, vcc
	v_add_co_u32_e32 v2, vcc, 0x1000, v3
	v_addc_co_u32_e32 v3, vcc, 0, v6, vcc
	s_mov_b64 s[0:1], 0
.LBB15_13:                              ; =>This Inner Loop Header: Depth=1
	global_load_dword v6, v[0:1], off
	global_load_dword v7, v[2:3], off
	v_add_u32_e32 v5, 0x400, v5
	v_cmp_le_i32_e32 vcc, s6, v5
	s_or_b64 s[0:1], vcc, s[0:1]
	s_waitcnt vmcnt(0)
	v_fmac_f32_e32 v6, v4, v7
	global_store_dword v[0:1], v6, off
	v_add_co_u32_e32 v0, vcc, 0x1000, v0
	v_addc_co_u32_e32 v1, vcc, 0, v1, vcc
	v_add_co_u32_e32 v2, vcc, 0x1000, v2
	v_addc_co_u32_e32 v3, vcc, 0, v3, vcc
	s_andn2_b64 exec, exec, s[0:1]
	s_cbranch_execnz .LBB15_13
.LBB15_14:
	s_endpgm
	.section	.rodata,"a",@progbits
	.p2align	6, 0x0
	.amdhsa_kernel _ZN9rocsolver6v33100L20latrd_dot_scale_axpyILi1024EfiPfEEvT1_T2_llPT0_llS6_l
		.amdhsa_group_segment_fixed_size 8256
		.amdhsa_private_segment_fixed_size 0
		.amdhsa_kernarg_size 72
		.amdhsa_user_sgpr_count 6
		.amdhsa_user_sgpr_private_segment_buffer 1
		.amdhsa_user_sgpr_dispatch_ptr 0
		.amdhsa_user_sgpr_queue_ptr 0
		.amdhsa_user_sgpr_kernarg_segment_ptr 1
		.amdhsa_user_sgpr_dispatch_id 0
		.amdhsa_user_sgpr_flat_scratch_init 0
		.amdhsa_user_sgpr_kernarg_preload_length 0
		.amdhsa_user_sgpr_kernarg_preload_offset 0
		.amdhsa_user_sgpr_private_segment_size 0
		.amdhsa_uses_dynamic_stack 0
		.amdhsa_system_sgpr_private_segment_wavefront_offset 0
		.amdhsa_system_sgpr_workgroup_id_x 1
		.amdhsa_system_sgpr_workgroup_id_y 0
		.amdhsa_system_sgpr_workgroup_id_z 1
		.amdhsa_system_sgpr_workgroup_info 0
		.amdhsa_system_vgpr_workitem_id 0
		.amdhsa_next_free_vgpr 12
		.amdhsa_next_free_sgpr 31
		.amdhsa_accum_offset 12
		.amdhsa_reserve_vcc 1
		.amdhsa_reserve_flat_scratch 0
		.amdhsa_float_round_mode_32 0
		.amdhsa_float_round_mode_16_64 0
		.amdhsa_float_denorm_mode_32 3
		.amdhsa_float_denorm_mode_16_64 3
		.amdhsa_dx10_clamp 1
		.amdhsa_ieee_mode 1
		.amdhsa_fp16_overflow 0
		.amdhsa_tg_split 0
		.amdhsa_exception_fp_ieee_invalid_op 0
		.amdhsa_exception_fp_denorm_src 0
		.amdhsa_exception_fp_ieee_div_zero 0
		.amdhsa_exception_fp_ieee_overflow 0
		.amdhsa_exception_fp_ieee_underflow 0
		.amdhsa_exception_fp_ieee_inexact 0
		.amdhsa_exception_int_div_zero 0
	.end_amdhsa_kernel
	.section	.text._ZN9rocsolver6v33100L20latrd_dot_scale_axpyILi1024EfiPfEEvT1_T2_llPT0_llS6_l,"axG",@progbits,_ZN9rocsolver6v33100L20latrd_dot_scale_axpyILi1024EfiPfEEvT1_T2_llPT0_llS6_l,comdat
.Lfunc_end15:
	.size	_ZN9rocsolver6v33100L20latrd_dot_scale_axpyILi1024EfiPfEEvT1_T2_llPT0_llS6_l, .Lfunc_end15-_ZN9rocsolver6v33100L20latrd_dot_scale_axpyILi1024EfiPfEEvT1_T2_llPT0_llS6_l
                                        ; -- End function
	.section	.AMDGPU.csdata,"",@progbits
; Kernel info:
; codeLenInByte = 1216
; NumSgprs: 35
; NumVgprs: 12
; NumAgprs: 0
; TotalNumVgprs: 12
; ScratchSize: 0
; MemoryBound: 0
; FloatMode: 240
; IeeeMode: 1
; LDSByteSize: 8256 bytes/workgroup (compile time only)
; SGPRBlocks: 4
; VGPRBlocks: 1
; NumSGPRsForWavesPerEU: 35
; NumVGPRsForWavesPerEU: 12
; AccumOffset: 12
; Occupancy: 8
; WaveLimiterHint : 0
; COMPUTE_PGM_RSRC2:SCRATCH_EN: 0
; COMPUTE_PGM_RSRC2:USER_SGPR: 6
; COMPUTE_PGM_RSRC2:TRAP_HANDLER: 0
; COMPUTE_PGM_RSRC2:TGID_X_EN: 1
; COMPUTE_PGM_RSRC2:TGID_Y_EN: 0
; COMPUTE_PGM_RSRC2:TGID_Z_EN: 1
; COMPUTE_PGM_RSRC2:TIDIG_COMP_CNT: 0
; COMPUTE_PGM_RSRC3_GFX90A:ACCUM_OFFSET: 2
; COMPUTE_PGM_RSRC3_GFX90A:TG_SPLIT: 0
	.section	.text._ZN9rocsolver6v33100L26latrd_upper_updateA_kernelIfPfEEviiiT0_iilPT_iil,"axG",@progbits,_ZN9rocsolver6v33100L26latrd_upper_updateA_kernelIfPfEEviiiT0_iilPT_iil,comdat
	.globl	_ZN9rocsolver6v33100L26latrd_upper_updateA_kernelIfPfEEviiiT0_iilPT_iil ; -- Begin function _ZN9rocsolver6v33100L26latrd_upper_updateA_kernelIfPfEEviiiT0_iilPT_iil
	.p2align	8
	.type	_ZN9rocsolver6v33100L26latrd_upper_updateA_kernelIfPfEEviiiT0_iilPT_iil,@function
_ZN9rocsolver6v33100L26latrd_upper_updateA_kernelIfPfEEviiiT0_iilPT_iil: ; @_ZN9rocsolver6v33100L26latrd_upper_updateA_kernelIfPfEEviiiT0_iilPT_iil
; %bb.0:
	s_load_dword s0, s[4:5], 0x4c
	s_load_dwordx4 s[20:23], s[4:5], 0x0
	s_load_dwordx2 s[28:29], s[4:5], 0x40
	s_mov_b32 s33, 0
	s_waitcnt lgkmcnt(0)
	s_abs_i32 s1, s22
	s_and_b32 s30, s0, 0xffff
	v_cvt_f32_u32_e32 v1, s30
	s_sub_i32 s2, 0, s30
	s_ashr_i32 s23, s22, 31
	v_rcp_iflag_f32_e32 v1, v1
	v_mul_f32_e32 v1, 0x4f7ffffe, v1
	v_cvt_u32_f32_e32 v1, v1
	v_readfirstlane_b32 s3, v1
	s_mul_i32 s2, s2, s3
	s_mul_hi_u32 s2, s3, s2
	s_add_i32 s3, s3, s2
	s_mul_hi_u32 s2, s1, s3
	s_mul_i32 s3, s2, s30
	s_sub_i32 s1, s1, s3
	s_add_i32 s9, s2, 1
	s_sub_i32 s3, s1, s30
	s_cmp_ge_u32 s1, s30
	s_cselect_b32 s2, s9, s2
	s_cselect_b32 s1, s3, s1
	s_add_i32 s3, s2, 1
	s_cmp_ge_u32 s1, s30
	s_cselect_b32 s1, s3, s2
	s_abs_i32 s2, s28
	v_cvt_f32_u32_e32 v1, s2
	s_sub_i32 s3, 0, s2
	s_xor_b32 s1, s1, s23
	s_sub_i32 s1, s1, s23
	v_rcp_iflag_f32_e32 v1, v1
	s_xor_b32 s9, s1, s28
	s_abs_i32 s1, s1
	s_ashr_i32 s9, s9, 31
	v_mul_f32_e32 v1, 0x4f7ffffe, v1
	v_cvt_u32_f32_e32 v1, v1
	v_readfirstlane_b32 s10, v1
	s_mul_i32 s3, s3, s10
	s_mul_hi_u32 s3, s10, s3
	s_add_i32 s10, s10, s3
	s_mul_hi_u32 s3, s1, s10
	s_mul_i32 s10, s3, s2
	s_sub_i32 s1, s1, s10
	s_add_i32 s11, s3, 1
	s_sub_i32 s10, s1, s2
	s_cmp_ge_u32 s1, s2
	s_cselect_b32 s3, s11, s3
	s_cselect_b32 s1, s10, s1
	s_add_i32 s10, s3, 1
	s_cmp_ge_u32 s1, s2
	s_cselect_b32 s1, s10, s3
	s_xor_b32 s1, s1, s9
	s_sub_i32 s31, s1, s9
	s_cmp_lt_i32 s31, 0
	s_cbranch_scc1 .LBB16_20
; %bb.1:
	s_load_dwordx8 s[12:19], s[4:5], 0x10
	s_load_dwordx4 s[24:27], s[4:5], 0x30
	s_ashr_i32 s4, s8, 31
	s_lshr_b32 s34, s0, 16
	v_and_b32_e32 v6, 0x3ff, v0
	s_waitcnt lgkmcnt(0)
	s_mul_i32 s2, s8, s17
	s_mul_hi_u32 s3, s8, s16
	s_add_i32 s2, s3, s2
	s_mul_i32 s3, s4, s16
	s_add_i32 s3, s2, s3
	s_mul_i32 s2, s8, s16
	s_ashr_i32 s1, s14, 31
	s_lshl_b64 s[2:3], s[2:3], 2
	s_mov_b32 s0, s14
	s_add_u32 s2, s12, s2
	s_addc_u32 s3, s13, s3
	s_lshl_b64 s[0:1], s[0:1], 2
	s_add_u32 s5, s2, s0
	s_addc_u32 s9, s3, s1
	s_mul_i32 s2, s8, s27
	s_mul_hi_u32 s3, s8, s26
	s_add_i32 s2, s3, s2
	s_mul_i32 s4, s4, s26
	s_add_i32 s3, s2, s4
	s_mul_i32 s2, s8, s26
	s_ashr_i32 s1, s24, 31
	s_lshl_b64 s[2:3], s[2:3], 2
	s_mov_b32 s0, s24
	s_add_u32 s2, s18, s2
	s_addc_u32 s3, s19, s3
	s_lshl_b64 s[0:1], s[0:1], 2
	s_add_u32 s2, s2, s0
	s_addc_u32 s3, s3, s1
	s_not_b32 s18, s22
	s_mul_hi_i32 s1, s15, s22
	s_mul_i32 s0, s15, s22
	s_add_i32 s18, s18, s20
	s_add_i32 s4, s22, 1
	s_lshl_b64 s[0:1], s[0:1], 2
	v_bfe_u32 v7, v0, 10, 10
	s_add_u32 s19, s5, s0
	v_cvt_f32_u32_e32 v0, s34
	s_addc_u32 s24, s9, s1
	s_mul_hi_i32 s1, s15, s4
	s_mul_i32 s0, s15, s4
	s_lshl_b64 s[0:1], s[0:1], 2
	s_add_u32 s26, s5, s0
	s_addc_u32 s27, s9, s1
	s_sub_i32 s0, s21, s20
	v_rcp_iflag_f32_e32 v0, v0
	s_add_i32 s4, s4, s0
	s_mul_hi_i32 s1, s25, s4
	s_mul_i32 s0, s25, s4
	s_lshl_b64 s[0:1], s[0:1], 2
	s_add_u32 s20, s2, s0
	v_mul_f32_e32 v0, 0x4f7ffffe, v0
	s_addc_u32 s21, s3, s1
	s_lshl_b64 s[0:1], s[22:23], 2
	v_cvt_u32_f32_e32 v0, v0
	s_add_u32 s23, s20, s0
	s_addc_u32 s35, s21, s1
	s_add_u32 s36, s26, s0
	s_addc_u32 s37, s27, s1
	s_sub_i32 s2, 0, s34
	v_readfirstlane_b32 s3, v0
	s_mul_i32 s2, s2, s3
	s_add_i32 s0, s18, -1
	s_mul_hi_u32 s2, s3, s2
	s_ashr_i32 s1, s0, 31
	s_abs_i32 s0, s0
	s_add_i32 s3, s3, s2
	s_mul_hi_u32 s2, s0, s3
	s_mul_i32 s3, s2, s34
	s_sub_i32 s0, s0, s3
	s_add_i32 s3, s2, 1
	s_sub_i32 s4, s0, s34
	s_cmp_ge_u32 s0, s34
	s_cselect_b32 s2, s3, s2
	s_cselect_b32 s0, s4, s0
	s_add_i32 s3, s2, 1
	s_cmp_ge_u32 s0, s34
	s_cselect_b32 s0, s3, s2
	s_abs_i32 s2, s29
	v_cvt_f32_u32_e32 v0, s2
	s_sub_i32 s3, 0, s2
	s_xor_b32 s0, s0, s1
	s_sub_i32 s0, s0, s1
	v_rcp_iflag_f32_e32 v0, v0
	s_xor_b32 s1, s0, s29
	s_abs_i32 s0, s0
	s_ashr_i32 s1, s1, 31
	v_mul_f32_e32 v0, 0x4f7ffffe, v0
	v_cvt_u32_f32_e32 v0, v0
	s_mul_i32 s7, s7, s34
	v_add_u32_e32 v8, s7, v7
	s_mul_i32 s38, s29, s34
	v_readfirstlane_b32 s4, v0
	s_mul_i32 s3, s3, s4
	s_mul_hi_u32 s3, s4, s3
	s_add_i32 s4, s4, s3
	s_mul_hi_u32 s3, s0, s4
	s_mul_i32 s4, s3, s2
	s_sub_i32 s0, s0, s4
	s_add_i32 s4, s3, 1
	s_sub_i32 s5, s0, s2
	s_cmp_ge_u32 s0, s2
	s_cselect_b32 s3, s4, s3
	s_cselect_b32 s0, s5, s0
	s_add_i32 s4, s3, 1
	s_cmp_ge_u32 s0, s2
	s_cselect_b32 s0, s4, s3
	s_xor_b32 s0, s0, s1
	s_sub_i32 s7, s0, s1
	s_cmp_gt_i32 s7, -1
	v_mul_u32_u24_e32 v0, s30, v7
	v_lshl_add_u32 v9, v6, 2, 0
	s_mul_i32 s4, s6, s30
	v_cmp_ne_u32_e64 s[0:1], 0, v8
	v_lshl_add_u32 v10, v0, 2, v9
	v_cmp_ne_u32_e64 s[2:3], 0, v7
	s_cselect_b64 s[12:13], -1, 0
	s_add_i32 s7, s7, 1
	v_add_u32_e32 v11, s4, v6
	s_mul_i32 s29, s28, s30
	v_mul_lo_u32 v12, s15, v8
	s_mul_i32 s39, s38, s15
	v_mul_lo_u32 v13, s25, v8
	s_mul_i32 s25, s38, s25
	v_cmp_gt_u16_e64 s[14:15], s34, 1
	s_branch .LBB16_3
.LBB16_2:                               ;   in Loop: Header=BB16_3 Depth=1
	s_or_b64 exec, exec, s[4:5]
	s_add_i32 s4, s33, 1
	v_add_u32_e32 v11, s29, v11
	s_cmp_eq_u32 s33, s31
	s_mov_b32 s33, s4
	s_cbranch_scc1 .LBB16_20
.LBB16_3:                               ; =>This Loop Header: Depth=1
                                        ;     Child Loop BB16_12 Depth 2
                                        ;     Child Loop BB16_9 Depth 2
	s_mul_i32 s4, s33, s28
	s_add_i32 s4, s4, s6
	s_mul_i32 s4, s4, s30
	v_add_u32_e32 v0, s4, v6
	v_cmp_lt_i32_e64 s[4:5], s22, v0
	s_or_b64 s[8:9], s[0:1], s[4:5]
	s_xor_b64 s[10:11], s[8:9], -1
	v_mov_b32_e32 v14, 0
	v_ashrrev_i32_e32 v1, 31, v0
	s_and_saveexec_b64 s[8:9], s[10:11]
	s_cbranch_execz .LBB16_5
; %bb.4:                                ;   in Loop: Header=BB16_3 Depth=1
	v_lshlrev_b64 v[2:3], 2, v[0:1]
	v_mov_b32_e32 v4, s24
	v_add_co_u32_e32 v2, vcc, s19, v2
	v_addc_co_u32_e32 v3, vcc, v4, v3, vcc
	global_load_dword v14, v[2:3], off
.LBB16_5:                               ;   in Loop: Header=BB16_3 Depth=1
	s_or_b64 exec, exec, s[8:9]
	s_andn2_b64 vcc, exec, s[12:13]
	v_mov_b32_e32 v15, v8
	v_mov_b32_e32 v2, v13
	;; [unrolled: 1-line block ×3, first 2 shown]
	s_mov_b32 s40, s7
	s_cbranch_vccz .LBB16_12
.LBB16_6:                               ;   in Loop: Header=BB16_3 Depth=1
	s_andn2_b64 vcc, exec, s[14:15]
	s_mov_b32 s10, s34
	s_waitcnt vmcnt(0)
	ds_write_b32 v10, v14
	s_waitcnt lgkmcnt(0)
	s_barrier
	s_cbranch_vccnz .LBB16_18
; %bb.7:                                ;   in Loop: Header=BB16_3 Depth=1
	s_lshr_b32 s11, s10, 1
	v_cmp_gt_u32_e32 vcc, s11, v7
	s_and_saveexec_b64 s[8:9], vcc
	s_cbranch_execz .LBB16_9
.LBB16_8:                               ;   in Loop: Header=BB16_3 Depth=1
	v_add_u32_e32 v2, s11, v7
	v_mul_u32_u24_e32 v2, s30, v2
	v_lshl_add_u32 v2, v2, 2, v9
	ds_read_b32 v2, v2
	s_waitcnt lgkmcnt(0)
	v_add_f32_e32 v14, v14, v2
	ds_write_b32 v10, v14
.LBB16_9:                               ;   Parent Loop BB16_3 Depth=1
                                        ; =>  This Inner Loop Header: Depth=2
	s_or_b64 exec, exec, s[8:9]
	s_cmp_lt_u32 s10, 4
	s_waitcnt lgkmcnt(0)
	s_barrier
	s_cbranch_scc1 .LBB16_18
; %bb.10:                               ;   in Loop: Header=BB16_9 Depth=2
	s_mov_b32 s10, s11
	s_lshr_b32 s11, s10, 1
	v_cmp_gt_u32_e32 vcc, s11, v7
	s_and_saveexec_b64 s[8:9], vcc
	s_cbranch_execnz .LBB16_8
	s_branch .LBB16_9
.LBB16_11:                              ;   in Loop: Header=BB16_12 Depth=2
	s_or_b64 exec, exec, s[8:9]
	s_add_i32 s40, s40, -1
	v_add_u32_e32 v4, s39, v4
	v_add_u32_e32 v2, s25, v2
	s_cmp_eq_u32 s40, 0
	v_add_u32_e32 v15, s38, v15
	s_cbranch_scc1 .LBB16_6
.LBB16_12:                              ;   Parent Loop BB16_3 Depth=1
                                        ; =>  This Inner Loop Header: Depth=2
	v_cmp_le_i32_e32 vcc, s18, v15
	v_cmp_gt_i32_e64 s[8:9], s18, v15
	s_waitcnt vmcnt(0)
	v_mov_b32_e32 v5, 0
	v_mov_b32_e32 v3, 0
	s_and_saveexec_b64 s[16:17], s[8:9]
	s_cbranch_execz .LBB16_14
; %bb.13:                               ;   in Loop: Header=BB16_12 Depth=2
	v_ashrrev_i32_e32 v3, 31, v2
	v_lshlrev_b64 v[16:17], 2, v[2:3]
	v_mov_b32_e32 v3, s35
	v_add_co_u32_e64 v16, s[10:11], s23, v16
	v_addc_co_u32_e64 v17, s[10:11], v3, v17, s[10:11]
	global_load_dword v3, v[16:17], off
.LBB16_14:                              ;   in Loop: Header=BB16_12 Depth=2
	s_or_b64 exec, exec, s[16:17]
	s_and_saveexec_b64 s[10:11], s[8:9]
	s_cbranch_execz .LBB16_16
; %bb.15:                               ;   in Loop: Header=BB16_12 Depth=2
	v_ashrrev_i32_e32 v5, 31, v4
	v_lshlrev_b64 v[16:17], 2, v[4:5]
	v_mov_b32_e32 v5, s37
	v_add_co_u32_e64 v16, s[8:9], s36, v16
	v_addc_co_u32_e64 v17, s[8:9], v5, v17, s[8:9]
	global_load_dword v5, v[16:17], off
.LBB16_16:                              ;   in Loop: Header=BB16_12 Depth=2
	s_or_b64 exec, exec, s[10:11]
	s_or_b64 s[8:9], s[4:5], vcc
	s_xor_b64 s[10:11], s[8:9], -1
	s_and_saveexec_b64 s[8:9], s[10:11]
	s_cbranch_execz .LBB16_11
; %bb.17:                               ;   in Loop: Header=BB16_12 Depth=2
	v_add_u32_e32 v16, v11, v4
	v_ashrrev_i32_e32 v17, 31, v16
	v_lshlrev_b64 v[16:17], 2, v[16:17]
	v_mov_b32_e32 v18, s27
	v_add_co_u32_e32 v16, vcc, s26, v16
	v_addc_co_u32_e32 v17, vcc, v18, v17, vcc
	v_add_u32_e32 v18, v11, v2
	v_ashrrev_i32_e32 v19, 31, v18
	v_lshlrev_b64 v[18:19], 2, v[18:19]
	v_mov_b32_e32 v20, s21
	v_add_co_u32_e32 v18, vcc, s20, v18
	v_addc_co_u32_e32 v19, vcc, v20, v19, vcc
	global_load_dword v20, v[18:19], off
	global_load_dword v21, v[16:17], off
	s_waitcnt vmcnt(1)
	v_mul_f32_e32 v5, v5, v20
	s_waitcnt vmcnt(0)
	v_fmac_f32_e32 v5, v3, v21
	v_sub_f32_e32 v14, v14, v5
	s_branch .LBB16_11
.LBB16_18:                              ;   in Loop: Header=BB16_3 Depth=1
	s_or_b64 s[4:5], s[2:3], s[4:5]
	s_xor_b64 s[8:9], s[4:5], -1
	s_and_saveexec_b64 s[4:5], s[8:9]
	s_cbranch_execz .LBB16_2
; %bb.19:                               ;   in Loop: Header=BB16_3 Depth=1
	v_lshlrev_b64 v[0:1], 2, v[0:1]
	v_mov_b32_e32 v2, s24
	v_add_co_u32_e32 v0, vcc, s19, v0
	v_addc_co_u32_e32 v1, vcc, v2, v1, vcc
	global_store_dword v[0:1], v14, off
	s_branch .LBB16_2
.LBB16_20:
	s_endpgm
	.section	.rodata,"a",@progbits
	.p2align	6, 0x0
	.amdhsa_kernel _ZN9rocsolver6v33100L26latrd_upper_updateA_kernelIfPfEEviiiT0_iilPT_iil
		.amdhsa_group_segment_fixed_size 0
		.amdhsa_private_segment_fixed_size 0
		.amdhsa_kernarg_size 320
		.amdhsa_user_sgpr_count 6
		.amdhsa_user_sgpr_private_segment_buffer 1
		.amdhsa_user_sgpr_dispatch_ptr 0
		.amdhsa_user_sgpr_queue_ptr 0
		.amdhsa_user_sgpr_kernarg_segment_ptr 1
		.amdhsa_user_sgpr_dispatch_id 0
		.amdhsa_user_sgpr_flat_scratch_init 0
		.amdhsa_user_sgpr_kernarg_preload_length 0
		.amdhsa_user_sgpr_kernarg_preload_offset 0
		.amdhsa_user_sgpr_private_segment_size 0
		.amdhsa_uses_dynamic_stack 0
		.amdhsa_system_sgpr_private_segment_wavefront_offset 0
		.amdhsa_system_sgpr_workgroup_id_x 1
		.amdhsa_system_sgpr_workgroup_id_y 1
		.amdhsa_system_sgpr_workgroup_id_z 1
		.amdhsa_system_sgpr_workgroup_info 0
		.amdhsa_system_vgpr_workitem_id 1
		.amdhsa_next_free_vgpr 22
		.amdhsa_next_free_sgpr 41
		.amdhsa_accum_offset 24
		.amdhsa_reserve_vcc 1
		.amdhsa_reserve_flat_scratch 0
		.amdhsa_float_round_mode_32 0
		.amdhsa_float_round_mode_16_64 0
		.amdhsa_float_denorm_mode_32 3
		.amdhsa_float_denorm_mode_16_64 3
		.amdhsa_dx10_clamp 1
		.amdhsa_ieee_mode 1
		.amdhsa_fp16_overflow 0
		.amdhsa_tg_split 0
		.amdhsa_exception_fp_ieee_invalid_op 0
		.amdhsa_exception_fp_denorm_src 0
		.amdhsa_exception_fp_ieee_div_zero 0
		.amdhsa_exception_fp_ieee_overflow 0
		.amdhsa_exception_fp_ieee_underflow 0
		.amdhsa_exception_fp_ieee_inexact 0
		.amdhsa_exception_int_div_zero 0
	.end_amdhsa_kernel
	.section	.text._ZN9rocsolver6v33100L26latrd_upper_updateA_kernelIfPfEEviiiT0_iilPT_iil,"axG",@progbits,_ZN9rocsolver6v33100L26latrd_upper_updateA_kernelIfPfEEviiiT0_iilPT_iil,comdat
.Lfunc_end16:
	.size	_ZN9rocsolver6v33100L26latrd_upper_updateA_kernelIfPfEEviiiT0_iilPT_iil, .Lfunc_end16-_ZN9rocsolver6v33100L26latrd_upper_updateA_kernelIfPfEEviiiT0_iilPT_iil
                                        ; -- End function
	.section	.AMDGPU.csdata,"",@progbits
; Kernel info:
; codeLenInByte = 1412
; NumSgprs: 45
; NumVgprs: 22
; NumAgprs: 0
; TotalNumVgprs: 22
; ScratchSize: 0
; MemoryBound: 0
; FloatMode: 240
; IeeeMode: 1
; LDSByteSize: 0 bytes/workgroup (compile time only)
; SGPRBlocks: 5
; VGPRBlocks: 2
; NumSGPRsForWavesPerEU: 45
; NumVGPRsForWavesPerEU: 22
; AccumOffset: 24
; Occupancy: 8
; WaveLimiterHint : 0
; COMPUTE_PGM_RSRC2:SCRATCH_EN: 0
; COMPUTE_PGM_RSRC2:USER_SGPR: 6
; COMPUTE_PGM_RSRC2:TRAP_HANDLER: 0
; COMPUTE_PGM_RSRC2:TGID_X_EN: 1
; COMPUTE_PGM_RSRC2:TGID_Y_EN: 1
; COMPUTE_PGM_RSRC2:TGID_Z_EN: 1
; COMPUTE_PGM_RSRC2:TIDIG_COMP_CNT: 1
; COMPUTE_PGM_RSRC3_GFX90A:ACCUM_OFFSET: 5
; COMPUTE_PGM_RSRC3_GFX90A:TG_SPLIT: 0
	.section	.text._ZN9rocsolver6v33100L33latrd_upper_computeW_gemvt_kernelILi256EfPfEEviiiT1_iilPT0_iilS5_iilS5_l,"axG",@progbits,_ZN9rocsolver6v33100L33latrd_upper_computeW_gemvt_kernelILi256EfPfEEviiiT1_iilPT0_iilS5_iilS5_l,comdat
	.globl	_ZN9rocsolver6v33100L33latrd_upper_computeW_gemvt_kernelILi256EfPfEEviiiT1_iilPT0_iilS5_iilS5_l ; -- Begin function _ZN9rocsolver6v33100L33latrd_upper_computeW_gemvt_kernelILi256EfPfEEviiiT1_iilPT0_iilS5_iilS5_l
	.p2align	8
	.type	_ZN9rocsolver6v33100L33latrd_upper_computeW_gemvt_kernelILi256EfPfEEviiiT1_iilPT0_iilS5_iilS5_l,@function
_ZN9rocsolver6v33100L33latrd_upper_computeW_gemvt_kernelILi256EfPfEEviiiT1_iilPT0_iilS5_iilS5_l: ; @_ZN9rocsolver6v33100L33latrd_upper_computeW_gemvt_kernelILi256EfPfEEviiiT1_iilPT0_iilS5_iilS5_l
; %bb.0:
	s_load_dwordx4 s[16:19], s[4:5], 0x0
	s_load_dwordx4 s[0:3], s[4:5], 0x38
	s_waitcnt lgkmcnt(0)
	s_ashr_i32 s19, s7, 31
	s_cmp_lt_i32 s6, s16
	s_cselect_b64 s[22:23], -1, 0
	s_and_b64 s[8:9], s[22:23], exec
	s_cselect_b32 s8, 0, s16
	s_sub_i32 s20, s6, s8
	s_ashr_i32 s21, s20, 31
	s_cmp_eq_u32 s20, s18
	s_cbranch_scc1 .LBB17_12
; %bb.1:
	s_load_dwordx8 s[8:15], s[4:5], 0x10
	s_load_dwordx2 s[28:29], s[4:5], 0x30
	s_mul_i32 s1, s7, s1
	v_cmp_gt_i32_e32 vcc, s18, v0
	v_cndmask_b32_e32 v1, 0, v0, vcc
	s_waitcnt lgkmcnt(0)
	s_ashr_i32 s25, s10, 31
	s_mov_b32 s24, s10
	s_mul_i32 s6, s7, s13
	s_mul_hi_u32 s10, s7, s12
	s_add_i32 s6, s10, s6
	s_mul_i32 s10, s19, s12
	s_add_i32 s13, s6, s10
	s_mul_i32 s12, s7, s12
	s_lshl_b64 s[12:13], s[12:13], 2
	s_add_u32 s6, s8, s12
	s_addc_u32 s10, s9, s13
	s_lshl_b64 s[24:25], s[24:25], 2
	s_add_u32 s6, s6, s24
	s_addc_u32 s26, s10, s25
	s_mul_hi_u32 s10, s7, s0
	s_add_i32 s1, s10, s1
	s_mul_i32 s10, s19, s0
	s_add_i32 s1, s1, s10
	s_mul_i32 s0, s7, s0
	s_ashr_i32 s31, s28, 31
	s_lshl_b64 s[0:1], s[0:1], 2
	s_mov_b32 s30, s28
	s_add_u32 s10, s14, s0
	s_addc_u32 s14, s15, s1
	s_lshl_b64 s[0:1], s[30:31], 2
	s_add_u32 s10, s10, s0
	s_addc_u32 s14, s14, s1
	s_sub_i32 s0, s17, s16
	s_add_i32 s0, s0, s18
	s_add_i32 s0, s0, 1
	s_mul_hi_i32 s1, s29, s0
	s_mul_i32 s0, s29, s0
	s_lshl_b64 s[0:1], s[0:1], 2
	s_add_u32 s10, s10, s0
	s_addc_u32 s16, s14, s1
	s_and_b64 s[14:15], s[22:23], exec
	s_cselect_b32 s14, s11, s29
	s_mul_hi_i32 s15, s14, s20
	s_mul_i32 s14, s14, s20
	s_cselect_b32 s16, s26, s16
	s_cselect_b32 s10, s6, s10
	s_lshl_b64 s[14:15], s[14:15], 2
	s_add_u32 s14, s14, s10
	s_addc_u32 s10, s15, s16
	v_mov_b32_e32 v3, s10
	s_ashr_i32 s10, s18, 31
	s_lshr_b32 s10, s10, 24
	v_lshlrev_b32_e32 v2, 2, v1
	s_add_i32 s10, s18, s10
	s_and_b32 s10, s10, 0xffffff00
	v_add_co_u32_e32 v2, vcc, s14, v2
	s_mul_hi_i32 s1, s11, s18
	s_mul_i32 s0, s11, s18
	s_mov_b32 s11, 0
	v_mov_b32_e32 v1, 0
	s_cmpk_lt_i32 s18, 0x100
	v_addc_co_u32_e32 v3, vcc, 0, v3, vcc
	s_cbranch_scc1 .LBB17_4
; %bb.2:
	s_lshl_b64 s[14:15], s[0:1], 2
	s_add_u32 s12, s12, s14
	s_addc_u32 s13, s13, s15
	s_add_u32 s12, s12, s24
	s_addc_u32 s13, s13, s25
	s_add_u32 s8, s8, s12
	v_lshlrev_b32_e32 v4, 2, v0
	s_addc_u32 s9, s9, s13
	v_mov_b32_e32 v5, s9
	v_add_co_u32_e32 v4, vcc, s8, v4
	v_mov_b32_e32 v1, 0
	v_addc_co_u32_e32 v5, vcc, 0, v5, vcc
	v_pk_mov_b32 v[6:7], v[2:3], v[2:3] op_sel:[0,1]
.LBB17_3:                               ; =>This Inner Loop Header: Depth=1
	global_load_dword v8, v[6:7], off
	global_load_dword v9, v[4:5], off
	v_add_co_u32_e32 v4, vcc, 0x400, v4
	v_addc_co_u32_e32 v5, vcc, 0, v5, vcc
	s_addk_i32 s11, 0x100
	v_add_co_u32_e32 v6, vcc, 0x400, v6
	s_cmp_ge_i32 s11, s10
	v_addc_co_u32_e32 v7, vcc, 0, v7, vcc
	s_waitcnt vmcnt(0)
	v_fmac_f32_e32 v1, v8, v9
	s_cbranch_scc0 .LBB17_3
.LBB17_4:
	v_add_u32_e32 v4, s10, v0
	v_cmp_gt_i32_e32 vcc, s18, v4
	s_and_saveexec_b64 s[8:9], vcc
	s_cbranch_execz .LBB17_6
; %bb.5:
	s_lshl_b64 s[0:1], s[0:1], 2
	s_add_u32 s0, s6, s0
	v_ashrrev_i32_e32 v5, 31, v4
	s_addc_u32 s1, s26, s1
	v_lshlrev_b64 v[4:5], 2, v[4:5]
	v_mov_b32_e32 v6, s1
	v_add_co_u32_e32 v4, vcc, s0, v4
	s_ashr_i32 s11, s10, 31
	v_addc_co_u32_e32 v5, vcc, v6, v5, vcc
	s_lshl_b64 s[0:1], s[10:11], 2
	v_mov_b32_e32 v6, s1
	v_add_co_u32_e32 v2, vcc, s0, v2
	v_addc_co_u32_e32 v3, vcc, v3, v6, vcc
	global_load_dword v6, v[2:3], off
	global_load_dword v7, v[4:5], off
	s_waitcnt vmcnt(0)
	v_fmac_f32_e32 v1, v6, v7
.LBB17_6:
	s_or_b64 exec, exec, s[8:9]
	v_mbcnt_lo_u32_b32 v2, -1, 0
	v_mbcnt_hi_u32_b32 v2, -1, v2
	v_and_b32_e32 v3, 63, v2
	v_cmp_ne_u32_e32 vcc, 63, v3
	v_addc_co_u32_e32 v4, vcc, 0, v2, vcc
	v_lshlrev_b32_e32 v4, 2, v4
	ds_bpermute_b32 v4, v4, v1
	v_cmp_gt_u32_e32 vcc, 62, v3
	v_cndmask_b32_e64 v5, 0, 1, vcc
	v_cmp_gt_u32_e32 vcc, 60, v3
	s_waitcnt lgkmcnt(0)
	v_add_f32_e32 v1, v1, v4
	v_lshlrev_b32_e32 v4, 1, v5
	v_add_lshl_u32 v4, v4, v2, 2
	ds_bpermute_b32 v4, v4, v1
	v_cndmask_b32_e64 v5, 0, 1, vcc
	v_cmp_gt_u32_e32 vcc, 56, v3
	s_waitcnt lgkmcnt(0)
	v_add_f32_e32 v1, v1, v4
	v_lshlrev_b32_e32 v4, 2, v5
	v_add_lshl_u32 v4, v4, v2, 2
	ds_bpermute_b32 v4, v4, v1
	;; [unrolled: 7-line block ×3, first 2 shown]
	v_cndmask_b32_e64 v5, 0, 1, vcc
	v_cmp_gt_u32_e32 vcc, 32, v3
	v_cndmask_b32_e64 v3, 0, 1, vcc
	v_lshlrev_b32_e32 v3, 5, v3
	s_waitcnt lgkmcnt(0)
	v_add_f32_e32 v1, v1, v4
	v_lshlrev_b32_e32 v4, 4, v5
	v_add_lshl_u32 v4, v4, v2, 2
	ds_bpermute_b32 v4, v4, v1
	v_add_lshl_u32 v2, v3, v2, 2
	v_and_b32_e32 v3, 63, v0
	v_cmp_eq_u32_e32 vcc, 0, v3
	s_waitcnt lgkmcnt(0)
	v_add_f32_e32 v1, v1, v4
	ds_bpermute_b32 v2, v2, v1
	s_waitcnt lgkmcnt(0)
	v_add_f32_e32 v2, v1, v2
	s_and_saveexec_b64 s[0:1], vcc
	s_cbranch_execz .LBB17_8
; %bb.7:
	v_lshrrev_b32_e32 v1, 4, v0
	ds_write_b32 v1, v2
.LBB17_8:
	s_or_b64 exec, exec, s[0:1]
	v_cmp_eq_u32_e32 vcc, 0, v0
	s_mov_b64 s[0:1], 0
	v_mov_b32_e32 v1, 0
	s_waitcnt lgkmcnt(0)
	s_barrier
	s_and_saveexec_b64 s[8:9], vcc
	s_cbranch_execz .LBB17_10
; %bb.9:
	v_mov_b32_e32 v1, 0
	ds_read2_b32 v[4:5], v1 offset0:1 offset1:2
	ds_read_b32 v1, v1 offset:12
	s_mov_b64 s[0:1], exec
	s_waitcnt lgkmcnt(1)
	v_add_f32_e32 v2, v2, v4
	v_add_f32_e32 v2, v2, v5
	s_waitcnt lgkmcnt(0)
	v_add_f32_e32 v1, v2, v1
.LBB17_10:
	s_or_b64 exec, exec, s[8:9]
	s_and_saveexec_b64 s[8:9], s[0:1]
	s_cbranch_execnz .LBB17_13
.LBB17_11:
	s_endpgm
.LBB17_12:
	s_mov_b64 s[0:1], -1
	v_mov_b32_e32 v1, 0
	s_and_saveexec_b64 s[8:9], s[0:1]
	s_cbranch_execz .LBB17_11
.LBB17_13:
	v_cmp_eq_u32_e32 vcc, 0, v0
	s_and_b64 exec, exec, vcc
	s_cbranch_execz .LBB17_11
; %bb.14:
	s_load_dword s0, s[4:5], 0x48
	s_load_dwordx4 s[8:11], s[4:5], 0x50
	s_load_dwordx2 s[12:13], s[4:5], 0x60
	v_mov_b32_e32 v0, 0
	s_waitcnt lgkmcnt(0)
	s_ashr_i32 s1, s0, 31
	s_mul_i32 s4, s7, s9
	s_mul_hi_u32 s5, s7, s8
	s_add_i32 s4, s5, s4
	s_mul_i32 s5, s19, s8
	s_add_i32 s5, s4, s5
	s_mul_i32 s4, s7, s8
	s_lshl_b64 s[4:5], s[4:5], 2
	s_add_u32 s2, s2, s4
	s_addc_u32 s3, s3, s5
	s_lshl_b64 s[0:1], s[0:1], 2
	s_add_u32 s2, s2, s0
	s_addc_u32 s3, s3, s1
	s_mul_i32 s0, s7, s13
	s_mul_hi_u32 s1, s7, s12
	s_add_i32 s0, s1, s0
	s_mul_i32 s1, s19, s12
	s_add_i32 s1, s0, s1
	s_mul_i32 s0, s7, s12
	s_lshl_b64 s[0:1], s[0:1], 2
	s_add_u32 s4, s10, s0
	s_addc_u32 s5, s11, s1
	s_and_b64 s[0:1], s[22:23], exec
	s_cselect_b32 s3, s3, s5
	s_cselect_b32 s2, s2, s4
	s_lshl_b64 s[0:1], s[20:21], 2
	s_add_u32 s0, s2, s0
	s_addc_u32 s1, s3, s1
	global_store_dword v0, v1, s[0:1]
	s_endpgm
	.section	.rodata,"a",@progbits
	.p2align	6, 0x0
	.amdhsa_kernel _ZN9rocsolver6v33100L33latrd_upper_computeW_gemvt_kernelILi256EfPfEEviiiT1_iilPT0_iilS5_iilS5_l
		.amdhsa_group_segment_fixed_size 1024
		.amdhsa_private_segment_fixed_size 0
		.amdhsa_kernarg_size 104
		.amdhsa_user_sgpr_count 6
		.amdhsa_user_sgpr_private_segment_buffer 1
		.amdhsa_user_sgpr_dispatch_ptr 0
		.amdhsa_user_sgpr_queue_ptr 0
		.amdhsa_user_sgpr_kernarg_segment_ptr 1
		.amdhsa_user_sgpr_dispatch_id 0
		.amdhsa_user_sgpr_flat_scratch_init 0
		.amdhsa_user_sgpr_kernarg_preload_length 0
		.amdhsa_user_sgpr_kernarg_preload_offset 0
		.amdhsa_user_sgpr_private_segment_size 0
		.amdhsa_uses_dynamic_stack 0
		.amdhsa_system_sgpr_private_segment_wavefront_offset 0
		.amdhsa_system_sgpr_workgroup_id_x 1
		.amdhsa_system_sgpr_workgroup_id_y 0
		.amdhsa_system_sgpr_workgroup_id_z 1
		.amdhsa_system_sgpr_workgroup_info 0
		.amdhsa_system_vgpr_workitem_id 0
		.amdhsa_next_free_vgpr 10
		.amdhsa_next_free_sgpr 32
		.amdhsa_accum_offset 12
		.amdhsa_reserve_vcc 1
		.amdhsa_reserve_flat_scratch 0
		.amdhsa_float_round_mode_32 0
		.amdhsa_float_round_mode_16_64 0
		.amdhsa_float_denorm_mode_32 3
		.amdhsa_float_denorm_mode_16_64 3
		.amdhsa_dx10_clamp 1
		.amdhsa_ieee_mode 1
		.amdhsa_fp16_overflow 0
		.amdhsa_tg_split 0
		.amdhsa_exception_fp_ieee_invalid_op 0
		.amdhsa_exception_fp_denorm_src 0
		.amdhsa_exception_fp_ieee_div_zero 0
		.amdhsa_exception_fp_ieee_overflow 0
		.amdhsa_exception_fp_ieee_underflow 0
		.amdhsa_exception_fp_ieee_inexact 0
		.amdhsa_exception_int_div_zero 0
	.end_amdhsa_kernel
	.section	.text._ZN9rocsolver6v33100L33latrd_upper_computeW_gemvt_kernelILi256EfPfEEviiiT1_iilPT0_iilS5_iilS5_l,"axG",@progbits,_ZN9rocsolver6v33100L33latrd_upper_computeW_gemvt_kernelILi256EfPfEEviiiT1_iilPT0_iilS5_iilS5_l,comdat
.Lfunc_end17:
	.size	_ZN9rocsolver6v33100L33latrd_upper_computeW_gemvt_kernelILi256EfPfEEviiiT1_iilPT0_iilS5_iilS5_l, .Lfunc_end17-_ZN9rocsolver6v33100L33latrd_upper_computeW_gemvt_kernelILi256EfPfEEviiiT1_iilPT0_iilS5_iilS5_l
                                        ; -- End function
	.section	.AMDGPU.csdata,"",@progbits
; Kernel info:
; codeLenInByte = 1092
; NumSgprs: 36
; NumVgprs: 10
; NumAgprs: 0
; TotalNumVgprs: 10
; ScratchSize: 0
; MemoryBound: 0
; FloatMode: 240
; IeeeMode: 1
; LDSByteSize: 1024 bytes/workgroup (compile time only)
; SGPRBlocks: 4
; VGPRBlocks: 1
; NumSGPRsForWavesPerEU: 36
; NumVGPRsForWavesPerEU: 10
; AccumOffset: 12
; Occupancy: 8
; WaveLimiterHint : 0
; COMPUTE_PGM_RSRC2:SCRATCH_EN: 0
; COMPUTE_PGM_RSRC2:USER_SGPR: 6
; COMPUTE_PGM_RSRC2:TRAP_HANDLER: 0
; COMPUTE_PGM_RSRC2:TGID_X_EN: 1
; COMPUTE_PGM_RSRC2:TGID_Y_EN: 0
; COMPUTE_PGM_RSRC2:TGID_Z_EN: 1
; COMPUTE_PGM_RSRC2:TIDIG_COMP_CNT: 0
; COMPUTE_PGM_RSRC3_GFX90A:ACCUM_OFFSET: 2
; COMPUTE_PGM_RSRC3_GFX90A:TG_SPLIT: 0
	.section	.text._ZN9rocsolver6v33100L26latrd_upper_updateW_kernelIfPfEEviiiT0_iilPT_iilS5_lS5_l,"axG",@progbits,_ZN9rocsolver6v33100L26latrd_upper_updateW_kernelIfPfEEviiiT0_iilPT_iilS5_lS5_l,comdat
	.globl	_ZN9rocsolver6v33100L26latrd_upper_updateW_kernelIfPfEEviiiT0_iilPT_iilS5_lS5_l ; -- Begin function _ZN9rocsolver6v33100L26latrd_upper_updateW_kernelIfPfEEviiiT0_iilPT_iilS5_lS5_l
	.p2align	8
	.type	_ZN9rocsolver6v33100L26latrd_upper_updateW_kernelIfPfEEviiiT0_iilPT_iilS5_lS5_l,@function
_ZN9rocsolver6v33100L26latrd_upper_updateW_kernelIfPfEEviiiT0_iilPT_iilS5_lS5_l: ; @_ZN9rocsolver6v33100L26latrd_upper_updateW_kernelIfPfEEviiiT0_iilPT_iilS5_lS5_l
; %bb.0:
	s_load_dword s0, s[4:5], 0x6c
	s_load_dwordx4 s[28:31], s[4:5], 0x0
	s_load_dwordx2 s[10:11], s[4:5], 0x60
	s_mov_b32 s37, 0
	s_waitcnt lgkmcnt(0)
	s_and_b32 s33, s0, 0xffff
	v_cvt_f32_u32_e32 v1, s33
	s_sub_i32 s3, 0, s33
	s_add_i32 s1, s30, -1
	s_ashr_i32 s2, s1, 31
	v_rcp_iflag_f32_e32 v1, v1
	s_abs_i32 s1, s1
	v_mul_f32_e32 v1, 0x4f7ffffe, v1
	v_cvt_u32_f32_e32 v1, v1
	v_readfirstlane_b32 s9, v1
	s_mul_i32 s3, s3, s9
	s_mul_hi_u32 s3, s9, s3
	s_add_i32 s9, s9, s3
	s_mul_hi_u32 s3, s1, s9
	s_mul_i32 s9, s3, s33
	s_sub_i32 s1, s1, s9
	s_add_i32 s12, s3, 1
	s_sub_i32 s9, s1, s33
	s_cmp_ge_u32 s1, s33
	s_cselect_b32 s3, s12, s3
	s_cselect_b32 s1, s9, s1
	s_add_i32 s9, s3, 1
	s_cmp_ge_u32 s1, s33
	s_cselect_b32 s1, s9, s3
	s_abs_i32 s3, s10
	v_cvt_f32_u32_e32 v1, s3
	s_sub_i32 s9, 0, s3
	s_xor_b32 s1, s1, s2
	s_sub_i32 s1, s1, s2
	v_rcp_iflag_f32_e32 v1, v1
	s_xor_b32 s2, s1, s10
	s_abs_i32 s1, s1
	s_ashr_i32 s2, s2, 31
	v_mul_f32_e32 v1, 0x4f7ffffe, v1
	v_cvt_u32_f32_e32 v1, v1
	v_readfirstlane_b32 s12, v1
	s_mul_i32 s9, s9, s12
	s_mul_hi_u32 s9, s12, s9
	s_add_i32 s12, s12, s9
	s_mul_hi_u32 s9, s1, s12
	s_mul_i32 s12, s9, s3
	s_sub_i32 s1, s1, s12
	s_add_i32 s13, s9, 1
	s_sub_i32 s12, s1, s3
	s_cmp_ge_u32 s1, s3
	s_cselect_b32 s9, s13, s9
	s_cselect_b32 s1, s12, s1
	s_add_i32 s12, s9, 1
	s_cmp_ge_u32 s1, s3
	s_cselect_b32 s1, s12, s9
	s_xor_b32 s1, s1, s2
	s_sub_i32 s36, s1, s2
	s_cmp_lt_i32 s36, 0
	s_cbranch_scc1 .LBB18_20
; %bb.1:
	s_load_dwordx8 s[12:19], s[4:5], 0x10
	s_load_dwordx2 s[34:35], s[4:5], 0x30
	s_load_dwordx8 s[20:27], s[4:5], 0x38
	s_load_dwordx2 s[2:3], s[4:5], 0x58
	s_ashr_i32 s9, s8, 31
	s_waitcnt lgkmcnt(0)
	s_mul_i32 s4, s8, s17
	s_mul_hi_u32 s5, s8, s16
	s_add_i32 s4, s5, s4
	s_mul_i32 s5, s9, s16
	s_add_i32 s5, s4, s5
	s_mul_i32 s4, s8, s16
	s_lshr_b32 s38, s0, 16
	s_ashr_i32 s1, s14, 31
	s_lshl_b64 s[4:5], s[4:5], 2
	s_mov_b32 s0, s14
	s_add_u32 s4, s12, s4
	s_addc_u32 s5, s13, s5
	s_lshl_b64 s[0:1], s[0:1], 2
	s_add_u32 s12, s4, s0
	s_addc_u32 s13, s5, s1
	s_mul_i32 s4, s8, s21
	s_mul_hi_u32 s5, s8, s20
	s_add_i32 s4, s5, s4
	s_mul_i32 s5, s9, s20
	s_add_i32 s5, s4, s5
	s_mul_i32 s4, s8, s20
	s_ashr_i32 s1, s34, 31
	s_lshl_b64 s[4:5], s[4:5], 2
	s_mov_b32 s0, s34
	s_add_u32 s4, s18, s4
	s_addc_u32 s5, s19, s5
	s_lshl_b64 s[0:1], s[0:1], 2
	s_add_u32 s4, s4, s0
	s_addc_u32 s5, s5, s1
	s_mul_i32 s0, s8, s25
	s_mul_hi_u32 s1, s8, s24
	s_add_i32 s0, s1, s0
	s_mul_i32 s1, s9, s24
	s_add_i32 s1, s0, s1
	s_mul_i32 s0, s8, s24
	s_lshl_b64 s[0:1], s[0:1], 2
	s_add_u32 s20, s22, s0
	s_addc_u32 s21, s23, s1
	s_mul_i32 s0, s8, s3
	s_mul_hi_u32 s1, s8, s2
	s_add_i32 s0, s1, s0
	s_mul_i32 s9, s9, s2
	s_add_i32 s1, s0, s9
	s_mul_i32 s0, s8, s2
	s_lshl_b64 s[0:1], s[0:1], 2
	s_add_u32 s2, s26, s0
	s_addc_u32 s3, s27, s1
	s_sub_i32 s0, s30, s28
	s_add_i32 s8, s0, s29
	s_not_b32 s22, s30
	s_mul_hi_i32 s1, s35, s8
	s_mul_i32 s0, s35, s8
	s_add_i32 s22, s22, s28
	s_lshl_b64 s[0:1], s[0:1], 2
	s_add_u32 s23, s4, s0
	v_and_b32_e32 v8, 0x3ff, v0
	v_bfe_u32 v9, v0, 10, 10
	s_addc_u32 s24, s5, s1
	s_add_i32 s0, s30, 1
	v_cvt_f32_u32_e32 v0, s38
	s_mul_hi_i32 s1, s15, s0
	s_mul_i32 s0, s15, s0
	s_lshl_b64 s[0:1], s[0:1], 2
	s_add_u32 s25, s12, s0
	s_addc_u32 s26, s13, s1
	s_add_i32 s8, s8, 1
	v_rcp_iflag_f32_e32 v0, v0
	s_mul_hi_i32 s1, s35, s8
	s_mul_i32 s0, s35, s8
	s_lshl_b64 s[0:1], s[0:1], 2
	s_add_u32 s27, s4, s0
	s_addc_u32 s28, s5, s1
	s_ashr_i32 s31, s30, 31
	v_mul_f32_e32 v0, 0x4f7ffffe, v0
	s_lshl_b64 s[0:1], s[30:31], 2
	v_cvt_u32_f32_e32 v0, v0
	s_add_u32 s4, s23, s0
	s_addc_u32 s5, s24, s1
	s_add_u32 s12, s2, s0
	s_addc_u32 s13, s3, s1
	s_sub_i32 s2, 0, s38
	v_readfirstlane_b32 s3, v0
	s_mul_i32 s2, s2, s3
	s_add_i32 s0, s22, -1
	s_mul_hi_u32 s2, s3, s2
	s_ashr_i32 s1, s0, 31
	s_abs_i32 s0, s0
	s_add_i32 s3, s3, s2
	s_mul_hi_u32 s2, s0, s3
	s_mul_i32 s3, s2, s38
	s_sub_i32 s0, s0, s3
	s_add_i32 s3, s2, 1
	s_sub_i32 s8, s0, s38
	s_cmp_ge_u32 s0, s38
	s_cselect_b32 s2, s3, s2
	s_cselect_b32 s0, s8, s0
	s_add_i32 s3, s2, 1
	s_cmp_ge_u32 s0, s38
	s_cselect_b32 s0, s3, s2
	s_abs_i32 s2, s11
	v_cvt_f32_u32_e32 v0, s2
	s_mul_i32 s7, s7, s38
	v_add_u32_e32 v10, s7, v9
	s_sub_i32 s3, 0, s2
	v_rcp_iflag_f32_e32 v0, v0
	s_xor_b32 s0, s0, s1
	s_sub_i32 s0, s0, s1
	s_xor_b32 s1, s0, s11
	v_mul_f32_e32 v0, 0x4f7ffffe, v0
	v_cvt_u32_f32_e32 v0, v0
	s_abs_i32 s0, s0
	s_ashr_i32 s1, s1, 31
	v_lshl_add_u32 v11, v8, 2, 0
	v_readfirstlane_b32 s7, v0
	s_mul_i32 s3, s3, s7
	s_mul_hi_u32 s3, s7, s3
	s_add_i32 s7, s7, s3
	s_mul_hi_u32 s3, s0, s7
	s_mul_i32 s7, s3, s2
	s_sub_i32 s0, s0, s7
	s_add_i32 s7, s3, 1
	s_sub_i32 s8, s0, s2
	s_cmp_ge_u32 s0, s2
	s_cselect_b32 s3, s7, s3
	s_cselect_b32 s0, s8, s0
	s_add_i32 s7, s3, 1
	s_cmp_ge_u32 s0, s2
	s_cselect_b32 s0, s7, s3
	s_xor_b32 s0, s0, s1
	s_sub_i32 s31, s0, s1
	s_cmp_gt_i32 s31, -1
	v_mul_u32_u24_e32 v0, s33, v9
	v_lshl_add_u32 v12, v0, 2, v11
	s_cselect_b64 s[16:17], -1, 0
	s_add_u32 s7, s4, 4
	v_mul_lo_u32 v0, s15, v10
	s_mul_i32 s4, s6, s33
	s_mul_i32 s29, s11, s38
	v_add3_u32 v13, v8, v0, s4
	v_mul_lo_u32 v0, s35, v10
	v_cmp_eq_u32_e64 s[0:1], 0, v10
	v_cmp_eq_u32_e64 s[2:3], 0, v9
	s_addc_u32 s11, s5, 0
	s_add_i32 s31, s31, 1
	s_mul_i32 s34, s10, s33
	s_mul_i32 s39, s29, s15
	v_add3_u32 v14, v8, v0, s4
	s_mul_i32 s35, s29, s35
	v_cmp_gt_u16_e64 s[14:15], s38, 1
	v_mov_b32_e32 v15, 0
	s_branch .LBB18_3
.LBB18_2:                               ;   in Loop: Header=BB18_3 Depth=1
	s_or_b64 exec, exec, s[4:5]
	s_add_i32 s4, s37, 1
	v_add_u32_e32 v13, s34, v13
	v_add_u32_e32 v14, s34, v14
	s_cmp_eq_u32 s37, s36
	s_mov_b32 s37, s4
	s_cbranch_scc1 .LBB18_20
.LBB18_3:                               ; =>This Loop Header: Depth=1
                                        ;     Child Loop BB18_12 Depth 2
                                        ;     Child Loop BB18_9 Depth 2
	s_mul_i32 s4, s37, s10
	s_add_i32 s4, s4, s6
	s_mul_i32 s4, s4, s33
	v_add_u32_e32 v0, s4, v8
	v_cmp_gt_i32_e64 s[4:5], s30, v0
	s_and_b64 s[18:19], s[0:1], s[4:5]
	v_ashrrev_i32_e32 v1, 31, v0
	v_mov_b32_e32 v16, 0
	s_and_saveexec_b64 s[8:9], s[18:19]
	s_cbranch_execz .LBB18_5
; %bb.4:                                ;   in Loop: Header=BB18_3 Depth=1
	v_lshlrev_b64 v[2:3], 2, v[0:1]
	v_mov_b32_e32 v4, s24
	v_add_co_u32_e32 v2, vcc, s23, v2
	v_addc_co_u32_e32 v3, vcc, v4, v3, vcc
	global_load_dword v16, v[2:3], off
.LBB18_5:                               ;   in Loop: Header=BB18_3 Depth=1
	s_or_b64 exec, exec, s[8:9]
	s_andn2_b64 vcc, exec, s[16:17]
	v_mov_b32_e32 v2, v10
	v_mov_b32_e32 v4, v14
	;; [unrolled: 1-line block ×3, first 2 shown]
	s_mov_b32 s40, s31
	s_cbranch_vccz .LBB18_12
.LBB18_6:                               ;   in Loop: Header=BB18_3 Depth=1
	s_andn2_b64 vcc, exec, s[14:15]
	s_mov_b32 s18, s38
	s_waitcnt vmcnt(0)
	ds_write_b32 v12, v16
	s_waitcnt lgkmcnt(0)
	s_barrier
	s_cbranch_vccnz .LBB18_18
; %bb.7:                                ;   in Loop: Header=BB18_3 Depth=1
	s_lshr_b32 s19, s18, 1
	v_cmp_gt_u32_e32 vcc, s19, v9
	s_and_saveexec_b64 s[8:9], vcc
	s_cbranch_execz .LBB18_9
.LBB18_8:                               ;   in Loop: Header=BB18_3 Depth=1
	v_add_u32_e32 v2, s19, v9
	v_mul_u32_u24_e32 v2, s33, v2
	v_lshl_add_u32 v2, v2, 2, v11
	ds_read_b32 v2, v2
	s_waitcnt lgkmcnt(0)
	v_add_f32_e32 v16, v16, v2
	ds_write_b32 v12, v16
.LBB18_9:                               ;   Parent Loop BB18_3 Depth=1
                                        ; =>  This Inner Loop Header: Depth=2
	s_or_b64 exec, exec, s[8:9]
	s_cmp_lt_u32 s18, 4
	s_waitcnt lgkmcnt(0)
	s_barrier
	s_cbranch_scc1 .LBB18_18
; %bb.10:                               ;   in Loop: Header=BB18_9 Depth=2
	s_mov_b32 s18, s19
	s_lshr_b32 s19, s18, 1
	v_cmp_gt_u32_e32 vcc, s19, v9
	s_and_saveexec_b64 s[8:9], vcc
	s_cbranch_execnz .LBB18_8
	s_branch .LBB18_9
.LBB18_11:                              ;   in Loop: Header=BB18_12 Depth=2
	s_or_b64 exec, exec, s[8:9]
	s_add_i32 s40, s40, -1
	v_add_u32_e32 v6, s39, v6
	v_add_u32_e32 v4, s35, v4
	s_cmp_eq_u32 s40, 0
	v_add_u32_e32 v2, s29, v2
	s_cbranch_scc1 .LBB18_6
.LBB18_12:                              ;   Parent Loop BB18_3 Depth=1
                                        ; =>  This Inner Loop Header: Depth=2
	v_cmp_gt_i32_e32 vcc, s22, v2
	s_waitcnt vmcnt(0)
	v_mov_b32_e32 v18, 0
	v_ashrrev_i32_e32 v3, 31, v2
	v_mov_b32_e32 v17, 0
	s_and_saveexec_b64 s[18:19], vcc
	s_cbranch_execnz .LBB18_15
; %bb.13:                               ;   in Loop: Header=BB18_12 Depth=2
	s_or_b64 exec, exec, s[18:19]
	s_and_saveexec_b64 s[18:19], vcc
	s_cbranch_execnz .LBB18_16
.LBB18_14:                              ;   in Loop: Header=BB18_12 Depth=2
	s_or_b64 exec, exec, s[18:19]
	s_and_b64 s[18:19], s[4:5], vcc
	s_and_saveexec_b64 s[8:9], s[18:19]
	s_cbranch_execz .LBB18_11
	s_branch .LBB18_17
.LBB18_15:                              ;   in Loop: Header=BB18_12 Depth=2
	v_lshlrev_b64 v[20:21], 2, v[2:3]
	v_mov_b32_e32 v5, s21
	v_add_co_u32_e64 v20, s[8:9], s20, v20
	v_addc_co_u32_e64 v21, s[8:9], v5, v21, s[8:9]
	global_load_dword v17, v[20:21], off
	s_or_b64 exec, exec, s[18:19]
	s_and_saveexec_b64 s[18:19], vcc
	s_cbranch_execz .LBB18_14
.LBB18_16:                              ;   in Loop: Header=BB18_12 Depth=2
	v_lshlrev_b64 v[18:19], 2, v[2:3]
	v_mov_b32_e32 v3, s11
	v_add_co_u32_e64 v18, s[8:9], s7, v18
	v_addc_co_u32_e64 v19, s[8:9], v3, v19, s[8:9]
	global_load_dword v18, v[18:19], off
	s_or_b64 exec, exec, s[18:19]
	s_and_b64 s[18:19], s[4:5], vcc
	s_and_saveexec_b64 s[8:9], s[18:19]
	s_cbranch_execz .LBB18_11
.LBB18_17:                              ;   in Loop: Header=BB18_12 Depth=2
	v_ashrrev_i32_e32 v7, 31, v6
	v_lshlrev_b64 v[20:21], 2, v[6:7]
	v_mov_b32_e32 v3, s26
	v_add_co_u32_e32 v20, vcc, s25, v20
	v_ashrrev_i32_e32 v5, 31, v4
	v_addc_co_u32_e32 v21, vcc, v3, v21, vcc
	v_lshlrev_b64 v[22:23], 2, v[4:5]
	v_mov_b32_e32 v3, s28
	v_add_co_u32_e32 v22, vcc, s27, v22
	v_addc_co_u32_e32 v23, vcc, v3, v23, vcc
	global_load_dword v3, v[22:23], off
	global_load_dword v5, v[20:21], off
	s_waitcnt vmcnt(1)
	v_mul_f32_e32 v3, v18, v3
	s_waitcnt vmcnt(0)
	v_fmac_f32_e32 v3, v17, v5
	v_sub_f32_e32 v16, v16, v3
	s_branch .LBB18_11
.LBB18_18:                              ;   in Loop: Header=BB18_3 Depth=1
	s_and_b64 s[8:9], s[2:3], s[4:5]
	s_and_saveexec_b64 s[4:5], s[8:9]
	s_cbranch_execz .LBB18_2
; %bb.19:                               ;   in Loop: Header=BB18_3 Depth=1
	global_load_dword v2, v15, s[12:13] offset:-4
	v_lshlrev_b64 v[0:1], 2, v[0:1]
	v_mov_b32_e32 v3, s24
	v_add_co_u32_e32 v0, vcc, s23, v0
	v_addc_co_u32_e32 v1, vcc, v3, v1, vcc
	s_waitcnt vmcnt(0)
	v_mul_f32_e32 v2, v16, v2
	global_store_dword v[0:1], v2, off
	s_branch .LBB18_2
.LBB18_20:
	s_endpgm
	.section	.rodata,"a",@progbits
	.p2align	6, 0x0
	.amdhsa_kernel _ZN9rocsolver6v33100L26latrd_upper_updateW_kernelIfPfEEviiiT0_iilPT_iilS5_lS5_l
		.amdhsa_group_segment_fixed_size 0
		.amdhsa_private_segment_fixed_size 0
		.amdhsa_kernarg_size 352
		.amdhsa_user_sgpr_count 6
		.amdhsa_user_sgpr_private_segment_buffer 1
		.amdhsa_user_sgpr_dispatch_ptr 0
		.amdhsa_user_sgpr_queue_ptr 0
		.amdhsa_user_sgpr_kernarg_segment_ptr 1
		.amdhsa_user_sgpr_dispatch_id 0
		.amdhsa_user_sgpr_flat_scratch_init 0
		.amdhsa_user_sgpr_kernarg_preload_length 0
		.amdhsa_user_sgpr_kernarg_preload_offset 0
		.amdhsa_user_sgpr_private_segment_size 0
		.amdhsa_uses_dynamic_stack 0
		.amdhsa_system_sgpr_private_segment_wavefront_offset 0
		.amdhsa_system_sgpr_workgroup_id_x 1
		.amdhsa_system_sgpr_workgroup_id_y 1
		.amdhsa_system_sgpr_workgroup_id_z 1
		.amdhsa_system_sgpr_workgroup_info 0
		.amdhsa_system_vgpr_workitem_id 1
		.amdhsa_next_free_vgpr 24
		.amdhsa_next_free_sgpr 41
		.amdhsa_accum_offset 24
		.amdhsa_reserve_vcc 1
		.amdhsa_reserve_flat_scratch 0
		.amdhsa_float_round_mode_32 0
		.amdhsa_float_round_mode_16_64 0
		.amdhsa_float_denorm_mode_32 3
		.amdhsa_float_denorm_mode_16_64 3
		.amdhsa_dx10_clamp 1
		.amdhsa_ieee_mode 1
		.amdhsa_fp16_overflow 0
		.amdhsa_tg_split 0
		.amdhsa_exception_fp_ieee_invalid_op 0
		.amdhsa_exception_fp_denorm_src 0
		.amdhsa_exception_fp_ieee_div_zero 0
		.amdhsa_exception_fp_ieee_overflow 0
		.amdhsa_exception_fp_ieee_underflow 0
		.amdhsa_exception_fp_ieee_inexact 0
		.amdhsa_exception_int_div_zero 0
	.end_amdhsa_kernel
	.section	.text._ZN9rocsolver6v33100L26latrd_upper_updateW_kernelIfPfEEviiiT0_iilPT_iilS5_lS5_l,"axG",@progbits,_ZN9rocsolver6v33100L26latrd_upper_updateW_kernelIfPfEEviiiT0_iilPT_iilS5_lS5_l,comdat
.Lfunc_end18:
	.size	_ZN9rocsolver6v33100L26latrd_upper_updateW_kernelIfPfEEviiiT0_iilPT_iilS5_lS5_l, .Lfunc_end18-_ZN9rocsolver6v33100L26latrd_upper_updateW_kernelIfPfEEviiiT0_iilPT_iilS5_lS5_l
                                        ; -- End function
	.section	.AMDGPU.csdata,"",@progbits
; Kernel info:
; codeLenInByte = 1556
; NumSgprs: 45
; NumVgprs: 24
; NumAgprs: 0
; TotalNumVgprs: 24
; ScratchSize: 0
; MemoryBound: 0
; FloatMode: 240
; IeeeMode: 1
; LDSByteSize: 0 bytes/workgroup (compile time only)
; SGPRBlocks: 5
; VGPRBlocks: 2
; NumSGPRsForWavesPerEU: 45
; NumVGPRsForWavesPerEU: 24
; AccumOffset: 24
; Occupancy: 8
; WaveLimiterHint : 0
; COMPUTE_PGM_RSRC2:SCRATCH_EN: 0
; COMPUTE_PGM_RSRC2:USER_SGPR: 6
; COMPUTE_PGM_RSRC2:TRAP_HANDLER: 0
; COMPUTE_PGM_RSRC2:TGID_X_EN: 1
; COMPUTE_PGM_RSRC2:TGID_Y_EN: 1
; COMPUTE_PGM_RSRC2:TGID_Z_EN: 1
; COMPUTE_PGM_RSRC2:TIDIG_COMP_CNT: 1
; COMPUTE_PGM_RSRC3_GFX90A:ACCUM_OFFSET: 5
; COMPUTE_PGM_RSRC3_GFX90A:TG_SPLIT: 0
	.section	.text._ZN9rocsolver6v33100L11set_tridiagIffPfTnNSt9enable_ifIXnt18rocblas_is_complexIT_EEiE4typeELi0EEEv13rocblas_fill_iT1_iilPT0_lSA_l,"axG",@progbits,_ZN9rocsolver6v33100L11set_tridiagIffPfTnNSt9enable_ifIXnt18rocblas_is_complexIT_EEiE4typeELi0EEEv13rocblas_fill_iT1_iilPT0_lSA_l,comdat
	.globl	_ZN9rocsolver6v33100L11set_tridiagIffPfTnNSt9enable_ifIXnt18rocblas_is_complexIT_EEiE4typeELi0EEEv13rocblas_fill_iT1_iilPT0_lSA_l ; -- Begin function _ZN9rocsolver6v33100L11set_tridiagIffPfTnNSt9enable_ifIXnt18rocblas_is_complexIT_EEiE4typeELi0EEEv13rocblas_fill_iT1_iilPT0_lSA_l
	.p2align	8
	.type	_ZN9rocsolver6v33100L11set_tridiagIffPfTnNSt9enable_ifIXnt18rocblas_is_complexIT_EEiE4typeELi0EEEv13rocblas_fill_iT1_iilPT0_lSA_l,@function
_ZN9rocsolver6v33100L11set_tridiagIffPfTnNSt9enable_ifIXnt18rocblas_is_complexIT_EEiE4typeELi0EEEv13rocblas_fill_iT1_iilPT0_lSA_l: ; @_ZN9rocsolver6v33100L11set_tridiagIffPfTnNSt9enable_ifIXnt18rocblas_is_complexIT_EEiE4typeELi0EEEv13rocblas_fill_iT1_iilPT0_lSA_l
; %bb.0:
	s_load_dword s0, s[4:5], 0x4c
	s_load_dwordx2 s[16:17], s[4:5], 0x0
	s_waitcnt lgkmcnt(0)
	s_and_b32 s0, s0, 0xffff
	s_mul_i32 s6, s6, s0
	v_add_u32_e32 v2, s6, v0
	v_cmp_gt_i32_e32 vcc, s17, v2
	s_and_saveexec_b64 s[0:1], vcc
	s_cbranch_execz .LBB19_7
; %bb.1:
	s_load_dwordx4 s[0:3], s[4:5], 0x8
	s_load_dwordx8 s[8:15], s[4:5], 0x18
	s_ashr_i32 s18, s7, 31
	s_waitcnt lgkmcnt(0)
	s_ashr_i32 s21, s2, 31
	s_mov_b32 s20, s2
	s_mul_i32 s2, s7, s9
	s_mul_hi_u32 s6, s7, s8
	s_add_i32 s2, s6, s2
	s_mul_i32 s6, s18, s8
	s_add_i32 s9, s2, s6
	s_mul_i32 s8, s7, s8
	s_lshl_b64 s[8:9], s[8:9], 2
	s_add_u32 s2, s0, s8
	s_addc_u32 s6, s1, s9
	s_lshl_b64 s[0:1], s[20:21], 2
	s_add_u32 s2, s2, s0
	s_addc_u32 s6, s6, s1
	v_mad_u64_u32 v[0:1], s[0:1], v2, s3, v[2:3]
	v_ashrrev_i32_e32 v1, 31, v0
	v_lshlrev_b64 v[4:5], 2, v[0:1]
	v_mov_b32_e32 v1, s6
	v_add_co_u32_e32 v4, vcc, s2, v4
	v_addc_co_u32_e32 v5, vcc, v1, v5, vcc
	global_load_dword v1, v[4:5], off
	s_mul_i32 s1, s7, s13
	s_mul_hi_u32 s8, s7, s12
	s_mul_i32 s9, s18, s12
	s_add_i32 s1, s8, s1
	s_mul_i32 s0, s7, s12
	s_add_i32 s1, s1, s9
	s_lshl_b64 s[0:1], s[0:1], 2
	v_ashrrev_i32_e32 v3, 31, v2
	s_add_u32 s0, s10, s0
	v_lshlrev_b64 v[4:5], 2, v[2:3]
	s_addc_u32 s1, s11, s1
	v_mov_b32_e32 v3, s1
	v_add_co_u32_e32 v6, vcc, s0, v4
	s_add_i32 s8, s17, -1
	v_addc_co_u32_e32 v7, vcc, v3, v5, vcc
	v_cmp_gt_i32_e32 vcc, s8, v2
	s_waitcnt vmcnt(0)
	global_store_dword v[6:7], v1, off
	s_and_b64 exec, exec, vcc
	s_cbranch_execz .LBB19_7
; %bb.2:
	s_load_dwordx2 s[0:1], s[4:5], 0x38
	s_waitcnt lgkmcnt(0)
	s_mul_i32 s1, s7, s1
	s_mul_hi_u32 s4, s7, s0
	s_mul_i32 s5, s18, s0
	s_add_i32 s1, s4, s1
	s_mul_i32 s0, s7, s0
	s_add_i32 s1, s1, s5
	s_lshl_b64 s[0:1], s[0:1], 2
	s_add_u32 s0, s14, s0
	s_addc_u32 s1, s15, s1
	v_mov_b32_e32 v1, s1
	v_add_co_u32_e32 v2, vcc, s0, v4
	v_addc_co_u32_e32 v3, vcc, v1, v5, vcc
	global_load_dword v1, v[2:3], off
	s_cmpk_lg_i32 s16, 0x7a
	s_cbranch_scc0 .LBB19_4
; %bb.3:
	v_add_u32_e32 v2, s3, v0
	s_cbranch_execz .LBB19_5
	s_branch .LBB19_6
.LBB19_4:
                                        ; implicit-def: $vgpr2
.LBB19_5:
	v_add_u32_e32 v2, 1, v0
.LBB19_6:
	v_ashrrev_i32_e32 v3, 31, v2
	v_lshlrev_b64 v[2:3], 2, v[2:3]
	v_mov_b32_e32 v0, s6
	v_add_co_u32_e32 v2, vcc, s2, v2
	v_addc_co_u32_e32 v3, vcc, v0, v3, vcc
	s_waitcnt vmcnt(0)
	global_store_dword v[2:3], v1, off
.LBB19_7:
	s_endpgm
	.section	.rodata,"a",@progbits
	.p2align	6, 0x0
	.amdhsa_kernel _ZN9rocsolver6v33100L11set_tridiagIffPfTnNSt9enable_ifIXnt18rocblas_is_complexIT_EEiE4typeELi0EEEv13rocblas_fill_iT1_iilPT0_lSA_l
		.amdhsa_group_segment_fixed_size 0
		.amdhsa_private_segment_fixed_size 0
		.amdhsa_kernarg_size 320
		.amdhsa_user_sgpr_count 6
		.amdhsa_user_sgpr_private_segment_buffer 1
		.amdhsa_user_sgpr_dispatch_ptr 0
		.amdhsa_user_sgpr_queue_ptr 0
		.amdhsa_user_sgpr_kernarg_segment_ptr 1
		.amdhsa_user_sgpr_dispatch_id 0
		.amdhsa_user_sgpr_flat_scratch_init 0
		.amdhsa_user_sgpr_kernarg_preload_length 0
		.amdhsa_user_sgpr_kernarg_preload_offset 0
		.amdhsa_user_sgpr_private_segment_size 0
		.amdhsa_uses_dynamic_stack 0
		.amdhsa_system_sgpr_private_segment_wavefront_offset 0
		.amdhsa_system_sgpr_workgroup_id_x 1
		.amdhsa_system_sgpr_workgroup_id_y 1
		.amdhsa_system_sgpr_workgroup_id_z 0
		.amdhsa_system_sgpr_workgroup_info 0
		.amdhsa_system_vgpr_workitem_id 0
		.amdhsa_next_free_vgpr 8
		.amdhsa_next_free_sgpr 22
		.amdhsa_accum_offset 8
		.amdhsa_reserve_vcc 1
		.amdhsa_reserve_flat_scratch 0
		.amdhsa_float_round_mode_32 0
		.amdhsa_float_round_mode_16_64 0
		.amdhsa_float_denorm_mode_32 3
		.amdhsa_float_denorm_mode_16_64 3
		.amdhsa_dx10_clamp 1
		.amdhsa_ieee_mode 1
		.amdhsa_fp16_overflow 0
		.amdhsa_tg_split 0
		.amdhsa_exception_fp_ieee_invalid_op 0
		.amdhsa_exception_fp_denorm_src 0
		.amdhsa_exception_fp_ieee_div_zero 0
		.amdhsa_exception_fp_ieee_overflow 0
		.amdhsa_exception_fp_ieee_underflow 0
		.amdhsa_exception_fp_ieee_inexact 0
		.amdhsa_exception_int_div_zero 0
	.end_amdhsa_kernel
	.section	.text._ZN9rocsolver6v33100L11set_tridiagIffPfTnNSt9enable_ifIXnt18rocblas_is_complexIT_EEiE4typeELi0EEEv13rocblas_fill_iT1_iilPT0_lSA_l,"axG",@progbits,_ZN9rocsolver6v33100L11set_tridiagIffPfTnNSt9enable_ifIXnt18rocblas_is_complexIT_EEiE4typeELi0EEEv13rocblas_fill_iT1_iilPT0_lSA_l,comdat
.Lfunc_end19:
	.size	_ZN9rocsolver6v33100L11set_tridiagIffPfTnNSt9enable_ifIXnt18rocblas_is_complexIT_EEiE4typeELi0EEEv13rocblas_fill_iT1_iilPT0_lSA_l, .Lfunc_end19-_ZN9rocsolver6v33100L11set_tridiagIffPfTnNSt9enable_ifIXnt18rocblas_is_complexIT_EEiE4typeELi0EEEv13rocblas_fill_iT1_iilPT0_lSA_l
                                        ; -- End function
	.section	.AMDGPU.csdata,"",@progbits
; Kernel info:
; codeLenInByte = 388
; NumSgprs: 26
; NumVgprs: 8
; NumAgprs: 0
; TotalNumVgprs: 8
; ScratchSize: 0
; MemoryBound: 0
; FloatMode: 240
; IeeeMode: 1
; LDSByteSize: 0 bytes/workgroup (compile time only)
; SGPRBlocks: 3
; VGPRBlocks: 0
; NumSGPRsForWavesPerEU: 26
; NumVGPRsForWavesPerEU: 8
; AccumOffset: 8
; Occupancy: 8
; WaveLimiterHint : 0
; COMPUTE_PGM_RSRC2:SCRATCH_EN: 0
; COMPUTE_PGM_RSRC2:USER_SGPR: 6
; COMPUTE_PGM_RSRC2:TRAP_HANDLER: 0
; COMPUTE_PGM_RSRC2:TGID_X_EN: 1
; COMPUTE_PGM_RSRC2:TGID_Y_EN: 1
; COMPUTE_PGM_RSRC2:TGID_Z_EN: 0
; COMPUTE_PGM_RSRC2:TIDIG_COMP_CNT: 0
; COMPUTE_PGM_RSRC3_GFX90A:ACCUM_OFFSET: 1
; COMPUTE_PGM_RSRC3_GFX90A:TG_SPLIT: 0
	.section	.text._ZN9rocsolver6v33100L12sterf_kernelIfEEviPT_lS3_lPiS4_iS2_S2_S2_,"axG",@progbits,_ZN9rocsolver6v33100L12sterf_kernelIfEEviPT_lS3_lPiS4_iS2_S2_S2_,comdat
	.globl	_ZN9rocsolver6v33100L12sterf_kernelIfEEviPT_lS3_lPiS4_iS2_S2_S2_ ; -- Begin function _ZN9rocsolver6v33100L12sterf_kernelIfEEviPT_lS3_lPiS4_iS2_S2_S2_
	.p2align	8
	.type	_ZN9rocsolver6v33100L12sterf_kernelIfEEviPT_lS3_lPiS4_iS2_S2_S2_,@function
_ZN9rocsolver6v33100L12sterf_kernelIfEEviPT_lS3_lPiS4_iS2_S2_S2_: ; @_ZN9rocsolver6v33100L12sterf_kernelIfEEviPT_lS3_lPiS4_iS2_S2_S2_
; %bb.0:
	s_load_dwordx8 s[12:19], s[4:5], 0x8
	s_load_dword s33, s[4:5], 0x0
	s_load_dwordx4 s[20:23], s[4:5], 0x38
	s_ashr_i32 s7, s6, 31
	s_waitcnt lgkmcnt(0)
	s_mul_i32 s0, s6, s15
	s_mul_hi_u32 s1, s6, s14
	s_add_i32 s0, s1, s0
	s_mul_i32 s1, s7, s14
	s_add_i32 s1, s0, s1
	s_mul_i32 s0, s6, s14
	s_lshl_b64 s[10:11], s[0:1], 2
	s_add_u32 s54, s12, s10
	s_mul_i32 s0, s6, s19
	s_mul_hi_u32 s1, s6, s18
	s_addc_u32 s55, s13, s11
	s_add_i32 s0, s1, s0
	s_mul_i32 s1, s7, s18
	s_add_i32 s1, s0, s1
	s_mul_i32 s0, s6, s18
	s_lshl_b64 s[0:1], s[0:1], 2
	s_add_u32 s14, s16, s0
	s_addc_u32 s15, s17, s1
	s_min_i32 s2, s33, s20
	s_cmp_lt_i32 s2, 1
	s_cbranch_scc1 .LBB20_158
; %bb.1:
	s_add_i32 s56, s33, -1
	s_add_u32 s57, s14, -4
	s_addc_u32 s58, s15, -1
	s_add_u32 s59, s54, -4
	s_addc_u32 s60, s55, -1
	s_add_u32 s61, s16, s0
	s_addc_u32 s62, s17, s1
	s_add_u32 s63, s61, -4
	s_addc_u32 s64, s62, -1
	s_add_u32 s65, s12, s10
	s_addc_u32 s66, s13, s11
	s_add_u32 s67, s65, 4
	s_addc_u32 s68, s66, 0
	s_add_u32 s69, s61, 4
	s_mov_b32 s18, 0x667f3bcd
	s_mov_b32 s24, 0.5
	v_mul_f32_e64 v1, s21, s21
	s_addc_u32 s70, s62, 0
	s_mov_b32 s17, 0
	v_mov_b32_e32 v4, 0
	s_mov_b32 s71, 0xf800000
	s_mov_b32 s72, 0x4f800000
	v_mov_b32_e32 v5, 0x260
	s_mov_b32 s19, 0x3ff6a09e
	s_mov_b32 s25, -0.5
	s_mov_b32 s73, 0
	s_mov_b32 s74, 0
	s_branch .LBB20_4
.LBB20_2:                               ;   in Loop: Header=BB20_4 Depth=1
	s_cmp_ge_i32 s41, s20
	s_cselect_b64 s[0:1], -1, 0
	s_cmp_ge_i32 s73, s33
	s_cselect_b64 s[2:3], -1, 0
	s_or_b64 s[2:3], s[2:3], s[0:1]
.LBB20_3:                               ;   in Loop: Header=BB20_4 Depth=1
	s_and_b64 vcc, exec, s[2:3]
	s_mov_b32 s74, s41
	s_cbranch_vccnz .LBB20_158
.LBB20_4:                               ; =>This Loop Header: Depth=1
                                        ;     Child Loop BB20_6 Depth 2
                                        ;       Child Loop BB20_12 Depth 3
                                        ;       Child Loop BB20_19 Depth 3
                                        ;     Child Loop BB20_36 Depth 2
                                        ;     Child Loop BB20_30 Depth 2
                                        ;     Child Loop BB20_42 Depth 2
                                        ;     Child Loop BB20_47 Depth 2
                                        ;     Child Loop BB20_55 Depth 2
                                        ;       Child Loop BB20_57 Depth 3
                                        ;       Child Loop BB20_69 Depth 3
                                        ;     Child Loop BB20_103 Depth 2
                                        ;       Child Loop BB20_105 Depth 3
                                        ;       Child Loop BB20_118 Depth 3
                                        ;     Child Loop BB20_153 Depth 2
                                        ;     Child Loop BB20_157 Depth 2
	s_mov_b32 s16, s73
	s_branch .LBB20_6
.LBB20_5:                               ;   in Loop: Header=BB20_6 Depth=2
	s_andn2_b64 vcc, exec, s[2:3]
	s_mov_b32 s16, s73
	s_cbranch_vccz .LBB20_25
.LBB20_6:                               ;   Parent Loop BB20_4 Depth=1
                                        ; =>  This Loop Header: Depth=2
                                        ;       Child Loop BB20_12 Depth 3
                                        ;       Child Loop BB20_19 Depth 3
	s_cmp_gt_i32 s16, 0
	s_mov_b64 s[0:1], -1
                                        ; implicit-def: $sgpr8_sgpr9
	s_cbranch_scc1 .LBB20_8
; %bb.7:                                ;   in Loop: Header=BB20_6 Depth=2
	s_mov_b64 s[0:1], 0
	s_mov_b64 s[8:9], s[16:17]
.LBB20_8:                               ;   in Loop: Header=BB20_6 Depth=2
	s_andn2_b64 vcc, exec, s[0:1]
	s_cbranch_vccnz .LBB20_10
; %bb.9:                                ;   in Loop: Header=BB20_6 Depth=2
	s_lshl_b64 s[0:1], s[16:17], 2
	s_add_u32 s0, s57, s0
	s_addc_u32 s1, s58, s1
	s_mov_b64 s[8:9], s[16:17]
	global_store_dword v4, v4, s[0:1]
.LBB20_10:                              ;   in Loop: Header=BB20_6 Depth=2
	s_lshl_b64 s[28:29], s[8:9], 2
	s_add_u32 s0, s63, s28
	s_addc_u32 s1, s64, s29
	s_add_u32 s30, s67, s28
	s_addc_u32 s31, s68, s29
	s_mov_b32 s73, s16
	s_branch .LBB20_12
.LBB20_11:                              ;   in Loop: Header=BB20_12 Depth=3
	s_andn2_b64 vcc, exec, s[2:3]
	s_cbranch_vccz .LBB20_14
.LBB20_12:                              ;   Parent Loop BB20_4 Depth=1
                                        ;     Parent Loop BB20_6 Depth=2
                                        ; =>    This Inner Loop Header: Depth=3
	s_mov_b64 s[36:37], -1
	s_mov_b32 s26, s73
	s_cmp_ge_i32 s73, s56
	s_mov_b64 s[2:3], -1
                                        ; implicit-def: $sgpr73
                                        ; implicit-def: $sgpr34_sgpr35
	s_cbranch_scc1 .LBB20_11
; %bb.13:                               ;   in Loop: Header=BB20_12 Depth=3
	global_load_dwordx2 v[2:3], v4, s[30:31] offset:-4
	global_load_dword v0, v4, s[0:1] offset:4
	s_add_u32 s34, s0, 4
	s_addc_u32 s35, s1, 0
	s_add_i32 s73, s26, 1
	s_add_u32 s30, s30, 4
	s_mov_b64 s[36:37], 0
	s_addc_u32 s31, s31, 0
	s_waitcnt vmcnt(1)
	v_mul_f32_e64 v6, |v2|, s72
	v_cmp_lt_f32_e64 vcc, |v2|, s71
	v_mul_f32_e64 v7, |v3|, s72
	v_cndmask_b32_e64 v2, |v2|, v6, vcc
	v_cmp_lt_f32_e64 s[0:1], |v3|, s71
	v_sqrt_f32_e32 v6, v2
	v_cndmask_b32_e64 v3, |v3|, v7, s[0:1]
	v_sqrt_f32_e32 v7, v3
	v_add_u32_e32 v8, -1, v6
	v_fma_f32 v12, -v8, v6, v2
	v_add_u32_e32 v10, -1, v7
	v_add_u32_e32 v9, 1, v6
	v_fma_f32 v14, -v10, v7, v3
	v_cmp_ge_f32_e64 s[2:3], 0, v12
	v_add_u32_e32 v11, 1, v7
	v_fma_f32 v13, -v9, v6, v2
	v_cndmask_b32_e64 v6, v6, v8, s[2:3]
	v_cmp_ge_f32_e64 s[2:3], 0, v14
	v_fma_f32 v15, -v11, v7, v3
	v_cndmask_b32_e64 v7, v7, v10, s[2:3]
	v_cmp_lt_f32_e64 s[2:3], 0, v13
	v_cndmask_b32_e64 v6, v6, v9, s[2:3]
	v_cmp_lt_f32_e64 s[2:3], 0, v15
	v_cndmask_b32_e64 v7, v7, v11, s[2:3]
	v_mul_f32_e32 v8, 0x37800000, v6
	v_mul_f32_e32 v9, 0x37800000, v7
	v_cndmask_b32_e32 v6, v6, v8, vcc
	v_cmp_class_f32_e32 vcc, v2, v5
	v_cndmask_b32_e64 v7, v7, v9, s[0:1]
	v_cndmask_b32_e32 v2, v6, v2, vcc
	v_cmp_class_f32_e32 vcc, v3, v5
	v_cndmask_b32_e32 v3, v7, v3, vcc
	v_mul_f32_e32 v2, v2, v3
	v_mul_f32_e32 v2, s21, v2
	s_waitcnt vmcnt(0)
	v_cmp_le_f32_e64 s[2:3], |v0|, v2
	s_mov_b64 s[0:1], s[34:35]
	s_branch .LBB20_11
.LBB20_14:                              ;   in Loop: Header=BB20_6 Depth=2
	s_andn2_b64 vcc, exec, s[36:37]
	s_mov_b64 s[0:1], -1
	s_cbranch_vccnz .LBB20_21
; %bb.15:                               ;   in Loop: Header=BB20_6 Depth=2
	s_andn2_b64 vcc, exec, s[0:1]
	s_cbranch_vccz .LBB20_22
.LBB20_16:                              ;   in Loop: Header=BB20_6 Depth=2
	s_cmp_lg_u32 s26, s16
	s_mov_b64 s[2:3], -1
	s_cbranch_scc0 .LBB20_23
.LBB20_17:                              ;   in Loop: Header=BB20_6 Depth=2
	s_mov_b32 s27, s17
	s_lshl_b64 s[0:1], s[26:27], 2
	s_add_u32 s30, s54, s0
	s_addc_u32 s31, s55, s1
	global_load_dword v0, v4, s[30:31]
	s_cmp_lt_i32 s16, s26
	s_cselect_b64 s[0:1], -1, 0
	s_cmp_ge_i32 s16, s26
	s_waitcnt vmcnt(0)
	v_and_b32_e32 v6, 0x7fffffff, v0
	s_cbranch_scc1 .LBB20_20
; %bb.18:                               ;   in Loop: Header=BB20_6 Depth=2
	s_add_u32 s34, s65, s28
	s_addc_u32 s35, s66, s29
	s_add_u32 s36, s61, s28
	s_addc_u32 s37, s62, s29
	s_mov_b32 s27, s16
.LBB20_19:                              ;   Parent Loop BB20_4 Depth=1
                                        ;     Parent Loop BB20_6 Depth=2
                                        ; =>    This Inner Loop Header: Depth=3
	global_load_dword v2, v4, s[34:35]
	global_load_dword v3, v4, s[36:37]
	s_add_i32 s27, s27, 1
	s_add_u32 s34, s34, 4
	s_addc_u32 s35, s35, 0
	s_add_u32 s36, s36, 4
	s_addc_u32 s37, s37, 0
	s_cmp_lt_i32 s27, s26
	s_waitcnt vmcnt(0)
	v_max3_f32 v6, v6, |v2|, |v3|
	s_cbranch_scc1 .LBB20_19
.LBB20_20:                              ;   in Loop: Header=BB20_6 Depth=2
	v_cmp_eq_f32_e64 s[36:37], 0, v6
	s_mov_b64 s[34:35], -1
	s_and_b64 vcc, exec, s[36:37]
	s_mov_b32 s27, s16
	s_cbranch_vccz .LBB20_5
	s_branch .LBB20_24
.LBB20_21:                              ;   in Loop: Header=BB20_6 Depth=2
	global_store_dword v4, v4, s[34:35]
	s_cbranch_execnz .LBB20_16
.LBB20_22:                              ;   in Loop: Header=BB20_6 Depth=2
	s_max_i32 s26, s16, s56
	s_add_i32 s73, s26, 1
	s_cmp_lg_u32 s26, s16
	s_mov_b64 s[2:3], -1
	s_cbranch_scc1 .LBB20_17
.LBB20_23:                              ;   in Loop: Header=BB20_6 Depth=2
                                        ; implicit-def: $sgpr34_sgpr35
                                        ; implicit-def: $sgpr30_sgpr31
                                        ; implicit-def: $vgpr0
                                        ; implicit-def: $sgpr0_sgpr1
                                        ; implicit-def: $vgpr6
	s_mov_b32 s27, s16
	s_cbranch_execz .LBB20_5
.LBB20_24:                              ;   in Loop: Header=BB20_6 Depth=2
	s_cmp_ge_i32 s73, s33
	s_mov_b64 s[34:35], 0
	s_cselect_b64 s[2:3], -1, 0
	s_mov_b32 s27, s16
	s_branch .LBB20_5
.LBB20_25:                              ;   in Loop: Header=BB20_4 Depth=1
	s_mov_b64 s[2:3], -1
	s_and_b64 vcc, exec, s[34:35]
                                        ; implicit-def: $sgpr41
	s_cbranch_vccz .LBB20_3
; %bb.26:                               ;   in Loop: Header=BB20_4 Depth=1
	v_cmp_nlt_f32_e32 vcc, s23, v6
	s_cbranch_vccz .LBB20_32
; %bb.27:                               ;   in Loop: Header=BB20_4 Depth=1
	v_cmp_gt_f32_e32 vcc, s22, v6
	s_cbranch_vccz .LBB20_33
; %bb.28:                               ;   in Loop: Header=BB20_4 Depth=1
	s_waitcnt vmcnt(0)
	v_div_scale_f32 v2, s[2:3], s22, s22, v6
	v_rcp_f32_e32 v3, v2
	v_div_scale_f32 v7, vcc, v6, s22, v6
	s_mov_b64 s[2:3], 0
	v_fma_f32 v8, -v2, v3, 1.0
	v_fmac_f32_e32 v3, v8, v3
	v_mul_f32_e32 v8, v7, v3
	v_fma_f32 v9, -v2, v8, v7
	v_fmac_f32_e32 v8, v9, v3
	v_fma_f32 v2, -v2, v8, v7
	v_div_fmas_f32 v2, v2, v3, v8
	v_div_fixup_f32 v2, v2, s22, v6
	v_mul_f32_e32 v3, v0, v2
	s_and_b64 vcc, exec, s[0:1]
	global_store_dword v4, v3, s[30:31]
	s_cbranch_vccz .LBB20_33
; %bb.29:                               ;   in Loop: Header=BB20_4 Depth=1
	s_add_u32 s2, s65, s28
	s_addc_u32 s3, s66, s29
	s_add_u32 s34, s61, s28
	s_addc_u32 s35, s62, s29
	s_mov_b32 s16, s27
.LBB20_30:                              ;   Parent Loop BB20_4 Depth=1
                                        ; =>  This Inner Loop Header: Depth=2
	global_load_dword v3, v4, s[2:3]
	s_add_i32 s16, s16, 1
	s_waitcnt vmcnt(0)
	v_mul_f32_e32 v3, v2, v3
	global_store_dword v4, v3, s[2:3]
	global_load_dword v3, v4, s[34:35]
	s_add_u32 s2, s2, 4
	s_addc_u32 s3, s3, 0
	s_waitcnt vmcnt(0)
	v_mul_f32_e32 v3, v2, v3
	global_store_dword v4, v3, s[34:35]
	s_add_u32 s34, s34, 4
	s_addc_u32 s35, s35, 0
	s_cmp_lt_i32 s16, s26
	s_cbranch_scc1 .LBB20_30
; %bb.31:                               ;   in Loop: Header=BB20_4 Depth=1
	s_mov_b64 s[2:3], -1
	s_branch .LBB20_38
.LBB20_32:                              ;   in Loop: Header=BB20_4 Depth=1
	s_mov_b64 s[2:3], 0
	s_cbranch_execnz .LBB20_34
	s_branch .LBB20_38
.LBB20_33:                              ;   in Loop: Header=BB20_4 Depth=1
	s_branch .LBB20_38
.LBB20_34:                              ;   in Loop: Header=BB20_4 Depth=1
	s_waitcnt vmcnt(0)
	v_div_scale_f32 v2, s[34:35], s23, s23, v6
	v_rcp_f32_e32 v3, v2
	v_div_scale_f32 v7, vcc, v6, s23, v6
	v_fma_f32 v8, -v2, v3, 1.0
	v_fmac_f32_e32 v3, v8, v3
	v_mul_f32_e32 v8, v7, v3
	v_fma_f32 v9, -v2, v8, v7
	v_fmac_f32_e32 v8, v9, v3
	v_fma_f32 v2, -v2, v8, v7
	v_div_fmas_f32 v2, v2, v3, v8
	v_div_fixup_f32 v2, v2, s23, v6
	v_mul_f32_e32 v0, v0, v2
	s_and_b64 vcc, exec, s[0:1]
	global_store_dword v4, v0, s[30:31]
	s_cbranch_vccz .LBB20_38
; %bb.35:                               ;   in Loop: Header=BB20_4 Depth=1
	s_add_u32 s2, s65, s28
	s_addc_u32 s3, s66, s29
	s_add_u32 s34, s61, s28
	s_addc_u32 s35, s62, s29
	s_mov_b32 s16, s27
.LBB20_36:                              ;   Parent Loop BB20_4 Depth=1
                                        ; =>  This Inner Loop Header: Depth=2
	global_load_dword v0, v4, s[2:3]
	s_add_i32 s16, s16, 1
	s_waitcnt vmcnt(0)
	v_mul_f32_e32 v0, v2, v0
	global_store_dword v4, v0, s[2:3]
	global_load_dword v0, v4, s[34:35]
	s_add_u32 s2, s2, 4
	s_addc_u32 s3, s3, 0
	s_waitcnt vmcnt(0)
	v_mul_f32_e32 v0, v2, v0
	global_store_dword v4, v0, s[34:35]
	s_add_u32 s34, s34, 4
	s_addc_u32 s35, s35, 0
	s_cmp_ge_i32 s16, s26
	s_cbranch_scc0 .LBB20_36
; %bb.37:                               ;   in Loop: Header=BB20_4 Depth=1
	s_mov_b64 s[2:3], -1
.LBB20_38:                              ;   in Loop: Header=BB20_4 Depth=1
	v_cndmask_b32_e64 v0, 0, 1, s[0:1]
	s_and_b64 vcc, exec, s[2:3]
	v_cmp_ne_u32_e64 s[0:1], 1, v0
	s_cbranch_vccz .LBB20_48
; %bb.39:                               ;   in Loop: Header=BB20_4 Depth=1
	s_and_b64 vcc, exec, s[0:1]
	s_cbranch_vccnz .LBB20_48
; %bb.40:                               ;   in Loop: Header=BB20_4 Depth=1
	s_add_i32 s2, s27, 1
	s_max_i32 s2, s26, s2
	s_sub_i32 s36, s2, s27
	s_mov_b64 s[34:35], -1
	s_cmp_lt_u32 s36, 2
	s_mov_b32 s16, s27
	s_mov_b64 s[2:3], s[28:29]
	s_cbranch_scc1 .LBB20_45
; %bb.41:                               ;   in Loop: Header=BB20_4 Depth=1
	s_and_b32 s37, s36, -2
	s_mov_b32 s16, s27
	s_mov_b32 s2, s37
.LBB20_42:                              ;   Parent Loop BB20_4 Depth=1
                                        ; =>  This Inner Loop Header: Depth=2
	s_lshl_b64 s[34:35], s[16:17], 2
	s_add_u32 s34, s14, s34
	s_addc_u32 s35, s15, s35
	global_load_dwordx2 v[2:3], v4, s[34:35]
	s_add_i32 s2, s2, -2
	s_add_i32 s16, s16, 2
	s_cmp_lg_u32 s2, 0
	s_waitcnt vmcnt(0)
	v_pk_mul_f32 v[2:3], v[2:3], v[2:3]
	global_store_dwordx2 v4, v[2:3], s[34:35]
	s_cbranch_scc1 .LBB20_42
; %bb.43:                               ;   in Loop: Header=BB20_4 Depth=1
	s_cmp_eq_u32 s36, s37
	s_mov_b64 s[34:35], 0
                                        ; implicit-def: $sgpr2_sgpr3
	s_cbranch_scc1 .LBB20_45
; %bb.44:                               ;   in Loop: Header=BB20_4 Depth=1
	s_add_i32 s16, s27, s37
	s_lshl_b64 s[2:3], s[16:17], 2
	s_mov_b64 s[34:35], -1
.LBB20_45:                              ;   in Loop: Header=BB20_4 Depth=1
	s_and_b64 vcc, exec, s[34:35]
	s_cbranch_vccz .LBB20_48
; %bb.46:                               ;   in Loop: Header=BB20_4 Depth=1
	s_add_u32 s2, s61, s2
	s_addc_u32 s3, s62, s3
.LBB20_47:                              ;   Parent Loop BB20_4 Depth=1
                                        ; =>  This Inner Loop Header: Depth=2
	global_load_dword v0, v4, s[2:3]
	s_add_i32 s16, s16, 1
	s_waitcnt vmcnt(0)
	v_mul_f32_e32 v0, v0, v0
	global_store_dword v4, v0, s[2:3]
	s_add_u32 s2, s2, 4
	s_addc_u32 s3, s3, 0
	s_cmp_lt_i32 s16, s26
	s_cbranch_scc1 .LBB20_47
.LBB20_48:                              ;   in Loop: Header=BB20_4 Depth=1
	s_lshl_b64 s[2:3], s[8:9], 2
	s_add_u32 s2, s54, s2
	s_addc_u32 s3, s55, s3
	global_load_dword v0, v4, s[30:31]
	global_load_dword v2, v4, s[2:3]
	s_mov_b64 s[8:9], -1
                                        ; implicit-def: $sgpr41
	s_waitcnt vmcnt(0)
	v_cmp_lt_f32_e64 s[2:3], |v0|, |v2|
	s_and_b64 s[2:3], s[2:3], exec
	s_cselect_b32 s75, s27, s26
	s_cselect_b32 s34, s26, s27
	s_cmp_lt_i32 s74, s20
	s_cselect_b64 s[2:3], -1, 0
	v_cndmask_b32_e64 v0, 0, 1, s[2:3]
	s_cmp_lt_i32 s75, s34
	v_cmp_ne_u32_e64 s[2:3], 1, v0
	s_cbranch_scc0 .LBB20_51
; %bb.49:                               ;   in Loop: Header=BB20_4 Depth=1
	s_andn2_b64 vcc, exec, s[8:9]
	s_cbranch_vccz .LBB20_53
.LBB20_50:                              ;   in Loop: Header=BB20_4 Depth=1
	v_cmp_lt_f32_e32 vcc, s23, v6
	s_andn2_b64 vcc, exec, vcc
	s_cbranch_vccz .LBB20_151
	s_branch .LBB20_154
.LBB20_51:                              ;   in Loop: Header=BB20_4 Depth=1
	s_and_b64 vcc, exec, s[2:3]
	s_mov_b32 s41, s74
	s_mov_b32 s16, s34
	;; [unrolled: 1-line block ×3, first 2 shown]
	s_cbranch_vccz .LBB20_55
.LBB20_52:                              ;   in Loop: Header=BB20_4 Depth=1
	s_cbranch_execnz .LBB20_50
.LBB20_53:                              ;   in Loop: Header=BB20_4 Depth=1
	s_and_b64 vcc, exec, s[2:3]
	s_cbranch_vccz .LBB20_103
	s_branch .LBB20_150
.LBB20_54:                              ;   in Loop: Header=BB20_55 Depth=2
	s_andn2_b64 vcc, exec, s[36:37]
	s_mov_b32 s16, s46
	s_cbranch_vccz .LBB20_52
.LBB20_55:                              ;   Parent Loop BB20_4 Depth=1
                                        ; =>  This Loop Header: Depth=2
                                        ;       Child Loop BB20_57 Depth 3
                                        ;       Child Loop BB20_69 Depth 3
	s_max_i32 s40, s75, s16
	s_lshl_b64 s[42:43], s[16:17], 2
	s_add_u32 s36, s63, s42
	s_addc_u32 s37, s64, s43
	s_add_u32 s8, s67, s42
	s_addc_u32 s9, s68, s43
	s_mov_b32 s48, s16
	s_branch .LBB20_57
.LBB20_56:                              ;   in Loop: Header=BB20_57 Depth=3
	s_andn2_b64 vcc, exec, s[46:47]
	s_cbranch_vccz .LBB20_59
.LBB20_57:                              ;   Parent Loop BB20_4 Depth=1
                                        ;     Parent Loop BB20_55 Depth=2
                                        ; =>    This Inner Loop Header: Depth=3
	s_mov_b64 s[44:45], -1
	s_mov_b32 s41, s48
	s_cmp_ge_i32 s48, s75
	s_mov_b64 s[46:47], -1
                                        ; implicit-def: $sgpr48
                                        ; implicit-def: $sgpr38_sgpr39
	s_cbranch_scc1 .LBB20_56
; %bb.58:                               ;   in Loop: Header=BB20_57 Depth=3
	global_load_dwordx2 v[2:3], v4, s[8:9] offset:-4
	global_load_dword v0, v4, s[36:37] offset:4
	s_add_u32 s38, s36, 4
	s_addc_u32 s39, s37, 0
	s_add_i32 s48, s41, 1
	s_add_u32 s8, s8, 4
	s_mov_b64 s[44:45], 0
	s_addc_u32 s9, s9, 0
	s_mov_b64 s[36:37], s[38:39]
	s_waitcnt vmcnt(1)
	v_mul_f32_e32 v2, v2, v3
	v_mul_f32_e64 v2, v1, |v2|
	s_waitcnt vmcnt(0)
	v_cmp_le_f32_e64 s[46:47], |v0|, v2
	s_branch .LBB20_56
.LBB20_59:                              ;   in Loop: Header=BB20_55 Depth=2
	s_andn2_b64 vcc, exec, s[44:45]
	s_cbranch_vccz .LBB20_61
; %bb.60:                               ;   in Loop: Header=BB20_55 Depth=2
	s_mov_b32 s40, s41
	global_store_dword v4, v4, s[38:39]
.LBB20_61:                              ;   in Loop: Header=BB20_55 Depth=2
	s_add_i32 s46, s16, 1
	s_cmp_eq_u32 s40, s16
	s_mov_b64 s[36:37], -1
	s_cbranch_scc1 .LBB20_77
; %bb.62:                               ;   in Loop: Header=BB20_55 Depth=2
	s_add_u32 s38, s54, s42
	s_addc_u32 s39, s55, s43
	global_load_dword v2, v4, s[38:39]
	s_cmp_lg_u32 s40, s46
	s_cbranch_scc0 .LBB20_78
; %bb.63:                               ;   in Loop: Header=BB20_55 Depth=2
	s_mov_b64 s[44:45], 0
	s_cmp_lg_u32 s35, s20
	s_mov_b64 s[8:9], 0
                                        ; implicit-def: $sgpr48
	s_cbranch_scc0 .LBB20_82
; %bb.64:                               ;   in Loop: Header=BB20_55 Depth=2
	s_add_u32 s46, s14, s42
	s_addc_u32 s47, s15, s43
	global_load_dword v0, v4, s[46:47]
	s_mov_b32 s41, s17
	s_lshl_b64 s[8:9], s[40:41], 2
	s_add_u32 s8, s54, s8
	s_addc_u32 s9, s55, s9
	global_load_dword v3, v4, s[8:9]
	global_load_dword v7, v4, s[38:39] offset:4
	s_cmp_le_i32 s40, s16
	s_waitcnt vmcnt(2)
	v_mul_f32_e32 v8, 0x4f800000, v0
	v_cmp_gt_f32_e32 vcc, s71, v0
	v_cndmask_b32_e32 v0, v0, v8, vcc
	v_sqrt_f32_e32 v8, v0
	s_waitcnt vmcnt(0)
	v_sub_f32_e32 v7, v7, v2
	v_add_u32_e32 v9, -1, v8
	v_add_u32_e32 v10, 1, v8
	v_fma_f32 v11, -v9, v8, v0
	v_fma_f32 v12, -v10, v8, v0
	v_cmp_ge_f32_e64 s[8:9], 0, v11
	v_cndmask_b32_e64 v8, v8, v9, s[8:9]
	v_cmp_lt_f32_e64 s[8:9], 0, v12
	v_cndmask_b32_e64 v8, v8, v10, s[8:9]
	v_mul_f32_e32 v9, 0x37800000, v8
	v_cndmask_b32_e32 v8, v8, v9, vcc
	v_cmp_class_f32_e32 vcc, v0, v5
	v_cndmask_b32_e32 v0, v8, v0, vcc
	v_add_f32_e32 v8, v0, v0
	v_div_scale_f32 v9, s[8:9], v8, v8, v7
	v_rcp_f32_e32 v10, v9
	v_div_scale_f32 v11, vcc, v7, v8, v7
	v_fma_f32 v12, -v9, v10, 1.0
	v_fmac_f32_e32 v10, v12, v10
	v_mul_f32_e32 v12, v11, v10
	v_fma_f32 v13, -v9, v12, v11
	v_fmac_f32_e32 v12, v13, v10
	v_fma_f32 v9, -v9, v12, v11
	v_div_fmas_f32 v9, v9, v10, v12
	v_div_fixup_f32 v7, v9, v8, v7
	v_fma_f32 v8, v7, v7, 1.0
	v_mul_f32_e32 v9, 0x4f800000, v8
	v_cmp_gt_f32_e32 vcc, s71, v8
	v_cndmask_b32_e32 v8, v8, v9, vcc
	v_sqrt_f32_e32 v9, v8
	v_add_u32_e32 v10, -1, v9
	v_add_u32_e32 v11, 1, v9
	v_fma_f32 v12, -v10, v9, v8
	v_fma_f32 v13, -v11, v9, v8
	v_cmp_ge_f32_e64 s[8:9], 0, v12
	v_cndmask_b32_e64 v9, v9, v10, s[8:9]
	v_cmp_lt_f32_e64 s[8:9], 0, v13
	v_cndmask_b32_e64 v9, v9, v11, s[8:9]
	v_mul_f32_e32 v10, 0x37800000, v9
	v_cndmask_b32_e32 v9, v9, v10, vcc
	v_cmp_class_f32_e32 vcc, v8, v5
	v_cndmask_b32_e32 v8, v9, v8, vcc
	v_cmp_nle_f32_e32 vcc, 0, v7
	v_cndmask_b32_e64 v8, |v8|, -|v8|, vcc
	v_add_f32_e32 v7, v7, v8
	v_div_scale_f32 v8, s[8:9], v7, v7, v0
	v_rcp_f32_e32 v9, v8
	v_div_scale_f32 v10, vcc, v0, v7, v0
	v_fma_f32 v11, -v8, v9, 1.0
	v_fmac_f32_e32 v9, v11, v9
	v_mul_f32_e32 v11, v10, v9
	v_fma_f32 v12, -v8, v11, v10
	v_fmac_f32_e32 v11, v12, v9
	v_fma_f32 v8, -v8, v11, v10
	v_div_fmas_f32 v8, v8, v9, v11
	v_div_fixup_f32 v0, v8, v7, v0
	v_sub_f32_e32 v0, v2, v0
	v_sub_f32_e32 v8, v3, v0
	v_mul_f32_e32 v9, v8, v8
	v_mov_b32_e32 v7, 0
	s_cbranch_scc1 .LBB20_81
; %bb.65:                               ;   in Loop: Header=BB20_55 Depth=2
	s_ashr_i32 s41, s40, 31
	s_lshl_b64 s[8:9], s[40:41], 2
	s_add_u32 s48, s57, s8
	s_addc_u32 s49, s58, s9
	global_load_dword v3, v4, s[48:49]
	s_add_u32 s48, s59, s8
	s_addc_u32 s49, s60, s9
	global_load_dword v11, v4, s[48:49]
	s_add_u32 s48, s54, s8
	s_addc_u32 s49, s55, s9
	s_waitcnt vmcnt(1)
	v_add_f32_e32 v7, v9, v3
	v_div_scale_f32 v10, s[8:9], v7, v7, v9
	v_div_scale_f32 v13, s[8:9], v7, v7, v3
	v_rcp_f32_e32 v14, v10
	v_rcp_f32_e32 v15, v13
	v_div_scale_f32 v12, vcc, v9, v7, v9
	v_fma_f32 v18, -v10, v14, 1.0
	v_fma_f32 v19, -v13, v15, 1.0
	v_fmac_f32_e32 v14, v18, v14
	v_div_scale_f32 v16, s[8:9], v3, v7, v3
	v_fmac_f32_e32 v15, v19, v15
	v_mul_f32_e32 v18, v12, v14
	v_mul_f32_e32 v19, v16, v15
	v_fma_f32 v20, -v10, v18, v12
	v_fma_f32 v21, -v13, v19, v16
	v_fmac_f32_e32 v18, v20, v14
	v_fmac_f32_e32 v19, v21, v15
	v_fma_f32 v10, -v10, v18, v12
	v_fma_f32 v12, -v13, v19, v16
	v_div_fmas_f32 v10, v10, v14, v18
	s_mov_b64 vcc, s[8:9]
	v_div_fixup_f32 v9, v10, v7, v9
	v_div_fmas_f32 v10, v12, v15, v19
	v_div_fixup_f32 v7, v10, v7, v3
	s_waitcnt vmcnt(0)
	v_sub_f32_e32 v17, v11, v0
	v_mul_f32_e32 v10, v8, v7
	v_fma_f32 v10, v9, v17, -v10
	v_cmp_eq_f32_e32 vcc, 0, v9
	v_sub_f32_e32 v11, v11, v10
	v_add_f32_e32 v8, v8, v11
	global_store_dword v4, v8, s[48:49]
	s_cbranch_vccnz .LBB20_67
; %bb.66:                               ;   in Loop: Header=BB20_55 Depth=2
	v_mul_f32_e32 v3, v10, v10
	v_div_scale_f32 v8, s[8:9], v9, v9, v3
	v_rcp_f32_e32 v11, v8
	v_div_scale_f32 v12, vcc, v3, v9, v3
	v_fma_f32 v13, -v8, v11, 1.0
	v_fmac_f32_e32 v11, v13, v11
	v_mul_f32_e32 v13, v12, v11
	v_fma_f32 v14, -v8, v13, v12
	v_fmac_f32_e32 v13, v14, v11
	v_fma_f32 v8, -v8, v13, v12
	v_div_fmas_f32 v8, v8, v11, v13
	v_div_fixup_f32 v3, v8, v9, v3
.LBB20_67:                              ;   in Loop: Header=BB20_55 Depth=2
	s_add_i32 s8, s40, -1
	s_cmp_le_i32 s8, s16
	s_cbranch_scc1 .LBB20_79
; %bb.68:                               ;   in Loop: Header=BB20_55 Depth=2
	s_add_i32 s8, s40, -2
	s_ashr_i32 s9, s8, 31
	s_lshl_b64 s[8:9], s[8:9], 2
	s_add_u32 s50, s67, s8
	s_addc_u32 s51, s68, s9
	s_add_u32 s8, s69, s8
	s_addc_u32 s9, s70, s9
	s_mov_b32 s41, -1
.LBB20_69:                              ;   Parent Loop BB20_4 Depth=1
                                        ;     Parent Loop BB20_55 Depth=2
                                        ; =>    This Inner Loop Header: Depth=3
	global_load_dword v11, v4, s[8:9] offset:-4
	s_add_u32 s48, s8, -4
	s_addc_u32 s49, s9, -1
	s_cmp_eq_u32 s41, 0
	s_waitcnt vmcnt(0)
	v_add_f32_e32 v8, v3, v11
	s_cbranch_scc1 .LBB20_71
; %bb.70:                               ;   in Loop: Header=BB20_69 Depth=3
	v_mul_f32_e32 v7, v7, v8
	global_store_dword v4, v7, s[8:9]
.LBB20_71:                              ;   in Loop: Header=BB20_69 Depth=3
	global_load_dword v13, v4, s[50:51] offset:-4
	v_div_scale_f32 v7, s[8:9], v8, v8, v3
	v_div_scale_f32 v14, s[8:9], v8, v8, v11
	v_rcp_f32_e32 v16, v7
	v_rcp_f32_e32 v17, v14
	v_div_scale_f32 v12, vcc, v3, v8, v3
	v_fma_f32 v18, -v7, v16, 1.0
	v_fma_f32 v19, -v14, v17, 1.0
	v_fmac_f32_e32 v16, v18, v16
	v_div_scale_f32 v15, s[8:9], v11, v8, v11
	v_fmac_f32_e32 v17, v19, v17
	v_mul_f32_e32 v18, v12, v16
	v_mul_f32_e32 v19, v15, v17
	v_fma_f32 v20, -v7, v18, v12
	v_fma_f32 v21, -v14, v19, v15
	v_fmac_f32_e32 v18, v20, v16
	v_fmac_f32_e32 v19, v21, v17
	v_fma_f32 v7, -v7, v18, v12
	v_fma_f32 v14, -v14, v19, v15
	v_div_fmas_f32 v7, v7, v16, v18
	s_mov_b64 vcc, s[8:9]
	v_div_fixup_f32 v12, v7, v8, v3
	v_div_fmas_f32 v3, v14, v17, v19
	v_div_fixup_f32 v7, v3, v8, v11
	v_mul_f32_e32 v3, v10, v7
	s_add_u32 s52, s50, -4
	v_cmp_eq_f32_e32 vcc, 0, v12
	s_addc_u32 s53, s51, -1
	s_and_b64 vcc, exec, vcc
	s_waitcnt vmcnt(0)
	v_sub_f32_e32 v8, v13, v0
	v_fma_f32 v8, v12, v8, -v3
	v_sub_f32_e32 v3, v13, v8
	v_add_f32_e32 v3, v10, v3
	global_store_dword v4, v3, s[50:51]
	s_cbranch_vccz .LBB20_76
; %bb.72:                               ;   in Loop: Header=BB20_69 Depth=3
	v_mul_f32_e32 v3, v9, v11
	s_cbranch_execnz .LBB20_74
.LBB20_73:                              ;   in Loop: Header=BB20_69 Depth=3
	v_mul_f32_e32 v3, v8, v8
	v_div_scale_f32 v9, s[8:9], v12, v12, v3
	v_rcp_f32_e32 v10, v9
	v_div_scale_f32 v11, vcc, v3, v12, v3
	v_fma_f32 v13, -v9, v10, 1.0
	v_fmac_f32_e32 v10, v13, v10
	v_mul_f32_e32 v13, v11, v10
	v_fma_f32 v14, -v9, v13, v11
	v_fmac_f32_e32 v13, v14, v10
	v_fma_f32 v9, -v9, v13, v11
	v_div_fmas_f32 v9, v9, v10, v13
	v_div_fixup_f32 v3, v9, v12, v3
.LBB20_74:                              ;   in Loop: Header=BB20_69 Depth=3
	s_add_i32 s41, s41, -1
	s_add_i32 s8, s40, s41
	s_cmp_le_i32 s8, s16
	s_cbranch_scc1 .LBB20_80
; %bb.75:                               ;   in Loop: Header=BB20_69 Depth=3
	s_mov_b64 s[8:9], s[48:49]
	s_mov_b64 s[50:51], s[52:53]
	v_mov_b32_e32 v9, v12
	v_mov_b32_e32 v10, v8
	s_branch .LBB20_69
.LBB20_76:                              ;   in Loop: Header=BB20_69 Depth=3
                                        ; implicit-def: $vgpr3
	s_branch .LBB20_73
.LBB20_77:                              ;   in Loop: Header=BB20_55 Depth=2
                                        ; implicit-def: $sgpr41
	s_cbranch_execz .LBB20_54
	s_branch .LBB20_101
.LBB20_78:                              ;   in Loop: Header=BB20_55 Depth=2
	s_mov_b64 s[8:9], 0
                                        ; implicit-def: $sgpr41
                                        ; implicit-def: $sgpr46
                                        ; implicit-def: $sgpr48
	s_cbranch_execnz .LBB20_83
	s_branch .LBB20_100
.LBB20_79:                              ;   in Loop: Header=BB20_55 Depth=2
	v_mov_b32_e32 v8, v10
.LBB20_80:                              ;   in Loop: Header=BB20_55 Depth=2
	v_mov_b32_e32 v9, v3
.LBB20_81:                              ;   in Loop: Header=BB20_55 Depth=2
	v_mul_f32_e32 v3, v7, v9
	v_add_f32_e32 v0, v0, v8
	s_add_i32 s48, s35, 1
	global_store_dword v4, v3, s[46:47]
	global_store_dword v4, v0, s[38:39]
	s_mov_b64 s[8:9], -1
.LBB20_82:                              ;   in Loop: Header=BB20_55 Depth=2
	s_mov_b32 s41, s20
	s_mov_b32 s46, s16
	s_and_b64 vcc, exec, s[44:45]
	s_cbranch_vccz .LBB20_100
.LBB20_83:                              ;   in Loop: Header=BB20_55 Depth=2
	s_add_u32 s42, s14, s42
	s_addc_u32 s43, s15, s43
	global_load_dword v0, v4, s[42:43]
	s_mov_b32 s41, s17
	s_lshl_b64 s[8:9], s[40:41], 2
	s_add_u32 s40, s54, s8
	s_addc_u32 s41, s55, s9
	global_load_dword v3, v4, s[40:41]
	s_waitcnt vmcnt(1)
	v_mul_f32_e32 v7, 0x4f800000, v0
	v_cmp_gt_f32_e32 vcc, s71, v0
	v_cndmask_b32_e32 v0, v0, v7, vcc
	v_sqrt_f32_e32 v7, v0
	s_waitcnt vmcnt(0)
	v_sub_f32_e32 v8, v2, v3
	v_add_u32_e32 v9, -1, v7
	v_add_u32_e32 v10, 1, v7
	v_fma_f32 v11, -v9, v7, v0
	v_fma_f32 v12, -v10, v7, v0
	v_cmp_ge_f32_e64 s[8:9], 0, v11
	v_cndmask_b32_e64 v7, v7, v9, s[8:9]
	v_cmp_lt_f32_e64 s[8:9], 0, v12
	v_cndmask_b32_e64 v7, v7, v10, s[8:9]
	v_mul_f32_e32 v9, 0x37800000, v7
	v_cndmask_b32_e32 v7, v7, v9, vcc
	v_cmp_class_f32_e32 vcc, v0, v5
	v_cndmask_b32_e32 v7, v7, v0, vcc
	v_add_f32_e32 v9, v7, v7
	v_cmp_ngt_f32_e64 s[8:9], |v8|, |v9|
	v_and_b32_e32 v10, 0x7fffffff, v9
	s_and_b64 vcc, exec, s[8:9]
	s_cbranch_vccz .LBB20_86
; %bb.84:                               ;   in Loop: Header=BB20_55 Depth=2
	v_cmp_nlt_f32_e64 s[8:9], |v8|, |v9|
	s_and_b64 vcc, exec, s[8:9]
	s_cbranch_vccz .LBB20_87
; %bb.85:                               ;   in Loop: Header=BB20_55 Depth=2
	v_cvt_f64_f32_e32 v[12:13], v10
	v_mul_f64 v[12:13], v[12:13], s[18:19]
	v_cvt_f32_f64_e32 v0, v[12:13]
	s_cbranch_execz .LBB20_88
	s_branch .LBB20_89
.LBB20_86:                              ;   in Loop: Header=BB20_55 Depth=2
                                        ; implicit-def: $vgpr0
	s_branch .LBB20_90
.LBB20_87:                              ;   in Loop: Header=BB20_55 Depth=2
                                        ; implicit-def: $vgpr0
.LBB20_88:                              ;   in Loop: Header=BB20_55 Depth=2
	v_and_b32_e32 v0, 0x7fffffff, v8
	v_div_scale_f32 v11, s[8:9], v10, v10, v0
	v_rcp_f32_e32 v12, v11
	v_div_scale_f32 v0, vcc, v0, v10, v0
	v_fma_f32 v13, -v11, v12, 1.0
	v_fmac_f32_e32 v12, v13, v12
	v_mul_f32_e32 v13, v0, v12
	v_fma_f32 v14, -v11, v13, v0
	v_fmac_f32_e32 v13, v14, v12
	v_fma_f32 v0, -v11, v13, v0
	v_div_fmas_f32 v0, v0, v12, v13
	v_div_fixup_f32 v0, v0, |v9|, |v8|
	v_fma_f32 v0, v0, v0, 1.0
	v_mul_f32_e32 v11, 0x4f800000, v0
	v_cmp_gt_f32_e32 vcc, s71, v0
	v_cndmask_b32_e32 v0, v0, v11, vcc
	v_sqrt_f32_e32 v11, v0
	v_add_u32_e32 v12, -1, v11
	v_fma_f32 v13, -v12, v11, v0
	v_cmp_ge_f32_e64 s[8:9], 0, v13
	v_add_u32_e32 v13, 1, v11
	v_cndmask_b32_e64 v12, v11, v12, s[8:9]
	v_fma_f32 v11, -v13, v11, v0
	v_cmp_lt_f32_e64 s[8:9], 0, v11
	v_cndmask_b32_e64 v11, v12, v13, s[8:9]
	v_mul_f32_e32 v12, 0x37800000, v11
	v_cndmask_b32_e32 v11, v11, v12, vcc
	v_cmp_class_f32_e32 vcc, v0, v5
	v_cndmask_b32_e32 v0, v11, v0, vcc
	v_mul_f32_e64 v0, |v9|, v0
.LBB20_89:                              ;   in Loop: Header=BB20_55 Depth=2
	s_cbranch_execnz .LBB20_91
.LBB20_90:                              ;   in Loop: Header=BB20_55 Depth=2
	v_and_b32_e32 v0, 0x7fffffff, v8
	v_div_scale_f32 v11, s[8:9], v0, v0, v10
	v_rcp_f32_e32 v12, v11
	v_div_scale_f32 v0, vcc, v10, v0, v10
	v_fma_f32 v10, -v11, v12, 1.0
	v_fmac_f32_e32 v12, v10, v12
	v_mul_f32_e32 v10, v0, v12
	v_fma_f32 v13, -v11, v10, v0
	v_fmac_f32_e32 v10, v13, v12
	v_fma_f32 v0, -v11, v10, v0
	v_div_fmas_f32 v0, v0, v12, v10
	v_div_fixup_f32 v0, v0, |v8|, |v9|
	v_fma_f32 v0, v0, v0, 1.0
	v_mul_f32_e32 v9, 0x4f800000, v0
	v_cmp_gt_f32_e32 vcc, s71, v0
	v_cndmask_b32_e32 v0, v0, v9, vcc
	v_sqrt_f32_e32 v9, v0
	v_add_u32_e32 v10, -1, v9
	v_fma_f32 v11, -v10, v9, v0
	v_cmp_ge_f32_e64 s[8:9], 0, v11
	v_add_u32_e32 v11, 1, v9
	v_cndmask_b32_e64 v10, v9, v10, s[8:9]
	v_fma_f32 v9, -v11, v9, v0
	v_cmp_lt_f32_e64 s[8:9], 0, v9
	v_cndmask_b32_e64 v9, v10, v11, s[8:9]
	v_mul_f32_e32 v10, 0x37800000, v9
	v_cndmask_b32_e32 v9, v9, v10, vcc
	v_cmp_class_f32_e32 vcc, v0, v5
	v_cndmask_b32_e32 v0, v9, v0, vcc
	v_mul_f32_e64 v0, |v8|, v0
.LBB20_91:                              ;   in Loop: Header=BB20_55 Depth=2
	v_add_f32_e32 v9, v2, v3
	v_cmp_gt_f32_e64 vcc, |v2|, |v3|
	v_cndmask_b32_e32 v8, v2, v3, vcc
	v_cndmask_b32_e32 v10, v3, v2, vcc
	v_cmp_ngt_f32_e32 vcc, 0, v9
	s_cbranch_vccz .LBB20_94
; %bb.92:                               ;   in Loop: Header=BB20_55 Depth=2
	v_cmp_nlt_f32_e32 vcc, 0, v9
	s_cbranch_vccz .LBB20_95
; %bb.93:                               ;   in Loop: Header=BB20_55 Depth=2
	v_pk_mul_f32 v[2:3], v[0:1], s[24:25] op_sel_hi:[0,1]
	s_cbranch_execz .LBB20_96
	s_branch .LBB20_97
.LBB20_94:                              ;   in Loop: Header=BB20_55 Depth=2
                                        ; implicit-def: $vgpr3
	s_branch .LBB20_98
.LBB20_95:                              ;   in Loop: Header=BB20_55 Depth=2
                                        ; implicit-def: $vgpr3
.LBB20_96:                              ;   in Loop: Header=BB20_55 Depth=2
	v_add_f32_e32 v2, v9, v0
	v_mul_f32_e32 v2, 0.5, v2
	v_cvt_f64_f32_e32 v[12:13], v10
	v_cvt_f64_f32_e32 v[14:15], v2
	v_div_scale_f64 v[16:17], s[8:9], v[14:15], v[14:15], v[12:13]
	v_rcp_f64_e32 v[18:19], v[16:17]
	v_fma_f64 v[20:21], -v[16:17], v[18:19], 1.0
	v_fmac_f64_e32 v[18:19], v[18:19], v[20:21]
	v_fma_f64 v[20:21], -v[16:17], v[18:19], 1.0
	v_fmac_f64_e32 v[18:19], v[18:19], v[20:21]
	v_div_scale_f64 v[20:21], vcc, v[12:13], v[14:15], v[12:13]
	v_mul_f64 v[22:23], v[20:21], v[18:19]
	v_fma_f64 v[16:17], -v[16:17], v[22:23], v[20:21]
	v_cvt_f64_f32_e32 v[20:21], v7
	v_div_scale_f64 v[24:25], s[8:9], v[14:15], v[14:15], v[20:21]
	v_rcp_f64_e32 v[26:27], v[24:25]
	v_div_fmas_f64 v[16:17], v[16:17], v[18:19], v[22:23]
	v_div_fixup_f64 v[12:13], v[16:17], v[14:15], v[12:13]
	v_cvt_f64_f32_e32 v[16:17], v8
	v_fma_f64 v[18:19], -v[24:25], v[26:27], 1.0
	v_fmac_f64_e32 v[26:27], v[26:27], v[18:19]
	v_fma_f64 v[18:19], -v[24:25], v[26:27], 1.0
	v_fmac_f64_e32 v[26:27], v[26:27], v[18:19]
	v_div_scale_f64 v[18:19], vcc, v[20:21], v[14:15], v[20:21]
	v_mul_f64 v[22:23], v[18:19], v[26:27]
	v_fma_f64 v[18:19], -v[24:25], v[22:23], v[18:19]
	s_nop 1
	v_div_fmas_f64 v[18:19], v[18:19], v[26:27], v[22:23]
	v_div_fixup_f64 v[14:15], v[18:19], v[14:15], v[20:21]
	v_mul_f64 v[14:15], v[14:15], v[20:21]
	v_fma_f64 v[12:13], v[12:13], v[16:17], -v[14:15]
	v_cvt_f32_f64_e32 v3, v[12:13]
.LBB20_97:                              ;   in Loop: Header=BB20_55 Depth=2
	s_cbranch_execnz .LBB20_99
.LBB20_98:                              ;   in Loop: Header=BB20_55 Depth=2
	v_sub_f32_e32 v0, v9, v0
	v_mul_f32_e32 v2, 0.5, v0
	v_cvt_f64_f32_e32 v[10:11], v10
	v_cvt_f64_f32_e32 v[12:13], v2
	v_div_scale_f64 v[14:15], s[8:9], v[12:13], v[12:13], v[10:11]
	v_rcp_f64_e32 v[16:17], v[14:15]
	v_cvt_f64_f32_e32 v[8:9], v8
	v_fma_f64 v[18:19], -v[14:15], v[16:17], 1.0
	v_fmac_f64_e32 v[16:17], v[16:17], v[18:19]
	v_fma_f64 v[18:19], -v[14:15], v[16:17], 1.0
	v_fmac_f64_e32 v[16:17], v[16:17], v[18:19]
	v_div_scale_f64 v[18:19], vcc, v[10:11], v[12:13], v[10:11]
	v_mul_f64 v[20:21], v[18:19], v[16:17]
	v_fma_f64 v[14:15], -v[14:15], v[20:21], v[18:19]
	v_cvt_f64_f32_e32 v[18:19], v7
	v_div_scale_f64 v[22:23], s[8:9], v[12:13], v[12:13], v[18:19]
	v_rcp_f64_e32 v[24:25], v[22:23]
	v_div_fmas_f64 v[14:15], v[14:15], v[16:17], v[20:21]
	v_div_fixup_f64 v[10:11], v[14:15], v[12:13], v[10:11]
	v_fma_f64 v[14:15], -v[22:23], v[24:25], 1.0
	v_fmac_f64_e32 v[24:25], v[24:25], v[14:15]
	v_fma_f64 v[14:15], -v[22:23], v[24:25], 1.0
	v_fmac_f64_e32 v[24:25], v[24:25], v[14:15]
	v_div_scale_f64 v[14:15], vcc, v[18:19], v[12:13], v[18:19]
	v_mul_f64 v[16:17], v[14:15], v[24:25]
	v_fma_f64 v[14:15], -v[22:23], v[16:17], v[14:15]
	s_nop 1
	v_div_fmas_f64 v[14:15], v[14:15], v[24:25], v[16:17]
	v_div_fixup_f64 v[12:13], v[14:15], v[12:13], v[18:19]
	v_mul_f64 v[12:13], v[12:13], v[18:19]
	v_fma_f64 v[8:9], v[10:11], v[8:9], -v[12:13]
	v_cvt_f32_f64_e32 v3, v[8:9]
.LBB20_99:                              ;   in Loop: Header=BB20_55 Depth=2
	s_add_i32 s46, s16, 2
	s_mov_b64 s[8:9], -1
	s_mov_b32 s48, s35
	global_store_dword v4, v2, s[38:39]
	global_store_dword v4, v3, s[40:41]
	;; [unrolled: 1-line block ×3, first 2 shown]
                                        ; implicit-def: $sgpr41
.LBB20_100:                             ;   in Loop: Header=BB20_55 Depth=2
	s_mov_b32 s35, s48
	s_and_b64 vcc, exec, s[8:9]
	s_cbranch_vccz .LBB20_54
.LBB20_101:                             ;   in Loop: Header=BB20_55 Depth=2
	s_cmp_gt_i32 s46, s75
	s_cselect_b64 s[8:9], -1, 0
	s_cmp_ge_i32 s35, s20
	s_cselect_b64 s[36:37], -1, 0
	s_or_b64 s[36:37], s[8:9], s[36:37]
	s_mov_b32 s41, s35
	s_branch .LBB20_54
.LBB20_102:                             ;   in Loop: Header=BB20_103 Depth=2
	s_andn2_b64 vcc, exec, s[8:9]
	s_mov_b32 s34, s16
	s_cbranch_vccz .LBB20_149
.LBB20_103:                             ;   Parent Loop BB20_4 Depth=1
                                        ; =>  This Loop Header: Depth=2
                                        ;       Child Loop BB20_105 Depth 3
                                        ;       Child Loop BB20_118 Depth 3
	s_ashr_i32 s35, s34, 31
	s_min_i32 s38, s75, s34
	s_lshl_b64 s[2:3], s[34:35], 2
	s_add_u32 s36, s65, s2
	s_addc_u32 s37, s66, s3
	s_add_u32 s8, s69, s2
	s_addc_u32 s9, s70, s3
	s_mov_b32 s35, s34
	s_branch .LBB20_105
.LBB20_104:                             ;   in Loop: Header=BB20_105 Depth=3
	s_andn2_b64 vcc, exec, s[42:43]
	s_cbranch_vccz .LBB20_107
.LBB20_105:                             ;   Parent Loop BB20_4 Depth=1
                                        ;     Parent Loop BB20_103 Depth=2
                                        ; =>    This Inner Loop Header: Depth=3
	s_mov_b64 s[40:41], -1
	s_mov_b32 s16, s35
	s_cmp_le_i32 s35, s75
	s_mov_b64 s[42:43], -1
                                        ; implicit-def: $sgpr35
	s_cbranch_scc1 .LBB20_104
; %bb.106:                              ;   in Loop: Header=BB20_105 Depth=3
	global_load_dwordx2 v[2:3], v4, s[36:37] offset:-4
	global_load_dword v0, v4, s[8:9] offset:-8
	s_add_i32 s35, s16, -1
	s_add_u32 s36, s36, -4
	s_addc_u32 s37, s37, -1
	s_add_u32 s8, s8, -4
	s_mov_b64 s[40:41], 0
	s_addc_u32 s9, s9, -1
	s_waitcnt vmcnt(1)
	v_mul_f32_e32 v2, v3, v2
	v_mul_f32_e64 v2, v1, |v2|
	s_waitcnt vmcnt(0)
	v_cmp_le_f32_e64 s[42:43], |v0|, v2
	s_branch .LBB20_104
.LBB20_107:                             ;   in Loop: Header=BB20_103 Depth=2
	s_andn2_b64 vcc, exec, s[40:41]
	s_cbranch_vccz .LBB20_109
; %bb.108:                              ;   in Loop: Header=BB20_103 Depth=2
	s_mov_b32 s38, s16
	global_store_dword v4, v4, s[8:9] offset:-4
.LBB20_109:                             ;   in Loop: Header=BB20_103 Depth=2
	s_add_i32 s16, s34, -1
	s_cmp_eq_u32 s38, s34
	s_mov_b64 s[8:9], -1
	s_cbranch_scc1 .LBB20_124
; %bb.110:                              ;   in Loop: Header=BB20_103 Depth=2
	s_add_u32 s36, s54, s2
	s_addc_u32 s37, s55, s3
	global_load_dword v2, v4, s[36:37]
	s_cmp_lg_u32 s38, s16
	s_cbranch_scc0 .LBB20_125
; %bb.111:                              ;   in Loop: Header=BB20_103 Depth=2
	s_mov_b64 s[40:41], 0
	s_cmp_lg_u32 s74, s20
	s_mov_b64 s[42:43], 0
                                        ; implicit-def: $sgpr35
	s_cbranch_scc0 .LBB20_129
; %bb.112:                              ;   in Loop: Header=BB20_103 Depth=2
	s_add_u32 s42, s57, s2
	s_addc_u32 s43, s58, s3
	global_load_dword v0, v4, s[42:43]
	s_ashr_i32 s39, s38, 31
	s_lshl_b64 s[46:47], s[38:39], 2
	s_add_u32 s44, s54, s46
	s_addc_u32 s45, s55, s47
	global_load_dword v3, v4, s[44:45]
	global_load_dword v7, v4, s[36:37] offset:-4
	s_cmp_ge_i32 s38, s34
	s_waitcnt vmcnt(2)
	v_mul_f32_e32 v8, 0x4f800000, v0
	v_cmp_gt_f32_e32 vcc, s71, v0
	v_cndmask_b32_e32 v0, v0, v8, vcc
	v_sqrt_f32_e32 v8, v0
	s_waitcnt vmcnt(0)
	v_sub_f32_e32 v7, v7, v2
	v_add_u32_e32 v9, -1, v8
	v_add_u32_e32 v10, 1, v8
	v_fma_f32 v11, -v9, v8, v0
	v_fma_f32 v12, -v10, v8, v0
	v_cmp_ge_f32_e64 s[2:3], 0, v11
	v_cndmask_b32_e64 v8, v8, v9, s[2:3]
	v_cmp_lt_f32_e64 s[2:3], 0, v12
	v_cndmask_b32_e64 v8, v8, v10, s[2:3]
	v_mul_f32_e32 v9, 0x37800000, v8
	v_cndmask_b32_e32 v8, v8, v9, vcc
	v_cmp_class_f32_e32 vcc, v0, v5
	v_cndmask_b32_e32 v0, v8, v0, vcc
	v_add_f32_e32 v8, v0, v0
	v_div_scale_f32 v9, s[2:3], v8, v8, v7
	v_rcp_f32_e32 v10, v9
	v_div_scale_f32 v11, vcc, v7, v8, v7
	v_fma_f32 v12, -v9, v10, 1.0
	v_fmac_f32_e32 v10, v12, v10
	v_mul_f32_e32 v12, v11, v10
	v_fma_f32 v13, -v9, v12, v11
	v_fmac_f32_e32 v12, v13, v10
	v_fma_f32 v9, -v9, v12, v11
	v_div_fmas_f32 v9, v9, v10, v12
	v_div_fixup_f32 v7, v9, v8, v7
	v_fma_f32 v8, v7, v7, 1.0
	v_mul_f32_e32 v9, 0x4f800000, v8
	v_cmp_gt_f32_e32 vcc, s71, v8
	v_cndmask_b32_e32 v8, v8, v9, vcc
	v_sqrt_f32_e32 v9, v8
	v_add_u32_e32 v10, -1, v9
	v_add_u32_e32 v11, 1, v9
	v_fma_f32 v12, -v10, v9, v8
	v_fma_f32 v13, -v11, v9, v8
	v_cmp_ge_f32_e64 s[2:3], 0, v12
	v_cndmask_b32_e64 v9, v9, v10, s[2:3]
	v_cmp_lt_f32_e64 s[2:3], 0, v13
	v_cndmask_b32_e64 v9, v9, v11, s[2:3]
	v_mul_f32_e32 v10, 0x37800000, v9
	v_cndmask_b32_e32 v9, v9, v10, vcc
	v_cmp_class_f32_e32 vcc, v8, v5
	v_cndmask_b32_e32 v8, v9, v8, vcc
	v_cmp_nle_f32_e32 vcc, 0, v7
	v_cndmask_b32_e64 v8, |v8|, -|v8|, vcc
	v_add_f32_e32 v7, v7, v8
	v_div_scale_f32 v8, s[2:3], v7, v7, v0
	v_rcp_f32_e32 v9, v8
	v_div_scale_f32 v10, vcc, v0, v7, v0
	v_fma_f32 v11, -v8, v9, 1.0
	v_fmac_f32_e32 v9, v11, v9
	v_mul_f32_e32 v11, v10, v9
	v_fma_f32 v12, -v8, v11, v10
	v_fmac_f32_e32 v11, v12, v9
	v_fma_f32 v8, -v8, v11, v10
	v_div_fmas_f32 v8, v8, v9, v11
	v_div_fixup_f32 v0, v8, v7, v0
	v_sub_f32_e32 v0, v2, v0
	v_sub_f32_e32 v8, v3, v0
	v_mul_f32_e32 v9, v8, v8
	v_mov_b32_e32 v7, 0
	s_cbranch_scc1 .LBB20_128
; %bb.113:                              ;   in Loop: Header=BB20_103 Depth=2
	s_add_u32 s2, s14, s46
	s_addc_u32 s3, s15, s47
	global_load_dword v3, v4, s[2:3]
	global_load_dword v11, v4, s[44:45] offset:4
	s_waitcnt vmcnt(1)
	v_add_f32_e32 v7, v9, v3
	v_div_scale_f32 v12, s[2:3], v7, v7, v9
	v_div_scale_f32 v14, s[2:3], v7, v7, v3
	v_rcp_f32_e32 v15, v12
	v_rcp_f32_e32 v16, v14
	v_div_scale_f32 v13, vcc, v9, v7, v9
	v_fma_f32 v18, -v12, v15, 1.0
	v_fma_f32 v19, -v14, v16, 1.0
	v_fmac_f32_e32 v15, v18, v15
	v_div_scale_f32 v17, s[2:3], v3, v7, v3
	v_fmac_f32_e32 v16, v19, v16
	v_mul_f32_e32 v18, v13, v15
	v_mul_f32_e32 v19, v17, v16
	v_fma_f32 v20, -v12, v18, v13
	v_fma_f32 v21, -v14, v19, v17
	v_fmac_f32_e32 v18, v20, v15
	v_fmac_f32_e32 v19, v21, v16
	v_fma_f32 v12, -v12, v18, v13
	v_fma_f32 v13, -v14, v19, v17
	v_div_fmas_f32 v12, v12, v15, v18
	s_mov_b64 vcc, s[2:3]
	v_div_fixup_f32 v9, v12, v7, v9
	v_div_fmas_f32 v12, v13, v16, v19
	v_div_fixup_f32 v7, v12, v7, v3
	s_waitcnt vmcnt(0)
	v_sub_f32_e32 v10, v11, v0
	v_mul_f32_e32 v12, v8, v7
	v_fma_f32 v10, v9, v10, -v12
	v_cmp_eq_f32_e32 vcc, 0, v9
	v_sub_f32_e32 v11, v11, v10
	v_add_f32_e32 v8, v8, v11
	global_store_dword v4, v8, s[44:45]
	s_cbranch_vccnz .LBB20_115
; %bb.114:                              ;   in Loop: Header=BB20_103 Depth=2
	v_mul_f32_e32 v3, v10, v10
	v_div_scale_f32 v8, s[2:3], v9, v9, v3
	v_rcp_f32_e32 v11, v8
	v_div_scale_f32 v12, vcc, v3, v9, v3
	v_fma_f32 v13, -v8, v11, 1.0
	v_fmac_f32_e32 v11, v13, v11
	v_mul_f32_e32 v13, v12, v11
	v_fma_f32 v14, -v8, v13, v12
	v_fmac_f32_e32 v13, v14, v11
	v_fma_f32 v8, -v8, v13, v12
	v_div_fmas_f32 v8, v8, v11, v13
	v_div_fixup_f32 v3, v8, v9, v3
.LBB20_115:                             ;   in Loop: Header=BB20_103 Depth=2
	s_add_i32 s2, s38, 1
	s_cmp_ge_i32 s2, s34
	s_cbranch_scc1 .LBB20_126
; %bb.116:                              ;   in Loop: Header=BB20_103 Depth=2
	s_ashr_i32 s3, s2, 31
	s_lshl_b64 s[2:3], s[2:3], 2
	s_add_u32 s44, s61, s2
	s_addc_u32 s45, s62, s3
	s_add_u32 s46, s67, s2
	s_addc_u32 s47, s68, s3
	s_mov_b32 s16, 1
	global_load_dword v11, v4, s[44:45]
	s_cmp_eq_u32 s16, 0
	s_waitcnt vmcnt(0)
	v_add_f32_e32 v8, v3, v11
	s_cbranch_scc1 .LBB20_118
.LBB20_117:                             ;   in Loop: Header=BB20_103 Depth=2
	v_mul_f32_e32 v7, v7, v8
	global_store_dword v4, v7, s[44:45] offset:-4
.LBB20_118:                             ;   Parent Loop BB20_4 Depth=1
                                        ;     Parent Loop BB20_103 Depth=2
                                        ; =>    This Inner Loop Header: Depth=3
	global_load_dword v13, v4, s[46:47]
	v_div_scale_f32 v7, s[2:3], v8, v8, v3
	v_div_scale_f32 v14, s[2:3], v8, v8, v11
	v_rcp_f32_e32 v15, v7
	v_rcp_f32_e32 v16, v14
	v_div_scale_f32 v12, vcc, v3, v8, v3
	v_fma_f32 v18, -v7, v15, 1.0
	v_fma_f32 v19, -v14, v16, 1.0
	v_fmac_f32_e32 v15, v18, v15
	v_div_scale_f32 v17, s[2:3], v11, v8, v11
	v_fmac_f32_e32 v16, v19, v16
	v_mul_f32_e32 v18, v12, v15
	v_mul_f32_e32 v19, v17, v16
	v_fma_f32 v20, -v7, v18, v12
	v_fma_f32 v21, -v14, v19, v17
	v_fmac_f32_e32 v18, v20, v15
	v_fmac_f32_e32 v19, v21, v16
	v_fma_f32 v7, -v7, v18, v12
	v_fma_f32 v14, -v14, v19, v17
	v_div_fmas_f32 v7, v7, v15, v18
	s_mov_b64 vcc, s[2:3]
	v_div_fixup_f32 v12, v7, v8, v3
	v_div_fmas_f32 v3, v14, v16, v19
	v_div_fixup_f32 v7, v3, v8, v11
	v_mul_f32_e32 v3, v10, v7
	v_cmp_eq_f32_e32 vcc, 0, v12
	s_and_b64 vcc, exec, vcc
	s_waitcnt vmcnt(0)
	v_sub_f32_e32 v8, v13, v0
	v_fma_f32 v8, v12, v8, -v3
	v_sub_f32_e32 v3, v13, v8
	v_add_f32_e32 v3, v10, v3
	global_store_dword v4, v3, s[46:47] offset:-4
	s_cbranch_vccz .LBB20_123
; %bb.119:                              ;   in Loop: Header=BB20_118 Depth=3
	v_mul_f32_e32 v3, v9, v11
	s_cbranch_execnz .LBB20_121
.LBB20_120:                             ;   in Loop: Header=BB20_118 Depth=3
	v_mul_f32_e32 v3, v8, v8
	v_div_scale_f32 v9, s[2:3], v12, v12, v3
	v_rcp_f32_e32 v10, v9
	v_div_scale_f32 v11, vcc, v3, v12, v3
	v_fma_f32 v13, -v9, v10, 1.0
	v_fmac_f32_e32 v10, v13, v10
	v_mul_f32_e32 v13, v11, v10
	v_fma_f32 v14, -v9, v13, v11
	v_fmac_f32_e32 v13, v14, v10
	v_fma_f32 v9, -v9, v13, v11
	v_div_fmas_f32 v9, v9, v10, v13
	v_div_fixup_f32 v3, v9, v12, v3
.LBB20_121:                             ;   in Loop: Header=BB20_118 Depth=3
	s_add_i32 s16, s16, 1
	s_add_i32 s2, s38, s16
	s_add_u32 s44, s44, 4
	s_addc_u32 s45, s45, 0
	s_add_u32 s46, s46, 4
	s_addc_u32 s47, s47, 0
	s_cmp_ge_i32 s2, s34
	s_cbranch_scc1 .LBB20_127
; %bb.122:                              ;   in Loop: Header=BB20_118 Depth=3
	v_mov_b32_e32 v9, v12
	v_mov_b32_e32 v10, v8
	global_load_dword v11, v4, s[44:45]
	s_cmp_eq_u32 s16, 0
	s_waitcnt vmcnt(0)
	v_add_f32_e32 v8, v3, v11
	s_cbranch_scc0 .LBB20_117
	s_branch .LBB20_118
.LBB20_123:                             ;   in Loop: Header=BB20_118 Depth=3
                                        ; implicit-def: $vgpr3
	s_branch .LBB20_120
.LBB20_124:                             ;   in Loop: Header=BB20_103 Depth=2
                                        ; implicit-def: $sgpr2
	s_cbranch_execz .LBB20_102
	s_branch .LBB20_148
.LBB20_125:                             ;   in Loop: Header=BB20_103 Depth=2
	s_mov_b64 s[42:43], 0
                                        ; implicit-def: $sgpr2
                                        ; implicit-def: $sgpr16
                                        ; implicit-def: $sgpr35
	s_cbranch_execnz .LBB20_130
	s_branch .LBB20_147
.LBB20_126:                             ;   in Loop: Header=BB20_103 Depth=2
	v_mov_b32_e32 v8, v10
.LBB20_127:                             ;   in Loop: Header=BB20_103 Depth=2
	v_mov_b32_e32 v9, v3
.LBB20_128:                             ;   in Loop: Header=BB20_103 Depth=2
	v_mul_f32_e32 v3, v9, v7
	v_add_f32_e32 v0, v0, v8
	s_add_i32 s35, s74, 1
	global_store_dword v4, v3, s[42:43]
	global_store_dword v4, v0, s[36:37]
	s_mov_b64 s[42:43], -1
.LBB20_129:                             ;   in Loop: Header=BB20_103 Depth=2
	s_mov_b32 s2, s20
	s_mov_b32 s16, s34
	s_and_b64 vcc, exec, s[40:41]
	s_cbranch_vccz .LBB20_147
.LBB20_130:                             ;   in Loop: Header=BB20_103 Depth=2
	s_ashr_i32 s39, s38, 31
	s_lshl_b64 s[2:3], s[38:39], 2
	s_add_u32 s38, s14, s2
	s_addc_u32 s39, s15, s3
	global_load_dword v0, v4, s[38:39]
	s_add_u32 s40, s54, s2
	s_addc_u32 s41, s55, s3
	global_load_dword v3, v4, s[40:41]
	s_waitcnt vmcnt(1)
	v_mul_f32_e32 v7, 0x4f800000, v0
	v_cmp_gt_f32_e32 vcc, s71, v0
	v_cndmask_b32_e32 v0, v0, v7, vcc
	v_sqrt_f32_e32 v7, v0
	s_waitcnt vmcnt(0)
	v_sub_f32_e32 v8, v2, v3
	v_add_u32_e32 v9, -1, v7
	v_add_u32_e32 v10, 1, v7
	v_fma_f32 v11, -v9, v7, v0
	v_fma_f32 v12, -v10, v7, v0
	v_cmp_ge_f32_e64 s[2:3], 0, v11
	v_cndmask_b32_e64 v7, v7, v9, s[2:3]
	v_cmp_lt_f32_e64 s[2:3], 0, v12
	v_cndmask_b32_e64 v7, v7, v10, s[2:3]
	v_mul_f32_e32 v9, 0x37800000, v7
	v_cndmask_b32_e32 v7, v7, v9, vcc
	v_cmp_class_f32_e32 vcc, v0, v5
	v_cndmask_b32_e32 v7, v7, v0, vcc
	v_add_f32_e32 v9, v7, v7
	v_cmp_ngt_f32_e64 s[2:3], |v8|, |v9|
	v_and_b32_e32 v10, 0x7fffffff, v9
	s_and_b64 vcc, exec, s[2:3]
	s_cbranch_vccz .LBB20_133
; %bb.131:                              ;   in Loop: Header=BB20_103 Depth=2
	v_cmp_nlt_f32_e64 s[2:3], |v8|, |v9|
	s_and_b64 vcc, exec, s[2:3]
	s_cbranch_vccz .LBB20_134
; %bb.132:                              ;   in Loop: Header=BB20_103 Depth=2
	v_cvt_f64_f32_e32 v[12:13], v10
	v_mul_f64 v[12:13], v[12:13], s[18:19]
	v_cvt_f32_f64_e32 v0, v[12:13]
	s_cbranch_execz .LBB20_135
	s_branch .LBB20_136
.LBB20_133:                             ;   in Loop: Header=BB20_103 Depth=2
                                        ; implicit-def: $vgpr0
	s_branch .LBB20_137
.LBB20_134:                             ;   in Loop: Header=BB20_103 Depth=2
                                        ; implicit-def: $vgpr0
.LBB20_135:                             ;   in Loop: Header=BB20_103 Depth=2
	v_and_b32_e32 v0, 0x7fffffff, v8
	v_div_scale_f32 v11, s[2:3], v10, v10, v0
	v_rcp_f32_e32 v12, v11
	v_div_scale_f32 v0, vcc, v0, v10, v0
	v_fma_f32 v13, -v11, v12, 1.0
	v_fmac_f32_e32 v12, v13, v12
	v_mul_f32_e32 v13, v0, v12
	v_fma_f32 v14, -v11, v13, v0
	v_fmac_f32_e32 v13, v14, v12
	v_fma_f32 v0, -v11, v13, v0
	v_div_fmas_f32 v0, v0, v12, v13
	v_div_fixup_f32 v0, v0, |v9|, |v8|
	v_fma_f32 v0, v0, v0, 1.0
	v_mul_f32_e32 v11, 0x4f800000, v0
	v_cmp_gt_f32_e32 vcc, s71, v0
	v_cndmask_b32_e32 v0, v0, v11, vcc
	v_sqrt_f32_e32 v11, v0
	v_add_u32_e32 v12, -1, v11
	v_fma_f32 v13, -v12, v11, v0
	v_cmp_ge_f32_e64 s[2:3], 0, v13
	v_add_u32_e32 v13, 1, v11
	v_cndmask_b32_e64 v12, v11, v12, s[2:3]
	v_fma_f32 v11, -v13, v11, v0
	v_cmp_lt_f32_e64 s[2:3], 0, v11
	v_cndmask_b32_e64 v11, v12, v13, s[2:3]
	v_mul_f32_e32 v12, 0x37800000, v11
	v_cndmask_b32_e32 v11, v11, v12, vcc
	v_cmp_class_f32_e32 vcc, v0, v5
	v_cndmask_b32_e32 v0, v11, v0, vcc
	v_mul_f32_e64 v0, |v9|, v0
.LBB20_136:                             ;   in Loop: Header=BB20_103 Depth=2
	s_cbranch_execnz .LBB20_138
.LBB20_137:                             ;   in Loop: Header=BB20_103 Depth=2
	v_and_b32_e32 v0, 0x7fffffff, v8
	v_div_scale_f32 v11, s[2:3], v0, v0, v10
	v_rcp_f32_e32 v12, v11
	v_div_scale_f32 v0, vcc, v10, v0, v10
	v_fma_f32 v10, -v11, v12, 1.0
	v_fmac_f32_e32 v12, v10, v12
	v_mul_f32_e32 v10, v0, v12
	v_fma_f32 v13, -v11, v10, v0
	v_fmac_f32_e32 v10, v13, v12
	v_fma_f32 v0, -v11, v10, v0
	v_div_fmas_f32 v0, v0, v12, v10
	v_div_fixup_f32 v0, v0, |v8|, |v9|
	v_fma_f32 v0, v0, v0, 1.0
	v_mul_f32_e32 v9, 0x4f800000, v0
	v_cmp_gt_f32_e32 vcc, s71, v0
	v_cndmask_b32_e32 v0, v0, v9, vcc
	v_sqrt_f32_e32 v9, v0
	v_add_u32_e32 v10, -1, v9
	v_fma_f32 v11, -v10, v9, v0
	v_cmp_ge_f32_e64 s[2:3], 0, v11
	v_add_u32_e32 v11, 1, v9
	v_cndmask_b32_e64 v10, v9, v10, s[2:3]
	v_fma_f32 v9, -v11, v9, v0
	v_cmp_lt_f32_e64 s[2:3], 0, v9
	v_cndmask_b32_e64 v9, v10, v11, s[2:3]
	v_mul_f32_e32 v10, 0x37800000, v9
	v_cndmask_b32_e32 v9, v9, v10, vcc
	v_cmp_class_f32_e32 vcc, v0, v5
	v_cndmask_b32_e32 v0, v9, v0, vcc
	v_mul_f32_e64 v0, |v8|, v0
.LBB20_138:                             ;   in Loop: Header=BB20_103 Depth=2
	v_add_f32_e32 v9, v2, v3
	v_cmp_gt_f32_e64 vcc, |v2|, |v3|
	v_cndmask_b32_e32 v8, v2, v3, vcc
	v_cndmask_b32_e32 v10, v3, v2, vcc
	v_cmp_ngt_f32_e32 vcc, 0, v9
	s_cbranch_vccz .LBB20_141
; %bb.139:                              ;   in Loop: Header=BB20_103 Depth=2
	v_cmp_nlt_f32_e32 vcc, 0, v9
	s_cbranch_vccz .LBB20_142
; %bb.140:                              ;   in Loop: Header=BB20_103 Depth=2
	v_pk_mul_f32 v[2:3], v[0:1], s[24:25] op_sel_hi:[0,1]
	s_cbranch_execz .LBB20_143
	s_branch .LBB20_144
.LBB20_141:                             ;   in Loop: Header=BB20_103 Depth=2
                                        ; implicit-def: $vgpr3
	s_branch .LBB20_145
.LBB20_142:                             ;   in Loop: Header=BB20_103 Depth=2
                                        ; implicit-def: $vgpr3
.LBB20_143:                             ;   in Loop: Header=BB20_103 Depth=2
	v_add_f32_e32 v2, v9, v0
	v_mul_f32_e32 v2, 0.5, v2
	v_cvt_f64_f32_e32 v[12:13], v10
	v_cvt_f64_f32_e32 v[14:15], v2
	v_div_scale_f64 v[16:17], s[2:3], v[14:15], v[14:15], v[12:13]
	v_rcp_f64_e32 v[18:19], v[16:17]
	v_fma_f64 v[20:21], -v[16:17], v[18:19], 1.0
	v_fmac_f64_e32 v[18:19], v[18:19], v[20:21]
	v_fma_f64 v[20:21], -v[16:17], v[18:19], 1.0
	v_fmac_f64_e32 v[18:19], v[18:19], v[20:21]
	v_div_scale_f64 v[20:21], vcc, v[12:13], v[14:15], v[12:13]
	v_mul_f64 v[22:23], v[20:21], v[18:19]
	v_fma_f64 v[16:17], -v[16:17], v[22:23], v[20:21]
	v_cvt_f64_f32_e32 v[20:21], v7
	v_div_scale_f64 v[24:25], s[2:3], v[14:15], v[14:15], v[20:21]
	v_rcp_f64_e32 v[26:27], v[24:25]
	v_div_fmas_f64 v[16:17], v[16:17], v[18:19], v[22:23]
	v_div_fixup_f64 v[12:13], v[16:17], v[14:15], v[12:13]
	v_cvt_f64_f32_e32 v[16:17], v8
	v_fma_f64 v[18:19], -v[24:25], v[26:27], 1.0
	v_fmac_f64_e32 v[26:27], v[26:27], v[18:19]
	v_fma_f64 v[18:19], -v[24:25], v[26:27], 1.0
	v_fmac_f64_e32 v[26:27], v[26:27], v[18:19]
	v_div_scale_f64 v[18:19], vcc, v[20:21], v[14:15], v[20:21]
	v_mul_f64 v[22:23], v[18:19], v[26:27]
	v_fma_f64 v[18:19], -v[24:25], v[22:23], v[18:19]
	s_nop 1
	v_div_fmas_f64 v[18:19], v[18:19], v[26:27], v[22:23]
	v_div_fixup_f64 v[14:15], v[18:19], v[14:15], v[20:21]
	v_mul_f64 v[14:15], v[14:15], v[20:21]
	v_fma_f64 v[12:13], v[12:13], v[16:17], -v[14:15]
	v_cvt_f32_f64_e32 v3, v[12:13]
.LBB20_144:                             ;   in Loop: Header=BB20_103 Depth=2
	s_cbranch_execnz .LBB20_146
.LBB20_145:                             ;   in Loop: Header=BB20_103 Depth=2
	v_sub_f32_e32 v0, v9, v0
	v_mul_f32_e32 v2, 0.5, v0
	v_cvt_f64_f32_e32 v[10:11], v10
	v_cvt_f64_f32_e32 v[12:13], v2
	v_div_scale_f64 v[14:15], s[2:3], v[12:13], v[12:13], v[10:11]
	v_rcp_f64_e32 v[16:17], v[14:15]
	v_cvt_f64_f32_e32 v[8:9], v8
	v_fma_f64 v[18:19], -v[14:15], v[16:17], 1.0
	v_fmac_f64_e32 v[16:17], v[16:17], v[18:19]
	v_fma_f64 v[18:19], -v[14:15], v[16:17], 1.0
	v_fmac_f64_e32 v[16:17], v[16:17], v[18:19]
	v_div_scale_f64 v[18:19], vcc, v[10:11], v[12:13], v[10:11]
	v_mul_f64 v[20:21], v[18:19], v[16:17]
	v_fma_f64 v[14:15], -v[14:15], v[20:21], v[18:19]
	v_cvt_f64_f32_e32 v[18:19], v7
	v_div_scale_f64 v[22:23], s[2:3], v[12:13], v[12:13], v[18:19]
	v_rcp_f64_e32 v[24:25], v[22:23]
	v_div_fmas_f64 v[14:15], v[14:15], v[16:17], v[20:21]
	v_div_fixup_f64 v[10:11], v[14:15], v[12:13], v[10:11]
	v_fma_f64 v[14:15], -v[22:23], v[24:25], 1.0
	v_fmac_f64_e32 v[24:25], v[24:25], v[14:15]
	v_fma_f64 v[14:15], -v[22:23], v[24:25], 1.0
	v_fmac_f64_e32 v[24:25], v[24:25], v[14:15]
	v_div_scale_f64 v[14:15], vcc, v[18:19], v[12:13], v[18:19]
	v_mul_f64 v[16:17], v[14:15], v[24:25]
	v_fma_f64 v[14:15], -v[22:23], v[16:17], v[14:15]
	s_nop 1
	v_div_fmas_f64 v[14:15], v[14:15], v[24:25], v[16:17]
	v_div_fixup_f64 v[12:13], v[14:15], v[12:13], v[18:19]
	v_mul_f64 v[12:13], v[12:13], v[18:19]
	v_fma_f64 v[8:9], v[10:11], v[8:9], -v[12:13]
	v_cvt_f32_f64_e32 v3, v[8:9]
.LBB20_146:                             ;   in Loop: Header=BB20_103 Depth=2
	s_add_i32 s16, s34, -2
	s_mov_b64 s[42:43], -1
	s_mov_b32 s35, s74
	global_store_dword v4, v2, s[36:37]
	global_store_dword v4, v3, s[40:41]
	;; [unrolled: 1-line block ×3, first 2 shown]
                                        ; implicit-def: $sgpr2
.LBB20_147:                             ;   in Loop: Header=BB20_103 Depth=2
	s_mov_b32 s74, s35
	s_and_b64 vcc, exec, s[42:43]
	s_cbranch_vccz .LBB20_102
.LBB20_148:                             ;   in Loop: Header=BB20_103 Depth=2
	s_cmp_lt_i32 s16, s75
	s_cselect_b64 s[2:3], -1, 0
	s_cmp_ge_i32 s74, s20
	s_cselect_b64 s[8:9], -1, 0
	s_or_b64 s[8:9], s[2:3], s[8:9]
	s_mov_b32 s2, s74
	s_branch .LBB20_102
.LBB20_149:                             ;   in Loop: Header=BB20_4 Depth=1
	s_mov_b32 s74, s2
.LBB20_150:                             ;   in Loop: Header=BB20_4 Depth=1
	s_mov_b32 s41, s74
	v_cmp_lt_f32_e32 vcc, s23, v6
	s_andn2_b64 vcc, exec, vcc
	s_cbranch_vccnz .LBB20_154
.LBB20_151:                             ;   in Loop: Header=BB20_4 Depth=1
	global_load_dword v2, v4, s[30:31]
	v_div_scale_f32 v0, s[2:3], v6, v6, s23
	v_rcp_f32_e32 v3, v0
	v_div_scale_f32 v7, vcc, s23, v6, s23
	v_fma_f32 v8, -v0, v3, 1.0
	v_fmac_f32_e32 v3, v8, v3
	v_mul_f32_e32 v8, v7, v3
	v_fma_f32 v9, -v0, v8, v7
	v_fmac_f32_e32 v8, v9, v3
	v_fma_f32 v0, -v0, v8, v7
	v_div_fmas_f32 v0, v0, v3, v8
	v_div_fixup_f32 v0, v0, v6, s23
	s_and_b64 vcc, exec, s[0:1]
	s_waitcnt vmcnt(0)
	v_mul_f32_e32 v2, v0, v2
	global_store_dword v4, v2, s[30:31]
	s_cbranch_vccnz .LBB20_154
; %bb.152:                              ;   in Loop: Header=BB20_4 Depth=1
	s_add_u32 s2, s65, s28
	s_addc_u32 s3, s66, s29
	s_add_u32 s8, s61, s28
	s_addc_u32 s9, s62, s29
	s_mov_b32 s16, s27
.LBB20_153:                             ;   Parent Loop BB20_4 Depth=1
                                        ; =>  This Inner Loop Header: Depth=2
	global_load_dword v2, v4, s[2:3]
	s_add_i32 s16, s16, 1
	s_waitcnt vmcnt(0)
	v_mul_f32_e32 v2, v0, v2
	global_store_dword v4, v2, s[2:3]
	global_load_dword v2, v4, s[8:9]
	s_add_u32 s2, s2, 4
	s_addc_u32 s3, s3, 0
	s_waitcnt vmcnt(0)
	v_mul_f32_e32 v2, v0, v2
	global_store_dword v4, v2, s[8:9]
	s_add_u32 s8, s8, 4
	s_addc_u32 s9, s9, 0
	s_cmp_lt_i32 s16, s26
	s_cbranch_scc1 .LBB20_153
.LBB20_154:                             ;   in Loop: Header=BB20_4 Depth=1
	v_cmp_ngt_f32_e32 vcc, s22, v6
	s_cbranch_vccnz .LBB20_2
; %bb.155:                              ;   in Loop: Header=BB20_4 Depth=1
	global_load_dword v2, v4, s[30:31]
	v_div_scale_f32 v0, s[2:3], v6, v6, s22
	v_rcp_f32_e32 v3, v0
	v_div_scale_f32 v7, vcc, s22, v6, s22
	v_fma_f32 v8, -v0, v3, 1.0
	v_fmac_f32_e32 v3, v8, v3
	v_mul_f32_e32 v8, v7, v3
	v_fma_f32 v9, -v0, v8, v7
	v_fmac_f32_e32 v8, v9, v3
	v_fma_f32 v0, -v0, v8, v7
	v_div_fmas_f32 v0, v0, v3, v8
	v_div_fixup_f32 v0, v0, v6, s22
	s_and_b64 vcc, exec, s[0:1]
	s_waitcnt vmcnt(0)
	v_mul_f32_e32 v2, v0, v2
	global_store_dword v4, v2, s[30:31]
	s_cbranch_vccnz .LBB20_2
; %bb.156:                              ;   in Loop: Header=BB20_4 Depth=1
	s_add_u32 s0, s65, s28
	s_addc_u32 s1, s66, s29
	s_add_u32 s2, s61, s28
	s_addc_u32 s3, s62, s29
.LBB20_157:                             ;   Parent Loop BB20_4 Depth=1
                                        ; =>  This Inner Loop Header: Depth=2
	global_load_dword v2, v4, s[0:1]
	s_add_i32 s27, s27, 1
	s_waitcnt vmcnt(0)
	v_mul_f32_e32 v2, v0, v2
	global_store_dword v4, v2, s[0:1]
	global_load_dword v2, v4, s[2:3]
	s_add_u32 s0, s0, 4
	s_addc_u32 s1, s1, 0
	s_waitcnt vmcnt(0)
	v_mul_f32_e32 v2, v0, v2
	global_store_dword v4, v2, s[2:3]
	s_add_u32 s2, s2, 4
	s_addc_u32 s3, s3, 0
	s_cmp_lt_i32 s27, s26
	s_cbranch_scc1 .LBB20_157
	s_branch .LBB20_2
.LBB20_158:
	s_cmp_lt_i32 s33, 2
	s_cbranch_scc1 .LBB20_169
; %bb.159:
	s_load_dwordx2 s[0:1], s[4:5], 0x28
	s_lshl_b64 s[4:5], s[6:7], 2
	s_mov_b32 s2, 1
	v_mov_b32_e32 v0, 0
	s_waitcnt lgkmcnt(0)
	s_add_u32 s0, s0, s4
	s_addc_u32 s1, s1, s5
	s_branch .LBB20_161
.LBB20_160:                             ;   in Loop: Header=BB20_161 Depth=1
	s_add_i32 s2, s2, 1
	s_add_u32 s14, s14, 4
	s_addc_u32 s15, s15, 0
	s_cmp_lg_u32 s33, s2
	s_cbranch_scc0 .LBB20_163
.LBB20_161:                             ; =>This Inner Loop Header: Depth=1
	global_load_dword v1, v0, s[14:15]
	s_waitcnt vmcnt(0)
	v_cmp_eq_f32_e32 vcc, 0, v1
	s_cbranch_vccnz .LBB20_160
; %bb.162:                              ;   in Loop: Header=BB20_161 Depth=1
	global_load_dword v1, v0, s[0:1]
	s_waitcnt vmcnt(0)
	v_add_u32_e32 v1, 1, v1
	global_store_dword v0, v1, s[0:1]
	s_branch .LBB20_160
.LBB20_163:
	s_add_u32 s14, s54, -4
	s_addc_u32 s15, s55, -1
	s_add_u32 s0, s10, s12
	s_addc_u32 s1, s11, s13
	s_add_u32 s0, s0, 4
	s_addc_u32 s1, s1, 0
	s_mov_b32 s2, 1
	v_mov_b32_e32 v0, 0
	s_branch .LBB20_165
.LBB20_164:                             ;   in Loop: Header=BB20_165 Depth=1
	s_add_i32 s2, s2, 1
	s_add_u32 s0, s0, 4
	s_addc_u32 s1, s1, 0
	s_cmp_lg_u32 s2, s33
	s_cbranch_scc0 .LBB20_169
.LBB20_165:                             ; =>This Loop Header: Depth=1
                                        ;     Child Loop BB20_166 Depth 2
	s_ashr_i32 s3, s2, 31
	s_add_i32 s7, s2, -1
	s_lshl_b64 s[4:5], s[2:3], 2
	s_add_u32 s4, s14, s4
	s_addc_u32 s5, s15, s5
	global_load_dword v1, v0, s[4:5]
	s_mov_b64 s[8:9], s[0:1]
	s_mov_b32 s3, s2
	s_mov_b32 s6, s7
	s_waitcnt vmcnt(0)
	v_mov_b32_e32 v2, v1
.LBB20_166:                             ;   Parent Loop BB20_165 Depth=1
                                        ; =>  This Inner Loop Header: Depth=2
	global_load_dword v3, v0, s[8:9]
	s_waitcnt vmcnt(0)
	v_cmp_lt_f32_e32 vcc, v3, v2
	s_and_b64 s[10:11], vcc, exec
	s_cselect_b32 s6, s3, s6
	s_add_i32 s3, s3, 1
	s_add_u32 s8, s8, 4
	s_addc_u32 s9, s9, 0
	v_cndmask_b32_e32 v2, v2, v3, vcc
	s_cmp_ge_i32 s3, s33
	s_cbranch_scc0 .LBB20_166
; %bb.167:                              ;   in Loop: Header=BB20_165 Depth=1
	s_cmp_lg_u32 s6, s7
	s_cbranch_scc0 .LBB20_164
; %bb.168:                              ;   in Loop: Header=BB20_165 Depth=1
	s_ashr_i32 s7, s6, 31
	s_lshl_b64 s[6:7], s[6:7], 2
	s_add_u32 s6, s54, s6
	s_addc_u32 s7, s55, s7
	global_store_dword v0, v1, s[6:7]
	global_store_dword v0, v2, s[4:5]
	s_branch .LBB20_164
.LBB20_169:
	s_endpgm
	.section	.rodata,"a",@progbits
	.p2align	6, 0x0
	.amdhsa_kernel _ZN9rocsolver6v33100L12sterf_kernelIfEEviPT_lS3_lPiS4_iS2_S2_S2_
		.amdhsa_group_segment_fixed_size 0
		.amdhsa_private_segment_fixed_size 0
		.amdhsa_kernarg_size 72
		.amdhsa_user_sgpr_count 6
		.amdhsa_user_sgpr_private_segment_buffer 1
		.amdhsa_user_sgpr_dispatch_ptr 0
		.amdhsa_user_sgpr_queue_ptr 0
		.amdhsa_user_sgpr_kernarg_segment_ptr 1
		.amdhsa_user_sgpr_dispatch_id 0
		.amdhsa_user_sgpr_flat_scratch_init 0
		.amdhsa_user_sgpr_kernarg_preload_length 0
		.amdhsa_user_sgpr_kernarg_preload_offset 0
		.amdhsa_user_sgpr_private_segment_size 0
		.amdhsa_uses_dynamic_stack 0
		.amdhsa_system_sgpr_private_segment_wavefront_offset 0
		.amdhsa_system_sgpr_workgroup_id_x 1
		.amdhsa_system_sgpr_workgroup_id_y 0
		.amdhsa_system_sgpr_workgroup_id_z 0
		.amdhsa_system_sgpr_workgroup_info 0
		.amdhsa_system_vgpr_workitem_id 0
		.amdhsa_next_free_vgpr 28
		.amdhsa_next_free_sgpr 76
		.amdhsa_accum_offset 28
		.amdhsa_reserve_vcc 1
		.amdhsa_reserve_flat_scratch 0
		.amdhsa_float_round_mode_32 0
		.amdhsa_float_round_mode_16_64 0
		.amdhsa_float_denorm_mode_32 3
		.amdhsa_float_denorm_mode_16_64 3
		.amdhsa_dx10_clamp 1
		.amdhsa_ieee_mode 1
		.amdhsa_fp16_overflow 0
		.amdhsa_tg_split 0
		.amdhsa_exception_fp_ieee_invalid_op 0
		.amdhsa_exception_fp_denorm_src 0
		.amdhsa_exception_fp_ieee_div_zero 0
		.amdhsa_exception_fp_ieee_overflow 0
		.amdhsa_exception_fp_ieee_underflow 0
		.amdhsa_exception_fp_ieee_inexact 0
		.amdhsa_exception_int_div_zero 0
	.end_amdhsa_kernel
	.section	.text._ZN9rocsolver6v33100L12sterf_kernelIfEEviPT_lS3_lPiS4_iS2_S2_S2_,"axG",@progbits,_ZN9rocsolver6v33100L12sterf_kernelIfEEviPT_lS3_lPiS4_iS2_S2_S2_,comdat
.Lfunc_end20:
	.size	_ZN9rocsolver6v33100L12sterf_kernelIfEEviPT_lS3_lPiS4_iS2_S2_S2_, .Lfunc_end20-_ZN9rocsolver6v33100L12sterf_kernelIfEEviPT_lS3_lPiS4_iS2_S2_S2_
                                        ; -- End function
	.section	.AMDGPU.csdata,"",@progbits
; Kernel info:
; codeLenInByte = 7760
; NumSgprs: 80
; NumVgprs: 28
; NumAgprs: 0
; TotalNumVgprs: 28
; ScratchSize: 0
; MemoryBound: 0
; FloatMode: 240
; IeeeMode: 1
; LDSByteSize: 0 bytes/workgroup (compile time only)
; SGPRBlocks: 9
; VGPRBlocks: 3
; NumSGPRsForWavesPerEU: 80
; NumVGPRsForWavesPerEU: 28
; AccumOffset: 28
; Occupancy: 8
; WaveLimiterHint : 0
; COMPUTE_PGM_RSRC2:SCRATCH_EN: 0
; COMPUTE_PGM_RSRC2:USER_SGPR: 6
; COMPUTE_PGM_RSRC2:TRAP_HANDLER: 0
; COMPUTE_PGM_RSRC2:TGID_X_EN: 1
; COMPUTE_PGM_RSRC2:TGID_Y_EN: 0
; COMPUTE_PGM_RSRC2:TGID_Z_EN: 0
; COMPUTE_PGM_RSRC2:TIDIG_COMP_CNT: 0
; COMPUTE_PGM_RSRC3_GFX90A:ACCUM_OFFSET: 6
; COMPUTE_PGM_RSRC3_GFX90A:TG_SPLIT: 0
	.section	.text._ZN9rocsolver6v33100L11lasr_kernelIffPfiEEv13rocblas_side_14rocblas_pivot_15rocblas_direct_T2_S6_PT0_lS8_lT1_lS6_lS6_,"axG",@progbits,_ZN9rocsolver6v33100L11lasr_kernelIffPfiEEv13rocblas_side_14rocblas_pivot_15rocblas_direct_T2_S6_PT0_lS8_lT1_lS6_lS6_,comdat
	.globl	_ZN9rocsolver6v33100L11lasr_kernelIffPfiEEv13rocblas_side_14rocblas_pivot_15rocblas_direct_T2_S6_PT0_lS8_lT1_lS6_lS6_ ; -- Begin function _ZN9rocsolver6v33100L11lasr_kernelIffPfiEEv13rocblas_side_14rocblas_pivot_15rocblas_direct_T2_S6_PT0_lS8_lT1_lS6_lS6_
	.p2align	8
	.type	_ZN9rocsolver6v33100L11lasr_kernelIffPfiEEv13rocblas_side_14rocblas_pivot_15rocblas_direct_T2_S6_PT0_lS8_lT1_lS6_lS6_,@function
_ZN9rocsolver6v33100L11lasr_kernelIffPfiEEv13rocblas_side_14rocblas_pivot_15rocblas_direct_T2_S6_PT0_lS8_lT1_lS6_lS6_: ; @_ZN9rocsolver6v33100L11lasr_kernelIffPfiEEv13rocblas_side_14rocblas_pivot_15rocblas_direct_T2_S6_PT0_lS8_lT1_lS6_lS6_
; %bb.0:
	s_load_dword s33, s[4:5], 0x58
	s_waitcnt lgkmcnt(0)
	s_cmp_ge_u32 s7, s33
	s_cbranch_scc1 .LBB21_98
; %bb.1:
	s_load_dwordx4 s[0:3], s[4:5], 0x38
	s_load_dword s20, s[4:5], 0x48
	s_load_dwordx2 s[22:23], s[4:5], 0x50
	s_load_dword s26, s[4:5], 0x60
	s_load_dwordx2 s[24:25], s[4:5], 0x68
	s_load_dwordx4 s[16:19], s[4:5], 0x0
	s_load_dword s86, s[4:5], 0x10
	s_load_dwordx8 s[8:15], s[4:5], 0x18
	s_waitcnt lgkmcnt(0)
	s_ashr_i32 s21, s20, 31
	s_and_b32 s5, s25, 0xffff
	s_mul_i32 s6, s6, s5
	s_lshl_b64 s[2:3], s[2:3], 2
	v_add_u32_e32 v0, s6, v0
	s_add_u32 s6, s0, s2
	s_addc_u32 s25, s1, s3
	s_cmpk_lg_i32 s16, 0x8d
	s_cselect_b64 s[38:39], -1, 0
	s_cmpk_lg_i32 s16, 0x8e
	s_cselect_b64 s[44:45], -1, 0
	;; [unrolled: 2-line block ×6, first 2 shown]
	s_or_b64 s[28:29], s[38:39], s[42:43]
	s_or_b64 s[16:17], s[28:29], s[52:53]
	s_xor_b64 s[16:17], s[16:17], -1
	s_ashr_i32 s27, s19, 31
	s_add_i32 s62, s19, -2
	s_cmpk_lg_i32 s18, 0xac
	s_cselect_b64 s[54:55], -1, 0
	s_or_b64 s[28:29], s[28:29], s[54:55]
	s_xor_b64 s[28:29], s[28:29], -1
	s_cmp_gt_i32 s19, 1
	s_cselect_b64 s[30:31], -1, 0
	s_or_b64 s[36:37], s[38:39], s[50:51]
	s_or_b64 s[40:41], s[38:39], s[48:49]
	;; [unrolled: 1-line block ×9, first 2 shown]
	s_xor_b64 s[34:35], s[34:35], -1
	s_xor_b64 s[36:37], s[36:37], -1
	s_xor_b64 s[38:39], s[38:39], -1
	s_xor_b64 s[40:41], s[40:41], -1
	s_xor_b64 s[42:43], s[42:43], -1
	s_add_i32 s18, s86, -1
	s_xor_b64 s[46:47], s[46:47], -1
                                        ; implicit-def: $vgpr42 : SGPR spill to VGPR lane
	s_add_i32 s68, s86, -2
	v_writelane_b32 v42, s46, 0
	s_cmp_gt_i32 s86, 1
	v_writelane_b32 v42, s47, 1
	s_cselect_b64 s[46:47], -1, 0
	s_or_b64 s[50:51], s[44:45], s[50:51]
	s_or_b64 s[56:57], s[50:51], s[52:53]
	s_xor_b64 s[56:57], s[56:57], -1
	v_writelane_b32 v42, s56, 2
	s_or_b64 s[50:51], s[50:51], s[54:55]
	v_writelane_b32 v42, s57, 3
	s_xor_b64 s[50:51], s[50:51], -1
	s_or_b64 s[44:45], s[44:45], s[48:49]
	v_writelane_b32 v42, s50, 4
	s_or_b64 s[48:49], s[44:45], s[52:53]
	v_writelane_b32 v42, s51, 5
	s_xor_b64 s[48:49], s[48:49], -1
	v_writelane_b32 v42, s48, 6
	v_cmp_le_i32_e32 vcc, s19, v0
	v_writelane_b32 v42, s49, 7
	s_or_b64 s[48:49], s[54:55], vcc
	s_or_b64 s[44:45], s[44:45], s[48:49]
	s_xor_b64 s[44:45], s[44:45], -1
	v_writelane_b32 v42, s44, 8
	s_mul_i32 s4, s26, s5
	v_writelane_b32 v42, s45, 9
	v_mad_i64_i32 v[2:3], s[44:45], s20, v0, 0
	s_mul_hi_i32 s45, s20, s4
	s_mul_i32 s44, s20, s4
	s_mov_b32 s63, 0
	s_add_i32 s56, s19, -1
	s_lshl_b64 s[58:59], s[22:23], 2
	s_ashr_i32 s5, s4, 31
	s_lshl_b64 s[60:61], s[44:45], 2
	s_lshl_b64 s[10:11], s[10:11], 2
	;; [unrolled: 1-line block ×4, first 2 shown]
	s_add_u32 s87, s8, s44
	s_addc_u32 s88, s9, s45
	s_add_u32 s89, s12, s44
	s_addc_u32 s90, s13, s45
	s_mov_b32 s57, s63
	s_add_u32 s26, s0, s44
	s_addc_u32 s48, s1, s45
	s_add_i32 s91, s19, 1
	s_lshl_b64 s[44:45], s[56:57], 2
	s_add_u32 s49, s0, s44
	v_lshlrev_b64 v[2:3], 2, v[2:3]
	s_addc_u32 s50, s1, s45
	s_mul_i32 s44, s21, s18
	s_mul_hi_u32 s45, s20, s18
	s_mul_i32 s62, s20, s18
	v_mov_b32_e32 v1, s3
	v_add_co_u32_e32 v4, vcc, s2, v2
	s_add_i32 s45, s45, s44
	s_mov_b32 s44, s62
	v_addc_co_u32_e32 v1, vcc, v3, v1, vcc
	s_lshl_b64 s[44:45], s[44:45], 2
	s_lshl_b64 s[64:65], s[20:21], 2
	s_lshl_b64 s[66:67], s[4:5], 2
	s_add_u32 s5, s44, s2
	v_mov_b32_e32 v2, s1
	v_add_co_u32_e32 v18, vcc, s0, v4
	s_addc_u32 s44, s45, s3
	v_addc_co_u32_e32 v19, vcc, v2, v1, vcc
	s_mov_b32 s69, s63
	s_add_u32 s51, s0, s5
	v_add_co_u32_e32 v2, vcc, 4, v18
	s_addc_u32 s52, s1, s44
	s_lshl_b64 s[44:45], s[68:69], 2
	v_addc_co_u32_e32 v3, vcc, 0, v19, vcc
	s_add_u32 s5, s8, s44
	v_mov_b32_e32 v5, s48
	v_add_co_u32_e32 v20, vcc, s26, v4
	s_addc_u32 s57, s9, s45
	v_addc_co_u32_e32 v21, vcc, v5, v1, vcc
	s_add_u32 s92, s12, s44
	s_mul_i32 s21, s21, s68
	s_mul_hi_u32 s44, s20, s68
	v_add_co_u32_e32 v22, vcc, 4, v20
	s_addc_u32 s93, s13, s45
	s_add_i32 s45, s44, s21
	s_mul_i32 s44, s20, s68
	v_addc_co_u32_e32 v23, vcc, 0, v21, vcc
	s_lshl_b64 s[44:45], s[44:45], 2
	v_mov_b32_e32 v5, s50
	v_add_co_u32_e32 v24, vcc, s49, v4
	s_add_u32 s21, s44, s2
	v_addc_co_u32_e32 v25, vcc, v5, v1, vcc
	v_ashrrev_i32_e32 v1, 31, v0
	s_addc_u32 s44, s45, s3
	v_lshlrev_b64 v[4:5], 2, v[0:1]
	s_add_u32 s21, s0, s21
	v_mov_b32_e32 v6, s25
	v_add_co_u32_e32 v1, vcc, s6, v4
	s_addc_u32 s44, s1, s44
	v_addc_co_u32_e32 v26, vcc, v6, v5, vcc
	s_add_u32 s2, s2, s64
	v_mov_b32_e32 v6, s52
	v_add_co_u32_e32 v27, vcc, s51, v4
	s_addc_u32 s3, s3, s65
	v_addc_co_u32_e32 v28, vcc, v6, v5, vcc
	;; [unrolled: 5-line block ×3, first 2 shown]
	s_add_i32 s21, s86, 1
	v_mov_b32_e32 v6, s1
	v_add_co_u32_e32 v31, vcc, s2, v4
	s_sub_u32 s94, 0, s64
	v_addc_co_u32_e32 v32, vcc, v6, v5, vcc
	s_mov_b32 s26, s19
	s_mul_hi_i32 s63, s20, s18
	s_subb_u32 s95, 0, s65
	v_mov_b32_e32 v33, 0
	v_mov_b32_e32 v34, s61
	v_cmp_gt_i32_e64 s[0:1], s86, v0
	v_cmp_gt_i32_e64 s[2:3], s19, v0
	s_branch .LBB21_4
.LBB21_2:                               ;   in Loop: Header=BB21_4 Depth=1
	s_or_b64 exec, exec, s[68:69]
.LBB21_3:                               ;   in Loop: Header=BB21_4 Depth=1
	s_add_i32 s7, s7, s24
	s_cmp_ge_u32 s7, s33
	s_cbranch_scc1 .LBB21_98
.LBB21_4:                               ; =>This Loop Header: Depth=1
                                        ;     Child Loop BB21_8 Depth 2
                                        ;       Child Loop BB21_9 Depth 3
                                        ;     Child Loop BB21_16 Depth 2
                                        ;       Child Loop BB21_17 Depth 3
	;; [unrolled: 2-line block ×12, first 2 shown]
	s_mul_i32 s44, s11, s7
	s_mul_hi_u32 s45, s10, s7
	s_add_i32 s84, s45, s44
	s_mul_i32 s44, s15, s7
	s_mul_hi_u32 s45, s14, s7
	s_mul_i32 s85, s10, s7
	s_add_i32 s50, s45, s44
	s_add_u32 s68, s8, s85
	v_mov_b32_e32 v4, s7
	s_mul_i32 s51, s14, s7
	s_addc_u32 s69, s9, s84
	v_mad_u64_u32 v[4:5], s[44:45], s58, v4, v[2:3]
	s_add_u32 s70, s12, s51
	s_mul_i32 s44, s7, s23
	s_mul_hi_u32 s45, s7, s22
	s_addc_u32 s71, s13, s50
	s_add_i32 s45, s45, s44
	s_mul_i32 s44, s7, s22
	s_lshl_b64 s[44:45], s[44:45], 2
	s_mul_i32 s52, s59, s7
	s_add_u32 s54, s6, s44
	v_add_u32_e32 v5, s52, v5
	s_addc_u32 s55, s25, s45
	s_andn2_b64 vcc, exec, s[16:17]
	s_mov_b64 s[72:73], -1
	s_cbranch_vccnz .LBB21_11
; %bb.5:                                ;   in Loop: Header=BB21_4 Depth=1
	s_and_saveexec_b64 s[72:73], s[0:1]
	s_cbranch_execz .LBB21_10
; %bb.6:                                ;   in Loop: Header=BB21_4 Depth=1
	s_lshl_b64 s[44:45], s[26:27], 2
	s_add_u32 s44, s54, s44
	s_addc_u32 s45, s55, s45
	s_add_u32 s48, s44, -4
	s_addc_u32 s44, s45, -1
	s_mov_b64 s[74:75], 0
	v_mov_b32_e32 v12, s55
	v_mov_b32_e32 v13, s44
	v_pk_mov_b32 v[6:7], v[4:5], v[4:5] op_sel:[0,1]
	v_mov_b32_e32 v14, v0
	s_branch .LBB21_8
.LBB21_7:                               ;   in Loop: Header=BB21_8 Depth=2
	v_add_co_u32_e32 v8, vcc, s48, v8
	v_addc_co_u32_e32 v9, vcc, v13, v9, vcc
	v_add_u32_e32 v14, s4, v14
	v_cmp_le_i32_e32 vcc, s86, v14
	s_or_b64 s[74:75], vcc, s[74:75]
	v_add_co_u32_e32 v6, vcc, s60, v6
	v_addc_co_u32_e32 v7, vcc, v7, v34, vcc
	s_waitcnt vmcnt(0)
	global_store_dword v[8:9], v15, off
	s_andn2_b64 exec, exec, s[74:75]
	s_cbranch_execz .LBB21_10
.LBB21_8:                               ;   Parent Loop BB21_4 Depth=1
                                        ; =>  This Loop Header: Depth=2
                                        ;       Child Loop BB21_9 Depth 3
	v_mad_i64_i32 v[8:9], s[44:45], v14, s20, 0
	v_lshlrev_b64 v[8:9], 2, v[8:9]
	v_add_co_u32_e32 v10, vcc, s54, v8
	v_addc_co_u32_e32 v11, vcc, v12, v9, vcc
	global_load_dword v15, v[10:11], off
	s_andn2_b64 vcc, exec, s[30:31]
	s_mov_b64 s[76:77], s[70:71]
	s_mov_b64 s[78:79], s[68:69]
	v_pk_mov_b32 v[10:11], v[6:7], v[6:7] op_sel:[0,1]
	s_mov_b32 s44, s56
	s_cbranch_vccnz .LBB21_7
.LBB21_9:                               ;   Parent Loop BB21_4 Depth=1
                                        ;     Parent Loop BB21_8 Depth=2
                                        ; =>    This Inner Loop Header: Depth=3
	global_load_dword v16, v33, s[76:77]
	global_load_dword v17, v[10:11], off
	global_load_dword v35, v33, s[78:79]
	s_add_i32 s44, s44, -1
	s_add_u32 s78, s78, 4
	s_addc_u32 s79, s79, 0
	s_add_u32 s76, s76, 4
	s_addc_u32 s77, s77, 0
	s_cmp_eq_u32 s44, 0
	s_waitcnt vmcnt(1)
	v_mul_f32_e32 v36, v16, v17
	s_waitcnt vmcnt(0)
	v_fmac_f32_e32 v36, v15, v35
	v_mul_f32_e32 v16, v15, v16
	global_store_dword v[10:11], v36, off offset:-4
	v_add_co_u32_e32 v10, vcc, 4, v10
	v_fma_f32 v15, v35, v17, -v16
	v_addc_co_u32_e32 v11, vcc, 0, v11, vcc
	s_cbranch_scc0 .LBB21_9
	s_branch .LBB21_7
.LBB21_10:                              ;   in Loop: Header=BB21_4 Depth=1
	s_or_b64 exec, exec, s[72:73]
	s_mov_b64 s[72:73], 0
.LBB21_11:                              ;   in Loop: Header=BB21_4 Depth=1
	s_andn2_b64 vcc, exec, s[72:73]
	s_cbranch_vccnz .LBB21_3
; %bb.12:                               ;   in Loop: Header=BB21_4 Depth=1
	s_mul_hi_u32 s44, s58, s7
	s_add_i32 s52, s44, s52
	s_add_u32 s72, s87, s85
	s_addc_u32 s73, s88, s84
	s_add_u32 s74, s89, s51
	s_mul_i32 s53, s58, s7
	s_addc_u32 s75, s90, s50
	s_andn2_b64 vcc, exec, s[28:29]
	s_mov_b64 s[76:77], -1
	s_cbranch_vccnz .LBB21_19
; %bb.13:                               ;   in Loop: Header=BB21_4 Depth=1
	s_and_saveexec_b64 s[76:77], s[0:1]
	s_cbranch_execz .LBB21_18
; %bb.14:                               ;   in Loop: Header=BB21_4 Depth=1
	s_lshl_b64 s[44:45], s[26:27], 2
	s_add_u32 s44, s54, s44
	s_addc_u32 s45, s55, s45
	s_add_u32 s48, s44, -4
	v_mov_b32_e32 v7, s52
	v_add_co_u32_e32 v6, vcc, s53, v22
	s_addc_u32 s44, s45, -1
	v_addc_co_u32_e32 v7, vcc, v23, v7, vcc
	s_mov_b64 s[78:79], 0
	v_mov_b32_e32 v12, s44
	v_mov_b32_e32 v13, v0
	s_branch .LBB21_16
.LBB21_15:                              ;   in Loop: Header=BB21_16 Depth=2
	v_mov_b32_e32 v10, s55
	v_add_co_u32_e32 v8, vcc, s54, v8
	v_addc_co_u32_e32 v9, vcc, v10, v9, vcc
	v_add_u32_e32 v13, s4, v13
	v_cmp_le_i32_e32 vcc, s86, v13
	s_waitcnt vmcnt(0)
	global_store_dword v[8:9], v14, off
	v_mov_b32_e32 v8, s61
	s_or_b64 s[78:79], vcc, s[78:79]
	v_add_co_u32_e32 v6, vcc, s60, v6
	v_addc_co_u32_e32 v7, vcc, v7, v8, vcc
	s_andn2_b64 exec, exec, s[78:79]
	s_cbranch_execz .LBB21_18
.LBB21_16:                              ;   Parent Loop BB21_4 Depth=1
                                        ; =>  This Loop Header: Depth=2
                                        ;       Child Loop BB21_17 Depth 3
	v_mad_i64_i32 v[8:9], s[44:45], v13, s20, 0
	v_lshlrev_b64 v[8:9], 2, v[8:9]
	v_add_co_u32_e32 v10, vcc, s48, v8
	v_addc_co_u32_e32 v11, vcc, v12, v9, vcc
	global_load_dword v14, v[10:11], off
	s_andn2_b64 vcc, exec, s[30:31]
	v_pk_mov_b32 v[10:11], v[6:7], v[6:7] op_sel:[0,1]
	s_mov_b64 s[80:81], s[74:75]
	s_mov_b64 s[82:83], s[72:73]
	s_mov_b32 s49, s56
	s_cbranch_vccnz .LBB21_15
.LBB21_17:                              ;   Parent Loop BB21_4 Depth=1
                                        ;     Parent Loop BB21_16 Depth=2
                                        ; =>    This Inner Loop Header: Depth=3
	global_load_dword v15, v33, s[80:81]
	global_load_dword v35, v[10:11], off offset:-4
	global_load_dword v36, v33, s[82:83]
	s_add_i32 s49, s49, -1
	s_add_u32 s82, s82, -4
	s_addc_u32 s83, s83, -1
	v_add_co_u32_e32 v16, vcc, -4, v10
	s_waitcnt vmcnt(3)
	v_mov_b32_e32 v37, v14
	s_add_u32 s80, s80, -4
	v_addc_co_u32_e32 v17, vcc, -1, v11, vcc
	s_addc_u32 s81, s81, -1
	s_cmp_eq_u32 s49, 0
	s_waitcnt vmcnt(1)
	v_mul_f32_e32 v38, v15, v35
	s_waitcnt vmcnt(0)
	v_mul_f32_e32 v14, v36, v35
	v_fma_f32 v35, v37, v36, -v38
	v_fmac_f32_e32 v14, v37, v15
	global_store_dword v[10:11], v35, off
	v_pk_mov_b32 v[10:11], v[16:17], v[16:17] op_sel:[0,1]
	s_cbranch_scc0 .LBB21_17
	s_branch .LBB21_15
.LBB21_18:                              ;   in Loop: Header=BB21_4 Depth=1
	s_or_b64 exec, exec, s[76:77]
	s_mov_b64 s[76:77], 0
.LBB21_19:                              ;   in Loop: Header=BB21_4 Depth=1
	s_andn2_b64 vcc, exec, s[76:77]
	s_cbranch_vccnz .LBB21_3
; %bb.20:                               ;   in Loop: Header=BB21_4 Depth=1
	s_andn2_b64 vcc, exec, s[34:35]
	s_mov_b64 s[76:77], -1
	s_cbranch_vccnz .LBB21_27
; %bb.21:                               ;   in Loop: Header=BB21_4 Depth=1
	s_and_saveexec_b64 s[76:77], s[0:1]
	s_cbranch_execz .LBB21_26
; %bb.22:                               ;   in Loop: Header=BB21_4 Depth=1
	s_mov_b64 s[78:79], 0
	v_mov_b32_e32 v10, v0
	s_branch .LBB21_24
.LBB21_23:                              ;   in Loop: Header=BB21_24 Depth=2
	v_add_u32_e32 v10, s4, v10
	v_cmp_le_i32_e32 vcc, s86, v10
	s_waitcnt vmcnt(0)
	global_store_dword v[6:7], v11, off
	v_mov_b32_e32 v6, s61
	s_or_b64 s[78:79], vcc, s[78:79]
	v_add_co_u32_e32 v4, vcc, s60, v4
	v_addc_co_u32_e32 v5, vcc, v5, v6, vcc
	s_andn2_b64 exec, exec, s[78:79]
	s_cbranch_execz .LBB21_26
.LBB21_24:                              ;   Parent Loop BB21_4 Depth=1
                                        ; =>  This Loop Header: Depth=2
                                        ;       Child Loop BB21_25 Depth 3
	v_mad_i64_i32 v[6:7], s[44:45], v10, s20, 0
	v_lshlrev_b64 v[6:7], 2, v[6:7]
	v_mov_b32_e32 v8, s55
	v_add_co_u32_e32 v6, vcc, s54, v6
	v_addc_co_u32_e32 v7, vcc, v8, v7, vcc
	global_load_dword v11, v[6:7], off
	s_andn2_b64 vcc, exec, s[30:31]
	v_pk_mov_b32 v[8:9], v[4:5], v[4:5] op_sel:[0,1]
	s_mov_b32 s48, s56
	s_mov_b64 s[80:81], s[68:69]
	s_mov_b64 s[82:83], s[70:71]
	s_cbranch_vccnz .LBB21_23
.LBB21_25:                              ;   Parent Loop BB21_4 Depth=1
                                        ;     Parent Loop BB21_24 Depth=2
                                        ; =>    This Inner Loop Header: Depth=3
	global_load_dword v12, v33, s[82:83]
	global_load_dword v13, v[8:9], off
	global_load_dword v14, v33, s[80:81]
	s_waitcnt vmcnt(3)
	v_mov_b32_e32 v15, v11
	s_add_u32 s82, s82, 4
	s_addc_u32 s83, s83, 0
	s_add_u32 s80, s80, 4
	s_addc_u32 s81, s81, 0
	s_add_i32 s48, s48, -1
	s_cmp_eq_u32 s48, 0
	s_waitcnt vmcnt(2)
	v_mul_f32_e32 v16, v15, v12
	s_waitcnt vmcnt(1)
	v_mul_f32_e32 v11, v12, v13
	s_waitcnt vmcnt(0)
	v_fma_f32 v12, v14, v13, -v16
	global_store_dword v[8:9], v12, off
	v_add_co_u32_e32 v8, vcc, 4, v8
	v_fmac_f32_e32 v11, v15, v14
	v_addc_co_u32_e32 v9, vcc, 0, v9, vcc
	s_cbranch_scc0 .LBB21_25
	s_branch .LBB21_23
.LBB21_26:                              ;   in Loop: Header=BB21_4 Depth=1
	s_or_b64 exec, exec, s[76:77]
	s_mov_b64 s[76:77], 0
.LBB21_27:                              ;   in Loop: Header=BB21_4 Depth=1
	s_andn2_b64 vcc, exec, s[76:77]
	s_cbranch_vccnz .LBB21_3
; %bb.28:                               ;   in Loop: Header=BB21_4 Depth=1
	s_andn2_b64 vcc, exec, s[36:37]
	s_mov_b64 s[76:77], -1
	s_cbranch_vccnz .LBB21_35
; %bb.29:                               ;   in Loop: Header=BB21_4 Depth=1
	s_and_saveexec_b64 s[76:77], s[0:1]
	s_cbranch_execz .LBB21_34
; %bb.30:                               ;   in Loop: Header=BB21_4 Depth=1
	v_mov_b32_e32 v5, s52
	v_add_co_u32_e32 v4, vcc, s53, v24
	v_addc_co_u32_e32 v5, vcc, v25, v5, vcc
	s_mov_b64 s[78:79], 0
	v_mov_b32_e32 v10, v0
	s_branch .LBB21_32
.LBB21_31:                              ;   in Loop: Header=BB21_32 Depth=2
	v_add_u32_e32 v10, s4, v10
	v_cmp_le_i32_e32 vcc, s86, v10
	s_waitcnt vmcnt(0)
	global_store_dword v[6:7], v11, off
	v_mov_b32_e32 v6, s61
	s_or_b64 s[78:79], vcc, s[78:79]
	v_add_co_u32_e32 v4, vcc, s60, v4
	v_addc_co_u32_e32 v5, vcc, v5, v6, vcc
	s_andn2_b64 exec, exec, s[78:79]
	s_cbranch_execz .LBB21_34
.LBB21_32:                              ;   Parent Loop BB21_4 Depth=1
                                        ; =>  This Loop Header: Depth=2
                                        ;       Child Loop BB21_33 Depth 3
	v_mad_i64_i32 v[6:7], s[44:45], v10, s20, 0
	v_lshlrev_b64 v[6:7], 2, v[6:7]
	v_mov_b32_e32 v8, s55
	v_add_co_u32_e32 v6, vcc, s54, v6
	v_addc_co_u32_e32 v7, vcc, v8, v7, vcc
	global_load_dword v11, v[6:7], off
	s_andn2_b64 vcc, exec, s[30:31]
	v_pk_mov_b32 v[8:9], v[4:5], v[4:5] op_sel:[0,1]
	s_mov_b64 s[80:81], s[74:75]
	s_mov_b64 s[82:83], s[72:73]
	s_mov_b32 s44, s91
	s_cbranch_vccnz .LBB21_31
.LBB21_33:                              ;   Parent Loop BB21_4 Depth=1
                                        ;     Parent Loop BB21_32 Depth=2
                                        ; =>    This Inner Loop Header: Depth=3
	global_load_dword v12, v33, s[80:81]
	global_load_dword v13, v[8:9], off
	global_load_dword v14, v33, s[82:83]
	s_add_i32 s44, s44, -1
	s_waitcnt vmcnt(3)
	v_mov_b32_e32 v15, v11
	s_add_u32 s82, s82, -4
	s_addc_u32 s83, s83, -1
	s_add_u32 s80, s80, -4
	s_addc_u32 s81, s81, -1
	s_cmp_lt_u32 s44, 3
	s_waitcnt vmcnt(2)
	v_mul_f32_e32 v16, v15, v12
	s_waitcnt vmcnt(1)
	v_mul_f32_e32 v11, v12, v13
	s_waitcnt vmcnt(0)
	v_fma_f32 v12, v14, v13, -v16
	global_store_dword v[8:9], v12, off
	v_add_co_u32_e32 v8, vcc, -4, v8
	v_fmac_f32_e32 v11, v15, v14
	v_addc_co_u32_e32 v9, vcc, -1, v9, vcc
	s_cbranch_scc0 .LBB21_33
	s_branch .LBB21_31
.LBB21_34:                              ;   in Loop: Header=BB21_4 Depth=1
	s_or_b64 exec, exec, s[76:77]
	s_mov_b64 s[76:77], 0
.LBB21_35:                              ;   in Loop: Header=BB21_4 Depth=1
	s_andn2_b64 vcc, exec, s[76:77]
	s_cbranch_vccnz .LBB21_3
; %bb.36:                               ;   in Loop: Header=BB21_4 Depth=1
	s_andn2_b64 vcc, exec, s[38:39]
	s_mov_b64 s[76:77], -1
	s_cbranch_vccnz .LBB21_43
; %bb.37:                               ;   in Loop: Header=BB21_4 Depth=1
	s_and_saveexec_b64 s[76:77], s[0:1]
	s_cbranch_execz .LBB21_42
; %bb.38:                               ;   in Loop: Header=BB21_4 Depth=1
	s_lshl_b64 s[44:45], s[26:27], 2
	s_add_u32 s44, s54, s44
	s_addc_u32 s45, s55, s45
	v_mov_b32_e32 v5, s52
	v_add_co_u32_e32 v4, vcc, s53, v18
	s_add_u32 s48, s44, -4
	v_addc_co_u32_e32 v5, vcc, v19, v5, vcc
	s_addc_u32 s49, s45, -1
	s_mov_b64 s[78:79], 0
	v_mov_b32_e32 v10, v0
	s_branch .LBB21_40
.LBB21_39:                              ;   in Loop: Header=BB21_40 Depth=2
	v_add_u32_e32 v10, s4, v10
	v_cmp_le_i32_e32 vcc, s86, v10
	s_waitcnt vmcnt(0)
	global_store_dword v[6:7], v11, off
	v_mov_b32_e32 v6, s61
	s_or_b64 s[78:79], vcc, s[78:79]
	v_add_co_u32_e32 v4, vcc, s60, v4
	v_addc_co_u32_e32 v5, vcc, v5, v6, vcc
	s_andn2_b64 exec, exec, s[78:79]
	s_cbranch_execz .LBB21_42
.LBB21_40:                              ;   Parent Loop BB21_4 Depth=1
                                        ; =>  This Loop Header: Depth=2
                                        ;       Child Loop BB21_41 Depth 3
	v_mad_i64_i32 v[6:7], s[44:45], v10, s20, 0
	v_lshlrev_b64 v[6:7], 2, v[6:7]
	v_mov_b32_e32 v8, s49
	v_add_co_u32_e32 v6, vcc, s48, v6
	v_addc_co_u32_e32 v7, vcc, v8, v7, vcc
	global_load_dword v11, v[6:7], off
	s_andn2_b64 vcc, exec, s[30:31]
	v_pk_mov_b32 v[8:9], v[4:5], v[4:5] op_sel:[0,1]
	s_mov_b64 s[80:81], s[70:71]
	s_mov_b64 s[82:83], s[68:69]
	s_mov_b32 s44, s56
	s_cbranch_vccnz .LBB21_39
.LBB21_41:                              ;   Parent Loop BB21_4 Depth=1
                                        ;     Parent Loop BB21_40 Depth=2
                                        ; =>    This Inner Loop Header: Depth=3
	global_load_dword v12, v[8:9], off
	global_load_dword v13, v33, s[82:83]
	global_load_dword v14, v33, s[80:81]
	s_add_i32 s44, s44, -1
	s_add_u32 s82, s82, 4
	s_addc_u32 s83, s83, 0
	s_add_u32 s80, s80, 4
	s_addc_u32 s81, s81, 0
	s_cmp_eq_u32 s44, 0
	s_waitcnt vmcnt(1)
	v_mul_f32_e32 v15, v13, v12
	s_waitcnt vmcnt(0)
	v_fmac_f32_e32 v15, v11, v14
	v_mul_f32_e32 v12, v14, v12
	global_store_dword v[8:9], v15, off
	v_add_co_u32_e32 v8, vcc, 4, v8
	v_fma_f32 v11, v11, v13, -v12
	v_addc_co_u32_e32 v9, vcc, 0, v9, vcc
	s_cbranch_scc0 .LBB21_41
	s_branch .LBB21_39
.LBB21_42:                              ;   in Loop: Header=BB21_4 Depth=1
	s_or_b64 exec, exec, s[76:77]
	s_mov_b64 s[76:77], 0
.LBB21_43:                              ;   in Loop: Header=BB21_4 Depth=1
	s_andn2_b64 vcc, exec, s[76:77]
	s_cbranch_vccnz .LBB21_3
; %bb.44:                               ;   in Loop: Header=BB21_4 Depth=1
	s_andn2_b64 vcc, exec, s[40:41]
	s_mov_b64 s[76:77], -1
	s_cbranch_vccnz .LBB21_51
; %bb.45:                               ;   in Loop: Header=BB21_4 Depth=1
	s_and_saveexec_b64 s[76:77], s[0:1]
	s_cbranch_execz .LBB21_50
; %bb.46:                               ;   in Loop: Header=BB21_4 Depth=1
	s_lshl_b64 s[44:45], s[26:27], 2
	s_add_u32 s44, s54, s44
	s_addc_u32 s45, s55, s45
	v_mov_b32_e32 v5, s52
	v_add_co_u32_e32 v4, vcc, s53, v20
	s_add_u32 s48, s44, -4
	v_addc_co_u32_e32 v5, vcc, v21, v5, vcc
	s_addc_u32 s49, s45, -1
	s_mov_b64 s[78:79], 0
	v_mov_b32_e32 v10, v0
	s_branch .LBB21_48
.LBB21_47:                              ;   in Loop: Header=BB21_48 Depth=2
	v_add_u32_e32 v10, s4, v10
	v_cmp_le_i32_e32 vcc, s86, v10
	s_waitcnt vmcnt(0)
	global_store_dword v[6:7], v11, off
	v_mov_b32_e32 v6, s61
	s_or_b64 s[78:79], vcc, s[78:79]
	v_add_co_u32_e32 v4, vcc, s60, v4
	v_addc_co_u32_e32 v5, vcc, v5, v6, vcc
	s_andn2_b64 exec, exec, s[78:79]
	s_cbranch_execz .LBB21_50
.LBB21_48:                              ;   Parent Loop BB21_4 Depth=1
                                        ; =>  This Loop Header: Depth=2
                                        ;       Child Loop BB21_49 Depth 3
	v_mad_i64_i32 v[6:7], s[44:45], v10, s20, 0
	v_lshlrev_b64 v[6:7], 2, v[6:7]
	v_mov_b32_e32 v8, s49
	v_add_co_u32_e32 v6, vcc, s48, v6
	v_addc_co_u32_e32 v7, vcc, v8, v7, vcc
	global_load_dword v11, v[6:7], off
	s_andn2_b64 vcc, exec, s[30:31]
	v_pk_mov_b32 v[8:9], v[4:5], v[4:5] op_sel:[0,1]
	s_mov_b64 s[80:81], s[74:75]
	s_mov_b64 s[82:83], s[72:73]
	s_mov_b32 s44, s56
	s_cbranch_vccnz .LBB21_47
.LBB21_49:                              ;   Parent Loop BB21_4 Depth=1
                                        ;     Parent Loop BB21_48 Depth=2
                                        ; =>    This Inner Loop Header: Depth=3
	global_load_dword v12, v[8:9], off
	global_load_dword v13, v33, s[82:83]
	global_load_dword v14, v33, s[80:81]
	s_add_i32 s44, s44, -1
	s_add_u32 s82, s82, -4
	s_addc_u32 s83, s83, -1
	s_add_u32 s80, s80, -4
	s_addc_u32 s81, s81, -1
	s_cmp_eq_u32 s44, 0
	s_waitcnt vmcnt(1)
	v_mul_f32_e32 v15, v13, v12
	s_waitcnt vmcnt(0)
	v_fmac_f32_e32 v15, v11, v14
	v_mul_f32_e32 v12, v14, v12
	global_store_dword v[8:9], v15, off
	v_add_co_u32_e32 v8, vcc, -4, v8
	v_fma_f32 v11, v11, v13, -v12
	v_addc_co_u32_e32 v9, vcc, -1, v9, vcc
	s_cbranch_scc0 .LBB21_49
	s_branch .LBB21_47
.LBB21_50:                              ;   in Loop: Header=BB21_4 Depth=1
	s_or_b64 exec, exec, s[76:77]
	s_mov_b64 s[76:77], 0
.LBB21_51:                              ;   in Loop: Header=BB21_4 Depth=1
	s_andn2_b64 vcc, exec, s[76:77]
	s_cbranch_vccnz .LBB21_3
; %bb.52:                               ;   in Loop: Header=BB21_4 Depth=1
	v_mov_b32_e32 v5, s52
	v_add_co_u32_e32 v4, vcc, s53, v1
	v_addc_co_u32_e32 v5, vcc, v26, v5, vcc
	s_andn2_b64 vcc, exec, s[42:43]
	s_mov_b64 s[72:73], -1
	s_cbranch_vccnz .LBB21_59
; %bb.53:                               ;   in Loop: Header=BB21_4 Depth=1
	s_and_saveexec_b64 s[72:73], s[2:3]
	s_cbranch_execz .LBB21_58
; %bb.54:                               ;   in Loop: Header=BB21_4 Depth=1
	s_lshl_b64 s[44:45], s[62:63], 2
	s_add_u32 s80, s54, s44
	s_addc_u32 s48, s55, s45
	s_mov_b64 s[74:75], 0
	v_pk_mov_b32 v[6:7], v[4:5], v[4:5] op_sel:[0,1]
	v_mov_b32_e32 v8, v0
	s_branch .LBB21_56
.LBB21_55:                              ;   in Loop: Header=BB21_56 Depth=2
	v_mov_b32_e32 v12, s48
	v_add_co_u32_e32 v10, vcc, s80, v10
	v_addc_co_u32_e32 v11, vcc, v12, v11, vcc
	v_add_u32_e32 v8, s4, v8
	v_cmp_le_i32_e32 vcc, s19, v8
	s_waitcnt vmcnt(0)
	global_store_dword v[10:11], v9, off
	v_mov_b32_e32 v9, s67
	s_or_b64 s[74:75], vcc, s[74:75]
	v_add_co_u32_e32 v6, vcc, s66, v6
	v_addc_co_u32_e32 v7, vcc, v7, v9, vcc
	s_andn2_b64 exec, exec, s[74:75]
	s_cbranch_execz .LBB21_58
.LBB21_56:                              ;   Parent Loop BB21_4 Depth=1
                                        ; =>  This Loop Header: Depth=2
                                        ;       Child Loop BB21_57 Depth 3
	v_ashrrev_i32_e32 v9, 31, v8
	v_lshlrev_b64 v[10:11], 2, v[8:9]
	v_mov_b32_e32 v9, s55
	v_add_co_u32_e32 v12, vcc, s54, v10
	v_addc_co_u32_e32 v13, vcc, v9, v11, vcc
	global_load_dword v9, v[12:13], off
	s_andn2_b64 vcc, exec, s[46:47]
	s_mov_b64 s[76:77], s[70:71]
	s_mov_b64 s[78:79], s[68:69]
	v_pk_mov_b32 v[12:13], v[6:7], v[6:7] op_sel:[0,1]
	s_mov_b32 s44, s18
	s_cbranch_vccnz .LBB21_55
.LBB21_57:                              ;   Parent Loop BB21_4 Depth=1
                                        ;     Parent Loop BB21_56 Depth=2
                                        ; =>    This Inner Loop Header: Depth=3
	v_mov_b32_e32 v15, s65
	v_add_co_u32_e32 v14, vcc, s64, v12
	global_load_dword v16, v33, s[76:77]
	v_addc_co_u32_e32 v15, vcc, v13, v15, vcc
	global_load_dword v17, v[14:15], off
	global_load_dword v35, v33, s[78:79]
	s_add_i32 s44, s44, -1
	s_add_u32 s78, s78, 4
	s_addc_u32 s79, s79, 0
	s_add_u32 s76, s76, 4
	s_addc_u32 s77, s77, 0
	s_cmp_eq_u32 s44, 0
	s_waitcnt vmcnt(2)
	v_mul_f32_e32 v36, v9, v16
	s_waitcnt vmcnt(1)
	v_mul_f32_e32 v16, v16, v17
	s_waitcnt vmcnt(0)
	v_fmac_f32_e32 v16, v9, v35
	v_fma_f32 v9, v35, v17, -v36
	global_store_dword v[12:13], v16, off
	v_pk_mov_b32 v[12:13], v[14:15], v[14:15] op_sel:[0,1]
	s_cbranch_scc0 .LBB21_57
	s_branch .LBB21_55
.LBB21_58:                              ;   in Loop: Header=BB21_4 Depth=1
	s_or_b64 exec, exec, s[72:73]
	s_mov_b64 s[72:73], 0
.LBB21_59:                              ;   in Loop: Header=BB21_4 Depth=1
	s_andn2_b64 vcc, exec, s[72:73]
	s_cbranch_vccnz .LBB21_3
; %bb.60:                               ;   in Loop: Header=BB21_4 Depth=1
	v_mov_b32_e32 v7, s52
	v_add_co_u32_e32 v6, vcc, s53, v29
	s_add_u32 s72, s5, s85
	v_addc_co_u32_e32 v7, vcc, v30, v7, vcc
	s_addc_u32 s73, s57, s84
	v_mov_b32_e32 v9, s52
	v_add_co_u32_e32 v8, vcc, s53, v27
	v_readlane_b32 s44, v42, 0
	s_add_u32 s74, s92, s51
	v_addc_co_u32_e32 v9, vcc, v28, v9, vcc
	v_readlane_b32 s45, v42, 1
	s_addc_u32 s75, s93, s50
	s_andn2_b64 vcc, exec, s[44:45]
	s_mov_b64 s[76:77], -1
	s_cbranch_vccnz .LBB21_68
; %bb.61:                               ;   in Loop: Header=BB21_4 Depth=1
	s_and_saveexec_b64 s[76:77], s[2:3]
	s_cbranch_execz .LBB21_67
; %bb.62:                               ;   in Loop: Header=BB21_4 Depth=1
	s_lshl_b64 s[44:45], s[62:63], 2
	s_add_u32 s50, s54, s44
	s_addc_u32 s51, s55, s45
	s_mov_b64 s[78:79], 0
	v_pk_mov_b32 v[10:11], v[6:7], v[6:7] op_sel:[0,1]
	v_pk_mov_b32 v[12:13], v[8:9], v[8:9] op_sel:[0,1]
	v_mov_b32_e32 v14, v0
	s_branch .LBB21_64
.LBB21_63:                              ;   in Loop: Header=BB21_64 Depth=2
	v_mov_b32_e32 v35, s55
	v_add_co_u32_e32 v16, vcc, s54, v16
	v_addc_co_u32_e32 v17, vcc, v35, v17, vcc
	s_waitcnt vmcnt(0)
	global_store_dword v[16:17], v15, off
	v_mov_b32_e32 v15, s67
	v_add_co_u32_e32 v12, vcc, s66, v12
	v_add_u32_e32 v14, s4, v14
	v_addc_co_u32_e32 v13, vcc, v13, v15, vcc
	v_cmp_le_i32_e32 vcc, s19, v14
	s_or_b64 s[78:79], vcc, s[78:79]
	v_add_co_u32_e32 v10, vcc, s66, v10
	v_addc_co_u32_e32 v11, vcc, v11, v15, vcc
	s_andn2_b64 exec, exec, s[78:79]
	s_cbranch_execz .LBB21_67
.LBB21_64:                              ;   Parent Loop BB21_4 Depth=1
                                        ; =>  This Loop Header: Depth=2
                                        ;       Child Loop BB21_66 Depth 3
	v_ashrrev_i32_e32 v15, 31, v14
	v_lshlrev_b64 v[16:17], 2, v[14:15]
	v_mov_b32_e32 v15, s51
	v_add_co_u32_e32 v36, vcc, s50, v16
	v_addc_co_u32_e32 v37, vcc, v15, v17, vcc
	global_load_dword v15, v[36:37], off
	s_andn2_b64 vcc, exec, s[46:47]
	s_cbranch_vccnz .LBB21_63
; %bb.65:                               ;   in Loop: Header=BB21_64 Depth=2
	s_mov_b64 s[80:81], 0
	s_mov_b64 s[82:83], s[74:75]
	;; [unrolled: 1-line block ×3, first 2 shown]
	s_mov_b32 s48, s18
.LBB21_66:                              ;   Parent Loop BB21_4 Depth=1
                                        ;     Parent Loop BB21_64 Depth=2
                                        ; =>    This Inner Loop Header: Depth=3
	v_mov_b32_e32 v39, s81
	v_add_co_u32_e32 v36, vcc, s80, v10
	v_addc_co_u32_e32 v37, vcc, v11, v39, vcc
	global_load_dword v35, v33, s[84:85]
	global_load_dword v38, v33, s[82:83]
	global_load_dword v40, v[36:37], off
	s_add_i32 s48, s48, -1
	v_add_co_u32_e32 v36, vcc, s80, v12
	s_sub_u32 s80, s80, s64
	s_subb_u32 s81, s81, s65
	s_add_u32 s84, s84, -4
	s_addc_u32 s85, s85, -1
	s_add_u32 s82, s82, -4
	s_waitcnt vmcnt(3)
	v_mov_b32_e32 v41, v15
	v_addc_co_u32_e32 v37, vcc, v13, v39, vcc
	s_addc_u32 s83, s83, -1
	s_cmp_eq_u32 s48, 0
	s_waitcnt vmcnt(0)
	v_mul_f32_e32 v39, v38, v40
	v_mul_f32_e32 v15, v35, v40
	v_fma_f32 v35, v41, v35, -v39
	v_fmac_f32_e32 v15, v41, v38
	global_store_dword v[36:37], v35, off
	s_cbranch_scc0 .LBB21_66
	s_branch .LBB21_63
.LBB21_67:                              ;   in Loop: Header=BB21_4 Depth=1
	s_or_b64 exec, exec, s[76:77]
	s_mov_b64 s[76:77], 0
.LBB21_68:                              ;   in Loop: Header=BB21_4 Depth=1
	s_andn2_b64 vcc, exec, s[76:77]
	s_cbranch_vccnz .LBB21_3
; %bb.69:                               ;   in Loop: Header=BB21_4 Depth=1
	v_readlane_b32 s44, v42, 2
	v_readlane_b32 s45, v42, 3
	s_andn2_b64 vcc, exec, s[44:45]
	s_mov_b64 s[76:77], -1
	s_cbranch_vccnz .LBB21_76
; %bb.70:                               ;   in Loop: Header=BB21_4 Depth=1
	s_and_saveexec_b64 s[76:77], s[2:3]
	s_cbranch_execz .LBB21_75
; %bb.71:                               ;   in Loop: Header=BB21_4 Depth=1
	v_mov_b32_e32 v11, s52
	v_add_co_u32_e32 v10, vcc, s53, v31
	v_addc_co_u32_e32 v11, vcc, v32, v11, vcc
	s_mov_b64 s[78:79], 0
	v_mov_b32_e32 v12, v0
	s_branch .LBB21_73
.LBB21_72:                              ;   in Loop: Header=BB21_73 Depth=2
	v_add_u32_e32 v12, s4, v12
	v_cmp_le_i32_e32 vcc, s19, v12
	s_waitcnt vmcnt(0)
	global_store_dword v[14:15], v13, off
	v_mov_b32_e32 v13, s67
	s_or_b64 s[78:79], vcc, s[78:79]
	v_add_co_u32_e32 v10, vcc, s66, v10
	v_addc_co_u32_e32 v11, vcc, v11, v13, vcc
	s_andn2_b64 exec, exec, s[78:79]
	s_cbranch_execz .LBB21_75
.LBB21_73:                              ;   Parent Loop BB21_4 Depth=1
                                        ; =>  This Loop Header: Depth=2
                                        ;       Child Loop BB21_74 Depth 3
	v_ashrrev_i32_e32 v13, 31, v12
	v_lshlrev_b64 v[14:15], 2, v[12:13]
	v_mov_b32_e32 v13, s55
	v_add_co_u32_e32 v14, vcc, s54, v14
	v_addc_co_u32_e32 v15, vcc, v13, v15, vcc
	global_load_dword v13, v[14:15], off
	s_andn2_b64 vcc, exec, s[46:47]
	v_pk_mov_b32 v[16:17], v[10:11], v[10:11] op_sel:[0,1]
	s_mov_b32 s48, s18
	s_mov_b64 s[80:81], s[68:69]
	s_mov_b64 s[82:83], s[70:71]
	s_cbranch_vccnz .LBB21_72
.LBB21_74:                              ;   Parent Loop BB21_4 Depth=1
                                        ;     Parent Loop BB21_73 Depth=2
                                        ; =>    This Inner Loop Header: Depth=3
	global_load_dword v35, v33, s[82:83]
	global_load_dword v36, v[16:17], off
	global_load_dword v37, v33, s[80:81]
	s_waitcnt vmcnt(3)
	v_mov_b32_e32 v38, v13
	s_add_u32 s82, s82, 4
	s_addc_u32 s83, s83, 0
	s_add_u32 s80, s80, 4
	v_mov_b32_e32 v39, s65
	s_addc_u32 s81, s81, 0
	s_add_i32 s48, s48, -1
	s_cmp_eq_u32 s48, 0
	s_waitcnt vmcnt(2)
	v_mul_f32_e32 v40, v38, v35
	s_waitcnt vmcnt(1)
	v_mul_f32_e32 v13, v35, v36
	s_waitcnt vmcnt(0)
	v_fma_f32 v35, v37, v36, -v40
	global_store_dword v[16:17], v35, off
	v_add_co_u32_e32 v16, vcc, s64, v16
	v_fmac_f32_e32 v13, v38, v37
	v_addc_co_u32_e32 v17, vcc, v17, v39, vcc
	s_cbranch_scc0 .LBB21_74
	s_branch .LBB21_72
.LBB21_75:                              ;   in Loop: Header=BB21_4 Depth=1
	s_or_b64 exec, exec, s[76:77]
	s_mov_b64 s[76:77], 0
.LBB21_76:                              ;   in Loop: Header=BB21_4 Depth=1
	s_andn2_b64 vcc, exec, s[76:77]
	s_cbranch_vccnz .LBB21_3
; %bb.77:                               ;   in Loop: Header=BB21_4 Depth=1
	v_readlane_b32 s44, v42, 4
	v_readlane_b32 s45, v42, 5
	s_andn2_b64 vcc, exec, s[44:45]
	s_mov_b64 s[76:77], -1
	s_cbranch_vccnz .LBB21_84
; %bb.78:                               ;   in Loop: Header=BB21_4 Depth=1
	s_and_saveexec_b64 s[76:77], s[2:3]
	s_cbranch_execz .LBB21_83
; %bb.79:                               ;   in Loop: Header=BB21_4 Depth=1
	s_mov_b64 s[78:79], 0
	v_mov_b32_e32 v10, v0
	s_branch .LBB21_81
.LBB21_80:                              ;   in Loop: Header=BB21_81 Depth=2
	v_add_u32_e32 v10, s4, v10
	v_cmp_le_i32_e32 vcc, s19, v10
	s_waitcnt vmcnt(0)
	global_store_dword v[12:13], v11, off
	v_mov_b32_e32 v11, s67
	s_or_b64 s[78:79], vcc, s[78:79]
	v_add_co_u32_e32 v8, vcc, s66, v8
	v_addc_co_u32_e32 v9, vcc, v9, v11, vcc
	s_andn2_b64 exec, exec, s[78:79]
	s_cbranch_execz .LBB21_83
.LBB21_81:                              ;   Parent Loop BB21_4 Depth=1
                                        ; =>  This Loop Header: Depth=2
                                        ;       Child Loop BB21_82 Depth 3
	v_ashrrev_i32_e32 v11, 31, v10
	v_lshlrev_b64 v[12:13], 2, v[10:11]
	v_mov_b32_e32 v11, s55
	v_add_co_u32_e32 v12, vcc, s54, v12
	v_addc_co_u32_e32 v13, vcc, v11, v13, vcc
	global_load_dword v11, v[12:13], off
	s_andn2_b64 vcc, exec, s[46:47]
	v_pk_mov_b32 v[14:15], v[8:9], v[8:9] op_sel:[0,1]
	s_mov_b64 s[80:81], s[74:75]
	s_mov_b64 s[82:83], s[72:73]
	s_mov_b32 s48, s21
	s_cbranch_vccnz .LBB21_80
.LBB21_82:                              ;   Parent Loop BB21_4 Depth=1
                                        ;     Parent Loop BB21_81 Depth=2
                                        ; =>    This Inner Loop Header: Depth=3
	global_load_dword v16, v33, s[80:81]
	global_load_dword v17, v[14:15], off
	global_load_dword v35, v33, s[82:83]
	s_add_i32 s48, s48, -1
	s_waitcnt vmcnt(3)
	v_mov_b32_e32 v36, v11
	s_add_u32 s82, s82, -4
	s_addc_u32 s83, s83, -1
	s_add_u32 s80, s80, -4
	v_mov_b32_e32 v37, s95
	s_addc_u32 s81, s81, -1
	s_cmp_lt_u32 s48, 3
	s_waitcnt vmcnt(2)
	v_mul_f32_e32 v38, v36, v16
	s_waitcnt vmcnt(1)
	v_mul_f32_e32 v11, v16, v17
	s_waitcnt vmcnt(0)
	v_fma_f32 v16, v35, v17, -v38
	global_store_dword v[14:15], v16, off
	v_add_co_u32_e32 v14, vcc, s94, v14
	v_fmac_f32_e32 v11, v36, v35
	v_addc_co_u32_e32 v15, vcc, v15, v37, vcc
	s_cbranch_scc0 .LBB21_82
	s_branch .LBB21_80
.LBB21_83:                              ;   in Loop: Header=BB21_4 Depth=1
	s_or_b64 exec, exec, s[76:77]
	s_mov_b64 s[76:77], 0
.LBB21_84:                              ;   in Loop: Header=BB21_4 Depth=1
	s_andn2_b64 vcc, exec, s[76:77]
	s_cbranch_vccnz .LBB21_3
; %bb.85:                               ;   in Loop: Header=BB21_4 Depth=1
	v_readlane_b32 s44, v42, 6
	v_readlane_b32 s45, v42, 7
	s_andn2_b64 vcc, exec, s[44:45]
	s_mov_b64 s[76:77], -1
	s_cbranch_vccnz .LBB21_92
; %bb.86:                               ;   in Loop: Header=BB21_4 Depth=1
	s_and_saveexec_b64 s[76:77], s[2:3]
	s_cbranch_execz .LBB21_91
; %bb.87:                               ;   in Loop: Header=BB21_4 Depth=1
	s_lshl_b64 s[44:45], s[62:63], 2
	s_add_u32 s50, s54, s44
	s_addc_u32 s48, s55, s45
	s_mov_b64 s[78:79], 0
	v_mov_b32_e32 v8, v0
	s_branch .LBB21_89
.LBB21_88:                              ;   in Loop: Header=BB21_89 Depth=2
	v_add_u32_e32 v8, s4, v8
	v_cmp_le_i32_e32 vcc, s19, v8
	s_waitcnt vmcnt(0)
	global_store_dword v[10:11], v9, off
	v_mov_b32_e32 v9, s67
	s_or_b64 s[78:79], vcc, s[78:79]
	v_add_co_u32_e32 v4, vcc, s66, v4
	v_addc_co_u32_e32 v5, vcc, v5, v9, vcc
	s_andn2_b64 exec, exec, s[78:79]
	s_cbranch_execz .LBB21_91
.LBB21_89:                              ;   Parent Loop BB21_4 Depth=1
                                        ; =>  This Loop Header: Depth=2
                                        ;       Child Loop BB21_90 Depth 3
	v_ashrrev_i32_e32 v9, 31, v8
	v_lshlrev_b64 v[10:11], 2, v[8:9]
	v_mov_b32_e32 v9, s48
	v_add_co_u32_e32 v10, vcc, s50, v10
	v_addc_co_u32_e32 v11, vcc, v9, v11, vcc
	global_load_dword v9, v[10:11], off
	s_andn2_b64 vcc, exec, s[46:47]
	v_pk_mov_b32 v[12:13], v[4:5], v[4:5] op_sel:[0,1]
	s_mov_b64 s[80:81], s[70:71]
	s_mov_b64 s[82:83], s[68:69]
	s_mov_b32 s49, s18
	s_cbranch_vccnz .LBB21_88
.LBB21_90:                              ;   Parent Loop BB21_4 Depth=1
                                        ;     Parent Loop BB21_89 Depth=2
                                        ; =>    This Inner Loop Header: Depth=3
	global_load_dword v14, v[12:13], off
	global_load_dword v15, v33, s[82:83]
	global_load_dword v16, v33, s[80:81]
	s_add_i32 s49, s49, -1
	s_add_u32 s82, s82, 4
	s_addc_u32 s83, s83, 0
	s_add_u32 s80, s80, 4
	v_mov_b32_e32 v17, s65
	s_addc_u32 s81, s81, 0
	s_cmp_eq_u32 s49, 0
	s_waitcnt vmcnt(1)
	v_mul_f32_e32 v35, v15, v14
	s_waitcnt vmcnt(0)
	v_fmac_f32_e32 v35, v9, v16
	v_mul_f32_e32 v14, v16, v14
	global_store_dword v[12:13], v35, off
	v_add_co_u32_e32 v12, vcc, s64, v12
	v_fma_f32 v9, v9, v15, -v14
	v_addc_co_u32_e32 v13, vcc, v13, v17, vcc
	s_cbranch_scc0 .LBB21_90
	s_branch .LBB21_88
.LBB21_91:                              ;   in Loop: Header=BB21_4 Depth=1
	s_or_b64 exec, exec, s[76:77]
	s_mov_b64 s[76:77], 0
.LBB21_92:                              ;   in Loop: Header=BB21_4 Depth=1
	s_andn2_b64 vcc, exec, s[76:77]
	s_cbranch_vccnz .LBB21_3
; %bb.93:                               ;   in Loop: Header=BB21_4 Depth=1
	s_mov_b64 s[68:69], exec
	v_readlane_b32 s44, v42, 8
	v_readlane_b32 s45, v42, 9
	s_and_b64 s[44:45], s[68:69], s[44:45]
	s_mov_b64 exec, s[44:45]
	s_cbranch_execz .LBB21_2
; %bb.94:                               ;   in Loop: Header=BB21_4 Depth=1
	s_lshl_b64 s[44:45], s[62:63], 2
	s_add_u32 s50, s54, s44
	s_addc_u32 s48, s55, s45
	s_mov_b64 s[70:71], 0
	v_mov_b32_e32 v4, v0
	s_branch .LBB21_96
.LBB21_95:                              ;   in Loop: Header=BB21_96 Depth=2
	v_add_u32_e32 v4, s4, v4
	v_cmp_le_i32_e32 vcc, s19, v4
	s_waitcnt vmcnt(0)
	global_store_dword v[8:9], v5, off
	v_mov_b32_e32 v5, s67
	s_or_b64 s[70:71], vcc, s[70:71]
	v_add_co_u32_e32 v6, vcc, s66, v6
	v_addc_co_u32_e32 v7, vcc, v7, v5, vcc
	s_andn2_b64 exec, exec, s[70:71]
	s_cbranch_execz .LBB21_2
.LBB21_96:                              ;   Parent Loop BB21_4 Depth=1
                                        ; =>  This Loop Header: Depth=2
                                        ;       Child Loop BB21_97 Depth 3
	v_ashrrev_i32_e32 v5, 31, v4
	v_lshlrev_b64 v[8:9], 2, v[4:5]
	v_mov_b32_e32 v5, s48
	v_add_co_u32_e32 v8, vcc, s50, v8
	v_addc_co_u32_e32 v9, vcc, v5, v9, vcc
	global_load_dword v5, v[8:9], off
	s_andn2_b64 vcc, exec, s[46:47]
	v_pk_mov_b32 v[10:11], v[6:7], v[6:7] op_sel:[0,1]
	s_mov_b64 s[76:77], s[74:75]
	s_mov_b64 s[78:79], s[72:73]
	s_mov_b32 s49, s18
	s_cbranch_vccnz .LBB21_95
.LBB21_97:                              ;   Parent Loop BB21_4 Depth=1
                                        ;     Parent Loop BB21_96 Depth=2
                                        ; =>    This Inner Loop Header: Depth=3
	global_load_dword v12, v[10:11], off
	global_load_dword v13, v33, s[78:79]
	global_load_dword v14, v33, s[76:77]
	s_add_i32 s49, s49, -1
	s_add_u32 s78, s78, -4
	s_addc_u32 s79, s79, -1
	s_add_u32 s76, s76, -4
	v_mov_b32_e32 v15, s95
	s_addc_u32 s77, s77, -1
	s_cmp_eq_u32 s49, 0
	s_waitcnt vmcnt(1)
	v_mul_f32_e32 v16, v13, v12
	s_waitcnt vmcnt(0)
	v_fmac_f32_e32 v16, v5, v14
	v_mul_f32_e32 v12, v14, v12
	global_store_dword v[10:11], v16, off
	v_add_co_u32_e32 v10, vcc, s94, v10
	v_fma_f32 v5, v5, v13, -v12
	v_addc_co_u32_e32 v11, vcc, v11, v15, vcc
	s_cbranch_scc0 .LBB21_97
	s_branch .LBB21_95
.LBB21_98:
	s_endpgm
	.section	.rodata,"a",@progbits
	.p2align	6, 0x0
	.amdhsa_kernel _ZN9rocsolver6v33100L11lasr_kernelIffPfiEEv13rocblas_side_14rocblas_pivot_15rocblas_direct_T2_S6_PT0_lS8_lT1_lS6_lS6_
		.amdhsa_group_segment_fixed_size 0
		.amdhsa_private_segment_fixed_size 0
		.amdhsa_kernarg_size 352
		.amdhsa_user_sgpr_count 6
		.amdhsa_user_sgpr_private_segment_buffer 1
		.amdhsa_user_sgpr_dispatch_ptr 0
		.amdhsa_user_sgpr_queue_ptr 0
		.amdhsa_user_sgpr_kernarg_segment_ptr 1
		.amdhsa_user_sgpr_dispatch_id 0
		.amdhsa_user_sgpr_flat_scratch_init 0
		.amdhsa_user_sgpr_kernarg_preload_length 0
		.amdhsa_user_sgpr_kernarg_preload_offset 0
		.amdhsa_user_sgpr_private_segment_size 0
		.amdhsa_uses_dynamic_stack 0
		.amdhsa_system_sgpr_private_segment_wavefront_offset 0
		.amdhsa_system_sgpr_workgroup_id_x 1
		.amdhsa_system_sgpr_workgroup_id_y 0
		.amdhsa_system_sgpr_workgroup_id_z 1
		.amdhsa_system_sgpr_workgroup_info 0
		.amdhsa_system_vgpr_workitem_id 0
		.amdhsa_next_free_vgpr 43
		.amdhsa_next_free_sgpr 96
		.amdhsa_accum_offset 44
		.amdhsa_reserve_vcc 1
		.amdhsa_reserve_flat_scratch 0
		.amdhsa_float_round_mode_32 0
		.amdhsa_float_round_mode_16_64 0
		.amdhsa_float_denorm_mode_32 3
		.amdhsa_float_denorm_mode_16_64 3
		.amdhsa_dx10_clamp 1
		.amdhsa_ieee_mode 1
		.amdhsa_fp16_overflow 0
		.amdhsa_tg_split 0
		.amdhsa_exception_fp_ieee_invalid_op 0
		.amdhsa_exception_fp_denorm_src 0
		.amdhsa_exception_fp_ieee_div_zero 0
		.amdhsa_exception_fp_ieee_overflow 0
		.amdhsa_exception_fp_ieee_underflow 0
		.amdhsa_exception_fp_ieee_inexact 0
		.amdhsa_exception_int_div_zero 0
	.end_amdhsa_kernel
	.section	.text._ZN9rocsolver6v33100L11lasr_kernelIffPfiEEv13rocblas_side_14rocblas_pivot_15rocblas_direct_T2_S6_PT0_lS8_lT1_lS6_lS6_,"axG",@progbits,_ZN9rocsolver6v33100L11lasr_kernelIffPfiEEv13rocblas_side_14rocblas_pivot_15rocblas_direct_T2_S6_PT0_lS8_lT1_lS6_lS6_,comdat
.Lfunc_end21:
	.size	_ZN9rocsolver6v33100L11lasr_kernelIffPfiEEv13rocblas_side_14rocblas_pivot_15rocblas_direct_T2_S6_PT0_lS8_lT1_lS6_lS6_, .Lfunc_end21-_ZN9rocsolver6v33100L11lasr_kernelIffPfiEEv13rocblas_side_14rocblas_pivot_15rocblas_direct_T2_S6_PT0_lS8_lT1_lS6_lS6_
                                        ; -- End function
	.section	.AMDGPU.csdata,"",@progbits
; Kernel info:
; codeLenInByte = 4508
; NumSgprs: 100
; NumVgprs: 43
; NumAgprs: 0
; TotalNumVgprs: 43
; ScratchSize: 0
; MemoryBound: 0
; FloatMode: 240
; IeeeMode: 1
; LDSByteSize: 0 bytes/workgroup (compile time only)
; SGPRBlocks: 12
; VGPRBlocks: 5
; NumSGPRsForWavesPerEU: 100
; NumVGPRsForWavesPerEU: 43
; AccumOffset: 44
; Occupancy: 8
; WaveLimiterHint : 0
; COMPUTE_PGM_RSRC2:SCRATCH_EN: 0
; COMPUTE_PGM_RSRC2:USER_SGPR: 6
; COMPUTE_PGM_RSRC2:TRAP_HANDLER: 0
; COMPUTE_PGM_RSRC2:TGID_X_EN: 1
; COMPUTE_PGM_RSRC2:TGID_Y_EN: 0
; COMPUTE_PGM_RSRC2:TGID_Z_EN: 1
; COMPUTE_PGM_RSRC2:TIDIG_COMP_CNT: 0
; COMPUTE_PGM_RSRC3_GFX90A:ACCUM_OFFSET: 10
; COMPUTE_PGM_RSRC3_GFX90A:TG_SPLIT: 0
	.section	.text._ZN9rocsolver6v33100L11swap_kernelIfiEEvT0_PT_S2_S4_S2_,"axG",@progbits,_ZN9rocsolver6v33100L11swap_kernelIfiEEvT0_PT_S2_S4_S2_,comdat
	.globl	_ZN9rocsolver6v33100L11swap_kernelIfiEEvT0_PT_S2_S4_S2_ ; -- Begin function _ZN9rocsolver6v33100L11swap_kernelIfiEEvT0_PT_S2_S4_S2_
	.p2align	8
	.type	_ZN9rocsolver6v33100L11swap_kernelIfiEEvT0_PT_S2_S4_S2_,@function
_ZN9rocsolver6v33100L11swap_kernelIfiEEvT0_PT_S2_S4_S2_: ; @_ZN9rocsolver6v33100L11swap_kernelIfiEEvT0_PT_S2_S4_S2_
; %bb.0:
	s_load_dword s16, s[4:5], 0x0
	s_waitcnt lgkmcnt(0)
	s_cmp_lt_i32 s16, 1
	s_cbranch_scc1 .LBB22_10
; %bb.1:
	s_load_dword s0, s[4:5], 0x28
	s_load_dword s1, s[4:5], 0x34
	s_load_dwordx2 s[2:3], s[4:5], 0x8
	s_load_dword s12, s[4:5], 0x10
	s_load_dwordx2 s[8:9], s[4:5], 0x18
	s_load_dword s10, s[4:5], 0x20
	s_waitcnt lgkmcnt(0)
	s_and_b32 s1, s1, 0xffff
	s_mul_i32 s6, s6, s1
	s_cmp_eq_u32 s12, 1
	s_mul_i32 s4, s0, s1
	s_cselect_b64 s[0:1], -1, 0
	s_cmp_eq_u32 s10, 1
	v_add_u32_e32 v0, s6, v0
	s_cselect_b64 s[6:7], -1, 0
	s_and_b64 s[14:15], s[0:1], s[6:7]
	v_cmp_gt_i32_e64 s[0:1], s16, v0
	s_mov_b64 s[6:7], -1
	s_and_b64 vcc, exec, s[14:15]
	s_cbranch_vccnz .LBB22_6
; %bb.2:
	s_and_saveexec_b64 s[6:7], s[0:1]
	s_cbranch_execz .LBB22_5
; %bb.3:
	v_mad_i64_i32 v[2:3], s[14:15], s10, v0, 0
	v_lshlrev_b64 v[2:3], 2, v[2:3]
	v_mov_b32_e32 v1, s9
	v_add_co_u32_e32 v2, vcc, s8, v2
	v_mad_i64_i32 v[4:5], s[14:15], s12, v0, 0
	v_addc_co_u32_e32 v3, vcc, v1, v3, vcc
	s_mul_hi_i32 s11, s10, s4
	s_mul_i32 s10, s10, s4
	v_lshlrev_b64 v[4:5], 2, v[4:5]
	s_mul_hi_i32 s13, s12, s4
	s_mul_i32 s12, s12, s4
	s_lshl_b64 s[10:11], s[10:11], 2
	v_mov_b32_e32 v1, s3
	v_add_co_u32_e32 v4, vcc, s2, v4
	s_lshl_b64 s[12:13], s[12:13], 2
	v_addc_co_u32_e32 v5, vcc, v1, v5, vcc
	s_mov_b64 s[14:15], 0
	v_mov_b32_e32 v1, s11
	v_mov_b32_e32 v6, s13
	;; [unrolled: 1-line block ×3, first 2 shown]
.LBB22_4:                               ; =>This Inner Loop Header: Depth=1
	global_load_dword v8, v[4:5], off
	global_load_dword v9, v[2:3], off
	v_add_u32_e32 v7, s4, v7
	v_cmp_le_i32_e32 vcc, s16, v7
	s_or_b64 s[14:15], vcc, s[14:15]
	s_waitcnt vmcnt(1)
	global_store_dword v[2:3], v8, off
	s_waitcnt vmcnt(1)
	global_store_dword v[4:5], v9, off
	v_add_co_u32_e32 v2, vcc, s10, v2
	v_addc_co_u32_e32 v3, vcc, v3, v1, vcc
	v_add_co_u32_e32 v4, vcc, s12, v4
	v_addc_co_u32_e32 v5, vcc, v5, v6, vcc
	s_andn2_b64 exec, exec, s[14:15]
	s_cbranch_execnz .LBB22_4
.LBB22_5:
	s_or_b64 exec, exec, s[6:7]
	s_mov_b64 s[6:7], 0
.LBB22_6:
	s_andn2_b64 vcc, exec, s[6:7]
	s_cbranch_vccnz .LBB22_10
; %bb.7:
	s_and_saveexec_b64 s[6:7], s[0:1]
	s_cbranch_execz .LBB22_10
; %bb.8:
	s_ashr_i32 s5, s4, 31
	v_ashrrev_i32_e32 v1, 31, v0
	s_lshl_b64 s[0:1], s[4:5], 2
	v_lshlrev_b64 v[2:3], 2, v[0:1]
	s_mov_b64 s[6:7], 0
	v_mov_b32_e32 v1, s9
	v_mov_b32_e32 v4, s3
	;; [unrolled: 1-line block ×3, first 2 shown]
.LBB22_9:                               ; =>This Inner Loop Header: Depth=1
	v_add_co_u32_e32 v6, vcc, s8, v2
	v_addc_co_u32_e32 v7, vcc, v1, v3, vcc
	v_add_co_u32_e32 v8, vcc, s2, v2
	v_addc_co_u32_e32 v9, vcc, v4, v3, vcc
	global_load_dword v10, v[8:9], off
	global_load_dword v11, v[6:7], off
	v_add_co_u32_e32 v2, vcc, s0, v2
	v_add_u32_e32 v0, s4, v0
	v_addc_co_u32_e32 v3, vcc, v3, v5, vcc
	v_cmp_le_i32_e32 vcc, s16, v0
	s_or_b64 s[6:7], vcc, s[6:7]
	s_waitcnt vmcnt(1)
	global_store_dword v[6:7], v10, off
	s_waitcnt vmcnt(1)
	global_store_dword v[8:9], v11, off
	s_andn2_b64 exec, exec, s[6:7]
	s_cbranch_execnz .LBB22_9
.LBB22_10:
	s_endpgm
	.section	.rodata,"a",@progbits
	.p2align	6, 0x0
	.amdhsa_kernel _ZN9rocsolver6v33100L11swap_kernelIfiEEvT0_PT_S2_S4_S2_
		.amdhsa_group_segment_fixed_size 0
		.amdhsa_private_segment_fixed_size 0
		.amdhsa_kernarg_size 296
		.amdhsa_user_sgpr_count 6
		.amdhsa_user_sgpr_private_segment_buffer 1
		.amdhsa_user_sgpr_dispatch_ptr 0
		.amdhsa_user_sgpr_queue_ptr 0
		.amdhsa_user_sgpr_kernarg_segment_ptr 1
		.amdhsa_user_sgpr_dispatch_id 0
		.amdhsa_user_sgpr_flat_scratch_init 0
		.amdhsa_user_sgpr_kernarg_preload_length 0
		.amdhsa_user_sgpr_kernarg_preload_offset 0
		.amdhsa_user_sgpr_private_segment_size 0
		.amdhsa_uses_dynamic_stack 0
		.amdhsa_system_sgpr_private_segment_wavefront_offset 0
		.amdhsa_system_sgpr_workgroup_id_x 1
		.amdhsa_system_sgpr_workgroup_id_y 0
		.amdhsa_system_sgpr_workgroup_id_z 0
		.amdhsa_system_sgpr_workgroup_info 0
		.amdhsa_system_vgpr_workitem_id 0
		.amdhsa_next_free_vgpr 12
		.amdhsa_next_free_sgpr 17
		.amdhsa_accum_offset 12
		.amdhsa_reserve_vcc 1
		.amdhsa_reserve_flat_scratch 0
		.amdhsa_float_round_mode_32 0
		.amdhsa_float_round_mode_16_64 0
		.amdhsa_float_denorm_mode_32 3
		.amdhsa_float_denorm_mode_16_64 3
		.amdhsa_dx10_clamp 1
		.amdhsa_ieee_mode 1
		.amdhsa_fp16_overflow 0
		.amdhsa_tg_split 0
		.amdhsa_exception_fp_ieee_invalid_op 0
		.amdhsa_exception_fp_denorm_src 0
		.amdhsa_exception_fp_ieee_div_zero 0
		.amdhsa_exception_fp_ieee_overflow 0
		.amdhsa_exception_fp_ieee_underflow 0
		.amdhsa_exception_fp_ieee_inexact 0
		.amdhsa_exception_int_div_zero 0
	.end_amdhsa_kernel
	.section	.text._ZN9rocsolver6v33100L11swap_kernelIfiEEvT0_PT_S2_S4_S2_,"axG",@progbits,_ZN9rocsolver6v33100L11swap_kernelIfiEEvT0_PT_S2_S4_S2_,comdat
.Lfunc_end22:
	.size	_ZN9rocsolver6v33100L11swap_kernelIfiEEvT0_PT_S2_S4_S2_, .Lfunc_end22-_ZN9rocsolver6v33100L11swap_kernelIfiEEvT0_PT_S2_S4_S2_
                                        ; -- End function
	.section	.AMDGPU.csdata,"",@progbits
; Kernel info:
; codeLenInByte = 460
; NumSgprs: 21
; NumVgprs: 12
; NumAgprs: 0
; TotalNumVgprs: 12
; ScratchSize: 0
; MemoryBound: 0
; FloatMode: 240
; IeeeMode: 1
; LDSByteSize: 0 bytes/workgroup (compile time only)
; SGPRBlocks: 2
; VGPRBlocks: 1
; NumSGPRsForWavesPerEU: 21
; NumVGPRsForWavesPerEU: 12
; AccumOffset: 12
; Occupancy: 8
; WaveLimiterHint : 0
; COMPUTE_PGM_RSRC2:SCRATCH_EN: 0
; COMPUTE_PGM_RSRC2:USER_SGPR: 6
; COMPUTE_PGM_RSRC2:TRAP_HANDLER: 0
; COMPUTE_PGM_RSRC2:TGID_X_EN: 1
; COMPUTE_PGM_RSRC2:TGID_Y_EN: 0
; COMPUTE_PGM_RSRC2:TGID_Z_EN: 0
; COMPUTE_PGM_RSRC2:TIDIG_COMP_CNT: 0
; COMPUTE_PGM_RSRC3_GFX90A:ACCUM_OFFSET: 2
; COMPUTE_PGM_RSRC3_GFX90A:TG_SPLIT: 0
	.text
	.p2align	2                               ; -- Begin function _ZN9rocsolver6v331009run_steqrIffEEviiiPT0_S3_PT_iPiS3_iS2_S2_S2_b
	.type	_ZN9rocsolver6v331009run_steqrIffEEviiiPT0_S3_PT_iPiS3_iS2_S2_S2_b,@function
_ZN9rocsolver6v331009run_steqrIffEEviiiPT0_S3_PT_iPiS3_iS2_S2_S2_b: ; @_ZN9rocsolver6v331009run_steqrIffEEviiiPT0_S3_PT_iPiS3_iS2_S2_S2_b
; %bb.0:
	s_waitcnt vmcnt(0) expcnt(0) lgkmcnt(0)
	s_or_saveexec_b64 s[4:5], -1
	buffer_store_dword v63, off, s[0:3], s32 offset:72 ; 4-byte Folded Spill
	s_mov_b64 exec, s[4:5]
	buffer_store_dword v40, off, s[0:3], s32 offset:68 ; 4-byte Folded Spill
	buffer_store_dword v41, off, s[0:3], s32 offset:64 ; 4-byte Folded Spill
	;; [unrolled: 1-line block ×17, first 2 shown]
	buffer_store_dword a35, off, s[0:3], s32 ; 4-byte Folded Spill
	v_writelane_b32 v63, s34, 0
	v_writelane_b32 v63, s35, 1
	;; [unrolled: 1-line block ×17, first 2 shown]
	v_accvgpr_write_b32 a15, v11
	v_mov_b32_e32 v22, v1
	v_and_b32_e32 v1, 1, v18
	v_mov_b32_e32 v58, v17
	v_mov_b32_e32 v59, v15
	;; [unrolled: 1-line block ×3, first 2 shown]
	v_accvgpr_write_b32 a14, v10
	v_mov_b32_e32 v20, v9
	v_accvgpr_write_b32 a18, v8
	v_mov_b32_e32 v29, v7
	v_mov_b32_e32 v62, v6
	v_mov_b32_e32 v9, v3
	v_cmp_eq_u32_e64 s[6:7], 1, v1
	v_cmp_eq_u32_e64 s[4:5], 0, v0
	s_and_saveexec_b64 s[8:9], s[4:5]
	s_cbranch_execz .LBB23_2
; %bb.1:
	v_mov_b32_e32 v1, 0
	ds_write2_b32 v1, v1, v1 offset0:3 offset1:7
.LBB23_2:
	s_or_b64 exec, exec, s[8:9]
	v_mov_b32_e32 v25, 0
	s_waitcnt lgkmcnt(0)
	s_barrier
	ds_read2_b32 v[54:55], v25 offset0:3 offset1:7
	v_add_u32_e32 v56, -1, v2
	s_waitcnt lgkmcnt(0)
	v_cmp_lt_i32_e32 vcc, v54, v2
	v_cmp_lt_i32_e64 s[8:9], v55, v14
	s_and_b64 s[8:9], vcc, s[8:9]
	s_and_saveexec_b64 s[16:17], s[8:9]
	s_cbranch_execz .LBB23_222
; %bb.3:
	v_add_co_u32_e32 v61, vcc, -4, v5
	v_addc_co_u32_e32 v1, vcc, -1, v62, vcc
	v_accvgpr_write_b32 a24, v1
	v_add_co_u32_e32 v1, vcc, -4, v60
	v_accvgpr_write_b32 a25, v1
	v_addc_co_u32_e32 v1, vcc, -1, v13, vcc
	v_accvgpr_write_b32 a26, v1
	v_ashrrev_i32_e32 v57, 31, v56
	v_add_co_u32_e32 v1, vcc, -4, v9
	v_lshlrev_b64 v[6:7], 2, v[56:57]
	v_accvgpr_write_b32 a27, v1
	v_addc_co_u32_e32 v1, vcc, -1, v4, vcc
	v_accvgpr_write_b32 a29, v7
	v_accvgpr_write_b32 a30, v1
	v_ashrrev_i32_e32 v1, 31, v0
	v_accvgpr_write_b32 a28, v6
	v_lshlrev_b64 v[6:7], 2, v[0:1]
	v_ashrrev_i32_e32 v21, 31, v20
	v_add_co_u32_e32 v1, vcc, v29, v6
	v_accvgpr_read_b32 v6, a18
	v_accvgpr_write_b32 a31, v1
	v_addc_co_u32_e32 v1, vcc, v6, v7, vcc
	v_lshlrev_b64 v[30:31], 2, v[20:21]
	v_ashrrev_i32_e32 v3, 31, v2
	v_accvgpr_write_b32 a32, v1
	v_sub_co_u32_e32 v1, vcc, 0, v30
	v_subb_co_u32_e32 v17, vcc, 0, v31, vcc
	v_lshlrev_b64 v[32:33], 2, v[2:3]
	v_ashrrev_i32_e32 v23, 31, v22
	v_add_co_u32_e32 v3, vcc, -4, v32
	s_mov_b32 s20, 0x667f3bcd
	s_mov_b32 s22, 0.5
	v_mul_f32_e32 v11, v59, v59
	v_cmp_lt_i32_e64 s[8:9], v0, v2
	v_lshlrev_b64 v[26:27], 2, v[22:23]
	s_mov_b64 s[18:19], 0
	v_accvgpr_write_b32 a20, v14
	v_accvgpr_write_b32 a21, v13
	v_mov_b32_e32 v32, v14
	v_addc_co_u32_e32 v23, vcc, -1, v33, vcc
	v_mov_b32_e32 v33, v13
	s_mov_b32 s46, 0xf800000
	s_mov_b32 s47, 0x4f800000
	v_mov_b32_e32 v8, 0x260
	s_mov_b32 s21, 0x3ff6a09e
	s_mov_b32 s23, -0.5
	v_accvgpr_mov_b32 a7, a18
	v_accvgpr_write_b32 a12, v29
                                        ; implicit-def: $vgpr18_vgpr19
                                        ; implicit-def: $vgpr34_vgpr35
                                        ; implicit-def: $agpr2_agpr3
                                        ; implicit-def: $vgpr10
                                        ; implicit-def: $vgpr36_vgpr37
                                        ; implicit-def: $agpr10_agpr11
                                        ; implicit-def: $agpr6
                                        ; implicit-def: $agpr8_agpr9
                                        ; implicit-def: $agpr4_agpr5
	s_branch .LBB23_6
.LBB23_4:                               ;   in Loop: Header=BB23_6 Depth=1
	s_or_b64 exec, exec, s[10:11]
	v_accvgpr_mov_b32 a5, a1
	v_accvgpr_write_b32 a8, v42
	v_accvgpr_read_b32 v18, a34
	v_accvgpr_mov_b32 a4, a0
	v_accvgpr_write_b32 a9, v43
	v_accvgpr_write_b32 a6, v55
	v_accvgpr_read_b32 v19, a35
	s_waitcnt lgkmcnt(0)
	s_barrier
.LBB23_5:                               ;   in Loop: Header=BB23_6 Depth=1
	ds_read2_b32 v[54:55], v25 offset0:3 offset1:7
	s_waitcnt lgkmcnt(0)
	v_cmp_ge_i32_e32 vcc, v54, v2
	v_cmp_ge_i32_e64 s[10:11], v55, v32
	s_or_b64 s[10:11], vcc, s[10:11]
	s_and_b64 s[10:11], exec, s[10:11]
	s_or_b64 s[18:19], s[10:11], s[18:19]
	s_andn2_b64 exec, exec, s[18:19]
	s_cbranch_execz .LBB23_222
.LBB23_6:                               ; =>This Loop Header: Depth=1
                                        ;     Child Loop BB23_121 Depth 2
                                        ;     Child Loop BB23_19 Depth 2
	;; [unrolled: 1-line block ×5, first 2 shown]
                                        ;       Child Loop BB23_49 Depth 3
                                        ;       Child Loop BB23_69 Depth 3
	;; [unrolled: 1-line block ×3, first 2 shown]
                                        ;         Child Loop BB23_117 Depth 4
                                        ;     Child Loop BB23_132 Depth 2
                                        ;       Child Loop BB23_138 Depth 3
                                        ;       Child Loop BB23_158 Depth 3
	;; [unrolled: 1-line block ×3, first 2 shown]
                                        ;         Child Loop BB23_206 Depth 4
                                        ;     Child Loop BB23_215 Depth 2
                                        ;     Child Loop BB23_221 Depth 2
	s_and_saveexec_b64 s[12:13], s[4:5]
	s_cbranch_execz .LBB23_22
; %bb.7:                                ;   in Loop: Header=BB23_6 Depth=1
	v_cmp_gt_i32_e32 vcc, 1, v54
	s_cbranch_vccnz .LBB23_9
; %bb.8:                                ;   in Loop: Header=BB23_6 Depth=1
	v_mov_b32_e32 v55, v25
	v_lshlrev_b64 v[38:39], 2, v[54:55]
	v_add_co_u32_e32 v38, vcc, v61, v38
	v_accvgpr_read_b32 v6, a24
	v_addc_co_u32_e32 v39, vcc, v6, v39, vcc
	flat_store_dword v[38:39], v25
.LBB23_9:                               ;   in Loop: Header=BB23_6 Depth=1
	v_cmp_ge_i32_e32 vcc, v54, v56
	s_mov_b64 s[10:11], 0
	v_ashrrev_i32_e32 v55, 31, v54
	s_mov_b64 s[14:15], 0
                                        ; implicit-def: $vgpr48_vgpr49
	s_and_saveexec_b64 s[24:25], vcc
	s_xor_b64 s[24:25], exec, s[24:25]
; %bb.10:                               ;   in Loop: Header=BB23_6 Depth=1
	s_mov_b64 s[14:15], exec
	v_pk_mov_b32 v[48:49], v[54:55], v[54:55] op_sel:[0,1]
; %bb.11:                               ;   in Loop: Header=BB23_6 Depth=1
	s_or_saveexec_b64 s[24:25], s[24:25]
	v_mov_b32_e32 v24, v54
	v_pk_mov_b32 v[50:51], v[48:49], v[48:49] op_sel:[0,1]
	s_xor_b64 exec, exec, s[24:25]
	s_cbranch_execnz .LBB23_119
; %bb.12:                               ;   in Loop: Header=BB23_6 Depth=1
	s_or_b64 exec, exec, s[24:25]
	s_and_saveexec_b64 s[24:25], s[14:15]
	s_cbranch_execnz .LBB23_125
.LBB23_13:                              ;   in Loop: Header=BB23_6 Depth=1
	s_or_b64 exec, exec, s[24:25]
	s_and_saveexec_b64 s[14:15], s[10:11]
	s_cbranch_execz .LBB23_15
.LBB23_14:                              ;   in Loop: Header=BB23_6 Depth=1
	v_accvgpr_read_b32 v51, a3
	v_accvgpr_read_b32 v50, a2
	v_pk_mov_b32 v[48:49], v[18:19], v[18:19] op_sel:[0,1]
	v_mov_b32_e32 v24, v18
	ds_write_b32 v25, v18 offset:4
	flat_store_dword v[34:35], v25
.LBB23_15:                              ;   in Loop: Header=BB23_6 Depth=1
	s_or_b64 exec, exec, s[14:15]
	v_lshlrev_b64 v[38:39], 2, v[48:49]
	v_add_co_u32_e32 v38, vcc, v9, v38
	v_addc_co_u32_e32 v39, vcc, v4, v39, vcc
	v_lshlrev_b64 v[50:51], 2, v[50:51]
	v_add_co_u32_e32 v48, vcc, v9, v50
	v_addc_co_u32_e32 v49, vcc, v4, v51, vcc
	flat_load_dword v38, v[38:39]
	s_nop 0
	flat_load_dword v6, v[48:49]
	v_add_u32_e32 v7, 1, v24
	ds_write2_b32 v25, v54, v24 offset1:5
	ds_write_b32 v25, v24 offset:32
	ds_write2_b32 v25, v7, v54 offset0:3 offset1:4
	s_waitcnt vmcnt(0) lgkmcnt(0)
	v_cmp_lt_f32_e64 s[14:15], |v38|, |v6|
	s_and_saveexec_b64 s[10:11], s[14:15]
	s_cbranch_execz .LBB23_17
; %bb.16:                               ;   in Loop: Header=BB23_6 Depth=1
	ds_write2_b32 v25, v24, v54 offset1:5
.LBB23_17:                              ;   in Loop: Header=BB23_6 Depth=1
	s_or_b64 exec, exec, s[10:11]
	v_and_b32_e32 v38, 0x7fffffff, v38
	v_cmp_lt_i32_e32 vcc, v54, v24
	s_and_saveexec_b64 s[10:11], vcc
	s_cbranch_execz .LBB23_21
; %bb.18:                               ;   in Loop: Header=BB23_6 Depth=1
	v_add_co_u32_e32 v50, vcc, v5, v50
	v_addc_co_u32_e32 v51, vcc, v62, v51, vcc
	s_mov_b64 s[14:15], 0
.LBB23_19:                              ;   Parent Loop BB23_6 Depth=1
                                        ; =>  This Inner Loop Header: Depth=2
	flat_load_dword v6, v[48:49]
	flat_load_dword v7, v[50:51]
	v_add_co_u32_e32 v50, vcc, 4, v50
	v_addc_co_u32_e32 v51, vcc, 0, v51, vcc
	v_add_co_u32_e32 v48, vcc, 4, v48
	v_add_u32_e32 v54, 1, v54
	v_addc_co_u32_e32 v49, vcc, 0, v49, vcc
	v_cmp_ge_i32_e32 vcc, v54, v24
	s_or_b64 s[14:15], vcc, s[14:15]
	s_waitcnt vmcnt(0) lgkmcnt(0)
	v_max3_f32 v38, v38, |v6|, |v7|
	s_andn2_b64 exec, exec, s[14:15]
	s_cbranch_execnz .LBB23_19
; %bb.20:                               ;   in Loop: Header=BB23_6 Depth=1
	s_or_b64 exec, exec, s[14:15]
.LBB23_21:                              ;   in Loop: Header=BB23_6 Depth=1
	s_or_b64 exec, exec, s[10:11]
	ds_write_b32 v25, v38 offset:24
.LBB23_22:                              ;   in Loop: Header=BB23_6 Depth=1
	s_or_b64 exec, exec, s[12:13]
	s_waitcnt lgkmcnt(0)
	s_barrier
	ds_read2_b32 v[50:51], v25 offset0:5 offset1:6
	ds_read_b32 v6, v25
	s_waitcnt lgkmcnt(0)
	v_cmp_eq_f32_e64 s[10:11], 0, v51
	s_waitcnt lgkmcnt(0)
	v_cmp_eq_u32_e32 vcc, v50, v6
	s_or_b64 s[10:11], vcc, s[10:11]
	s_and_b64 vcc, exec, s[10:11]
	s_cbranch_vccnz .LBB23_5
; %bb.23:                               ;   in Loop: Header=BB23_6 Depth=1
	v_cmp_ngt_f32_e32 vcc, v51, v58
	s_and_saveexec_b64 s[10:11], vcc
	s_xor_b64 s[10:11], exec, s[10:11]
	s_cbranch_execz .LBB23_31
; %bb.24:                               ;   in Loop: Header=BB23_6 Depth=1
	v_cmp_lt_f32_e32 vcc, v51, v16
	s_and_saveexec_b64 s[12:13], vcc
	s_cbranch_execz .LBB23_30
; %bb.25:                               ;   in Loop: Header=BB23_6 Depth=1
	v_div_scale_f32 v6, s[14:15], v16, v16, v51
	v_rcp_f32_e32 v7, v6
	ds_read2_b32 v[48:49], v25 offset0:4 offset1:8
	v_fma_f32 v12, -v6, v7, 1.0
	v_fmac_f32_e32 v7, v12, v7
	v_div_scale_f32 v12, vcc, v51, v16, v51
	v_mul_f32_e32 v13, v12, v7
	v_fma_f32 v14, -v6, v13, v12
	v_fmac_f32_e32 v13, v14, v7
	v_fma_f32 v6, -v6, v13, v12
	v_div_fmas_f32 v6, v6, v7, v13
	v_div_fixup_f32 v24, v6, v16, v51
	s_and_saveexec_b64 s[14:15], s[4:5]
	s_cbranch_execz .LBB23_27
; %bb.26:                               ;   in Loop: Header=BB23_6 Depth=1
	s_waitcnt lgkmcnt(0)
	v_ashrrev_i32_e32 v39, 31, v49
	v_mov_b32_e32 v38, v49
	v_lshlrev_b64 v[38:39], 2, v[38:39]
	v_add_co_u32_e32 v38, vcc, v9, v38
	v_addc_co_u32_e32 v39, vcc, v4, v39, vcc
	flat_load_dword v6, v[38:39]
	s_waitcnt vmcnt(0) lgkmcnt(0)
	v_mul_f32_e32 v6, v24, v6
	flat_store_dword v[38:39], v6
.LBB23_27:                              ;   in Loop: Header=BB23_6 Depth=1
	s_or_b64 exec, exec, s[14:15]
	s_waitcnt lgkmcnt(0)
	v_add_u32_e32 v50, v48, v0
	v_cmp_lt_i32_e32 vcc, v50, v49
	s_and_b64 exec, exec, vcc
	s_cbranch_execz .LBB23_30
; %bb.28:                               ;   in Loop: Header=BB23_6 Depth=1
	v_ashrrev_i32_e32 v51, 31, v50
	v_lshlrev_b64 v[54:55], 2, v[50:51]
	s_mov_b64 s[14:15], 0
.LBB23_29:                              ;   Parent Loop BB23_6 Depth=1
                                        ; =>  This Inner Loop Header: Depth=2
	v_add_co_u32_e32 v38, vcc, v9, v54
	v_addc_co_u32_e32 v39, vcc, v4, v55, vcc
	flat_load_dword v6, v[38:39]
	v_add_co_u32_e32 v52, vcc, v5, v54
	v_addc_co_u32_e32 v53, vcc, v62, v55, vcc
	v_add_co_u32_e32 v54, vcc, v54, v26
	v_add_u32_e32 v50, v50, v22
	v_addc_co_u32_e32 v55, vcc, v55, v27, vcc
	v_cmp_ge_i32_e32 vcc, v50, v49
	s_or_b64 s[14:15], vcc, s[14:15]
	s_waitcnt vmcnt(0) lgkmcnt(0)
	v_mul_f32_e32 v6, v24, v6
	flat_store_dword v[38:39], v6
	flat_load_dword v6, v[52:53]
	s_waitcnt vmcnt(0) lgkmcnt(0)
	v_mul_f32_e32 v6, v24, v6
	flat_store_dword v[52:53], v6
	s_andn2_b64 exec, exec, s[14:15]
	s_cbranch_execnz .LBB23_29
.LBB23_30:                              ;   in Loop: Header=BB23_6 Depth=1
	s_or_b64 exec, exec, s[12:13]
                                        ; implicit-def: $vgpr50_vgpr51
.LBB23_31:                              ;   in Loop: Header=BB23_6 Depth=1
	s_andn2_saveexec_b64 s[10:11], s[10:11]
	s_cbranch_execz .LBB23_38
; %bb.32:                               ;   in Loop: Header=BB23_6 Depth=1
	v_div_scale_f32 v6, s[12:13], v58, v58, v51
	v_rcp_f32_e32 v7, v6
	ds_read2_b32 v[48:49], v25 offset0:4 offset1:8
	v_fma_f32 v12, -v6, v7, 1.0
	v_fmac_f32_e32 v7, v12, v7
	v_div_scale_f32 v12, vcc, v51, v58, v51
	v_mul_f32_e32 v13, v12, v7
	v_fma_f32 v14, -v6, v13, v12
	v_fmac_f32_e32 v13, v14, v7
	v_fma_f32 v6, -v6, v13, v12
	v_div_fmas_f32 v6, v6, v7, v13
	v_div_fixup_f32 v24, v6, v58, v51
	s_and_saveexec_b64 s[12:13], s[4:5]
	s_cbranch_execz .LBB23_34
; %bb.33:                               ;   in Loop: Header=BB23_6 Depth=1
	s_waitcnt lgkmcnt(0)
	v_ashrrev_i32_e32 v39, 31, v49
	v_mov_b32_e32 v38, v49
	v_lshlrev_b64 v[38:39], 2, v[38:39]
	v_add_co_u32_e32 v38, vcc, v9, v38
	v_addc_co_u32_e32 v39, vcc, v4, v39, vcc
	flat_load_dword v6, v[38:39]
	s_waitcnt vmcnt(0) lgkmcnt(0)
	v_mul_f32_e32 v6, v24, v6
	flat_store_dword v[38:39], v6
.LBB23_34:                              ;   in Loop: Header=BB23_6 Depth=1
	s_or_b64 exec, exec, s[12:13]
	s_waitcnt lgkmcnt(0)
	v_add_u32_e32 v50, v48, v0
	v_cmp_lt_i32_e32 vcc, v50, v49
	s_and_saveexec_b64 s[12:13], vcc
	s_cbranch_execz .LBB23_37
; %bb.35:                               ;   in Loop: Header=BB23_6 Depth=1
	v_ashrrev_i32_e32 v51, 31, v50
	v_lshlrev_b64 v[54:55], 2, v[50:51]
	s_mov_b64 s[14:15], 0
.LBB23_36:                              ;   Parent Loop BB23_6 Depth=1
                                        ; =>  This Inner Loop Header: Depth=2
	v_add_co_u32_e32 v38, vcc, v9, v54
	v_addc_co_u32_e32 v39, vcc, v4, v55, vcc
	flat_load_dword v6, v[38:39]
	v_add_co_u32_e32 v52, vcc, v5, v54
	v_addc_co_u32_e32 v53, vcc, v62, v55, vcc
	v_add_co_u32_e32 v54, vcc, v54, v26
	v_add_u32_e32 v50, v50, v22
	v_addc_co_u32_e32 v55, vcc, v55, v27, vcc
	v_cmp_ge_i32_e32 vcc, v50, v49
	s_or_b64 s[14:15], vcc, s[14:15]
	s_waitcnt vmcnt(0) lgkmcnt(0)
	v_mul_f32_e32 v6, v24, v6
	flat_store_dword v[38:39], v6
	flat_load_dword v6, v[52:53]
	s_waitcnt vmcnt(0) lgkmcnt(0)
	v_mul_f32_e32 v6, v24, v6
	flat_store_dword v[52:53], v6
	s_andn2_b64 exec, exec, s[14:15]
	s_cbranch_execnz .LBB23_36
.LBB23_37:                              ;   in Loop: Header=BB23_6 Depth=1
	s_or_b64 exec, exec, s[12:13]
.LBB23_38:                              ;   in Loop: Header=BB23_6 Depth=1
	s_or_b64 exec, exec, s[10:11]
	s_waitcnt lgkmcnt(0)
	s_barrier
	ds_read2_b32 v[54:55], v25 offset1:5
	ds_read_b32 v41, v25 offset:28
	v_accvgpr_write_b32 a35, v19
	v_accvgpr_write_b32 a34, v18
	s_waitcnt lgkmcnt(0)
	v_cmp_lt_i32_e32 vcc, v55, v54
	v_mov_b32_e32 v40, v55
	v_cmp_lt_i32_e64 s[10:11], v41, v32
	s_cbranch_vccnz .LBB23_123
; %bb.39:                               ;   in Loop: Header=BB23_6 Depth=1
	v_accvgpr_mov_b32 a0, a4
	v_accvgpr_read_b32 v43, a9
	v_accvgpr_mov_b32 a1, a5
	v_accvgpr_read_b32 v42, a8
	v_accvgpr_read_b32 v55, a6
	s_and_saveexec_b64 s[24:25], s[10:11]
	s_cbranch_execz .LBB23_127
; %bb.40:                               ;   in Loop: Header=BB23_6 Depth=1
	v_accvgpr_write_b32 a16, v56
	v_accvgpr_read_b32 v43, a9
	v_accvgpr_mov_b32 a0, a4
	v_accvgpr_write_b32 a23, v61
	v_accvgpr_write_b32 a22, v60
	;; [unrolled: 1-line block ×5, first 2 shown]
	s_mov_b64 s[26:27], 0
	v_accvgpr_read_b32 v55, a6
	v_accvgpr_read_b32 v42, a8
	v_accvgpr_mov_b32 a1, a5
	v_mov_b32_e32 v61, v41
	v_mov_b32_e32 v60, v40
	;; [unrolled: 1-line block ×3, first 2 shown]
	s_branch .LBB23_43
.LBB23_41:                              ;   in Loop: Header=BB23_43 Depth=2
	s_or_b64 exec, exec, s[28:29]
	s_waitcnt lgkmcnt(0)
	s_barrier
	ds_read_b32 v49, v25
.LBB23_42:                              ;   in Loop: Header=BB23_43 Depth=2
	ds_read2_b32 v[60:61], v25 offset0:5 offset1:7
	s_waitcnt lgkmcnt(0)
	v_mov_b32_e32 v44, v49
	v_cmp_gt_i32_e32 vcc, v49, v60
	v_cmp_ge_i32_e64 s[12:13], v61, v32
	s_or_b64 s[12:13], vcc, s[12:13]
	s_and_b64 s[12:13], exec, s[12:13]
	s_or_b64 s[26:27], s[12:13], s[26:27]
	s_andn2_b64 exec, exec, s[26:27]
	s_cbranch_execz .LBB23_126
.LBB23_43:                              ;   Parent Loop BB23_6 Depth=1
                                        ; =>  This Loop Header: Depth=2
                                        ;       Child Loop BB23_49 Depth 3
                                        ;       Child Loop BB23_69 Depth 3
	;; [unrolled: 1-line block ×3, first 2 shown]
                                        ;         Child Loop BB23_117 Depth 4
	s_and_saveexec_b64 s[28:29], s[4:5]
	s_cbranch_execz .LBB23_112
; %bb.44:                               ;   in Loop: Header=BB23_43 Depth=2
	v_cmp_lt_i32_e32 vcc, v44, v60
	s_mov_b64 s[14:15], 0
	s_cbranch_vccnz .LBB23_46
; %bb.45:                               ;   in Loop: Header=BB23_43 Depth=2
	v_ashrrev_i32_e32 v45, 31, v44
	s_mov_b64 s[12:13], -1
	v_pk_mov_b32 v[48:49], v[44:45], v[44:45] op_sel:[0,1]
	v_mov_b32_e32 v56, v44
	s_cbranch_execz .LBB23_47
	s_branch .LBB23_52
.LBB23_46:                              ;   in Loop: Header=BB23_43 Depth=2
                                        ; implicit-def: $vgpr48_vgpr49
	s_mov_b64 s[12:13], 0
	v_mov_b32_e32 v56, v44
.LBB23_47:                              ;   in Loop: Header=BB23_43 Depth=2
	v_ashrrev_i32_e32 v45, 31, v44
	v_lshlrev_b64 v[38:39], 2, v[44:45]
	v_add_co_u32_e32 v48, vcc, v9, v38
	v_addc_co_u32_e32 v49, vcc, v4, v39, vcc
	v_add_co_u32_e32 v50, vcc, v5, v38
	v_addc_co_u32_e32 v51, vcc, v62, v39, vcc
	v_mov_b32_e32 v24, v44
                                        ; implicit-def: $sgpr12_sgpr13
                                        ; implicit-def: $sgpr34_sgpr35
                                        ; implicit-def: $sgpr30_sgpr31
	s_branch .LBB23_49
.LBB23_48:                              ;   in Loop: Header=BB23_49 Depth=3
	s_or_b64 exec, exec, s[36:37]
	s_xor_b64 vcc, s[30:31], -1
	s_and_b64 s[36:37], exec, s[34:35]
	s_or_b64 s[14:15], s[36:37], s[14:15]
	s_andn2_b64 s[12:13], s[12:13], exec
	s_and_b64 vcc, vcc, exec
	s_or_b64 s[12:13], s[12:13], vcc
	s_andn2_b64 exec, exec, s[14:15]
	s_cbranch_execz .LBB23_51
.LBB23_49:                              ;   Parent Loop BB23_6 Depth=1
                                        ;     Parent Loop BB23_43 Depth=2
                                        ; =>    This Inner Loop Header: Depth=3
	flat_load_dwordx2 v[38:39], v[48:49]
	flat_load_dword v6, v[50:51]
	v_pk_mov_b32 v[42:43], v[50:51], v[50:51] op_sel:[0,1]
	v_mov_b32_e32 v55, v24
	s_or_b64 s[30:31], s[30:31], exec
	s_or_b64 s[34:35], s[34:35], exec
                                        ; implicit-def: $vgpr24
                                        ; implicit-def: $vgpr50_vgpr51
	s_waitcnt vmcnt(0) lgkmcnt(0)
	v_mul_f32_e32 v7, v38, v39
	v_mul_f32_e32 v6, v6, v6
	v_mul_f32_e64 v7, v11, |v7|
	v_cmp_nle_f32_e64 vcc, |v6|, v7
	s_and_saveexec_b64 s[36:37], vcc
	s_cbranch_execz .LBB23_48
; %bb.50:                               ;   in Loop: Header=BB23_49 Depth=3
	v_add_co_u32_e32 v48, vcc, 4, v48
	v_addc_co_u32_e32 v49, vcc, 0, v49, vcc
	v_add_co_u32_e32 v50, vcc, 4, v42
	v_add_u32_e32 v24, 1, v55
	v_addc_co_u32_e32 v51, vcc, 0, v43, vcc
	v_cmp_ge_i32_e32 vcc, v24, v60
	s_andn2_b64 s[34:35], s[34:35], exec
	s_and_b64 vcc, vcc, exec
	s_andn2_b64 s[30:31], s[30:31], exec
	s_or_b64 s[34:35], s[34:35], vcc
	s_branch .LBB23_48
.LBB23_51:                              ;   in Loop: Header=BB23_43 Depth=2
	s_or_b64 exec, exec, s[14:15]
	v_accvgpr_write_b32 a0, v44
	s_mov_b64 s[14:15], -1
	v_accvgpr_write_b32 a1, v45
	v_mov_b32_e32 v56, v60
	v_pk_mov_b32 v[48:49], v[44:45], v[44:45] op_sel:[0,1]
.LBB23_52:                              ;   in Loop: Header=BB23_43 Depth=2
	s_and_saveexec_b64 vcc, s[12:13]
	s_cbranch_execnz .LBB23_81
; %bb.53:                               ;   in Loop: Header=BB23_43 Depth=2
	s_or_b64 exec, exec, vcc
	s_and_saveexec_b64 s[12:13], s[14:15]
	s_cbranch_execz .LBB23_55
.LBB23_54:                              ;   in Loop: Header=BB23_43 Depth=2
	v_accvgpr_read_b32 v49, a1
	v_accvgpr_read_b32 v48, a0
	v_mov_b32_e32 v56, v55
	ds_write2_b32 v25, v55, v44 offset0:1 offset1:4
	flat_store_dword v[42:43], v25
.LBB23_55:                              ;   in Loop: Header=BB23_43 Depth=2
	s_or_b64 exec, exec, s[12:13]
	v_lshlrev_b64 v[58:59], 2, v[48:49]
	v_add_co_u32_e32 v46, vcc, v9, v58
	v_addc_co_u32_e32 v47, vcc, v4, v59, vcc
	flat_load_dword v45, v[46:47]
	v_cmp_ne_u32_e32 vcc, v56, v44
	s_waitcnt vmcnt(0) lgkmcnt(0)
	ds_write_b32 v25, v45 offset:8
	s_and_saveexec_b64 s[12:13], vcc
	s_xor_b64 s[30:31], exec, s[12:13]
	s_cbranch_execz .LBB23_109
; %bb.56:                               ;   in Loop: Header=BB23_43 Depth=2
	v_add_u32_e32 v6, 1, v44
	v_cmp_ne_u32_e32 vcc, v56, v6
	s_and_saveexec_b64 s[12:13], vcc
	s_xor_b64 s[34:35], exec, s[12:13]
	s_cbranch_execz .LBB23_85
; %bb.57:                               ;   in Loop: Header=BB23_43 Depth=2
	v_add_co_u32_e32 v58, vcc, v5, v58
	v_addc_co_u32_e32 v59, vcc, v62, v59, vcc
	flat_load_dword v6, v[46:47] offset:4
	flat_load_dword v7, v[58:59]
	v_ashrrev_i32_e32 v57, 31, v56
	v_lshlrev_b64 v[50:51], 2, v[56:57]
	v_add_co_u32_e32 v48, vcc, v9, v50
	v_addc_co_u32_e32 v49, vcc, v4, v51, vcc
	flat_load_dword v12, v[48:49]
	v_mov_b32_e32 v38, 0
	s_waitcnt vmcnt(0) lgkmcnt(0)
	v_sub_f32_e32 v6, v6, v45
	v_add_f32_e32 v13, v7, v7
	v_div_scale_f32 v14, s[12:13], v13, v13, v6
	v_rcp_f32_e32 v15, v14
	v_div_scale_f32 v18, vcc, v6, v13, v6
	v_cmp_gt_i32_e64 s[12:13], v56, v44
	v_fma_f32 v19, -v14, v15, 1.0
	v_fmac_f32_e32 v15, v19, v15
	v_mul_f32_e32 v19, v18, v15
	v_fma_f32 v24, -v14, v19, v18
	v_fmac_f32_e32 v19, v24, v15
	v_fma_f32 v14, -v14, v19, v18
	v_div_fmas_f32 v14, v14, v15, v19
	v_div_fixup_f32 v6, v14, v13, v6
	v_fma_f32 v13, v6, v6, 1.0
	v_mul_f32_e32 v14, 0x4f800000, v13
	v_cmp_gt_f32_e32 vcc, s46, v13
	v_cndmask_b32_e32 v13, v13, v14, vcc
	v_sqrt_f32_e32 v14, v13
	v_add_u32_e32 v15, 1, v61
	ds_write2_b32 v25, v25, v15 offset0:2 offset1:7
	v_sub_f32_e32 v12, v12, v45
	v_add_u32_e32 v15, -1, v14
	v_add_u32_e32 v18, 1, v14
	v_fma_f32 v19, -v15, v14, v13
	v_fma_f32 v24, -v18, v14, v13
	v_cmp_ge_f32_e64 s[14:15], 0, v19
	v_cndmask_b32_e64 v14, v14, v15, s[14:15]
	v_cmp_lt_f32_e64 s[14:15], 0, v24
	v_cndmask_b32_e64 v14, v14, v18, s[14:15]
	v_mul_f32_e32 v15, 0x37800000, v14
	v_cndmask_b32_e32 v14, v14, v15, vcc
	v_cmp_class_f32_e32 vcc, v13, v8
	v_cndmask_b32_e32 v13, v14, v13, vcc
	v_cmp_nle_f32_e32 vcc, 0, v6
	v_cndmask_b32_e64 v13, |v13|, -|v13|, vcc
	v_add_f32_e32 v6, v6, v13
	v_div_scale_f32 v13, s[14:15], v6, v6, v7
	v_rcp_f32_e32 v14, v13
	v_div_scale_f32 v15, vcc, v7, v6, v7
	v_fma_f32 v18, -v13, v14, 1.0
	v_fmac_f32_e32 v14, v18, v14
	v_mul_f32_e32 v18, v15, v14
	v_fma_f32 v19, -v13, v18, v15
	v_fmac_f32_e32 v18, v19, v14
	v_fma_f32 v13, -v13, v18, v15
	v_div_fmas_f32 v13, v13, v14, v18
	v_div_fixup_f32 v6, v13, v6, v7
	v_add_f32_e32 v24, v12, v6
	s_and_saveexec_b64 s[14:15], s[12:13]
	s_cbranch_execz .LBB23_84
; %bb.58:                               ;   in Loop: Header=BB23_43 Depth=2
	v_accvgpr_read_b32 v19, a23
	v_add_co_u32_e32 v6, vcc, v19, v50
	v_accvgpr_read_b32 v7, a24
	v_addc_co_u32_e32 v7, vcc, v7, v51, vcc
	flat_load_dword v57, v[6:7]
	v_mov_b32_e32 v45, 1.0
	v_mov_b32_e32 v38, 0
	s_waitcnt vmcnt(0) lgkmcnt(0)
	v_cmp_neq_f32_e32 vcc, 0, v57
	s_and_saveexec_b64 s[36:37], vcc
	s_cbranch_execz .LBB23_66
; %bb.59:                               ;   in Loop: Header=BB23_43 Depth=2
	v_cmp_neq_f32_e32 vcc, 0, v24
	v_mov_b32_e32 v38, 1.0
	v_mov_b32_e32 v45, 0
	s_and_saveexec_b64 s[38:39], vcc
	s_cbranch_execz .LBB23_65
; %bb.60:                               ;   in Loop: Header=BB23_43 Depth=2
	v_cmp_ngt_f32_e64 s[12:13], |v57|, |v24|
                                        ; implicit-def: $vgpr38
                                        ; implicit-def: $vgpr45
	s_and_saveexec_b64 vcc, s[12:13]
	s_xor_b64 s[40:41], exec, vcc
	s_cbranch_execz .LBB23_62
; %bb.61:                               ;   in Loop: Header=BB23_43 Depth=2
	v_div_scale_f32 v6, s[12:13], v24, v24, -v57
	v_rcp_f32_e32 v7, v6
	v_div_scale_f32 v12, vcc, -v57, v24, -v57
	v_fma_f32 v13, -v6, v7, 1.0
	v_fmac_f32_e32 v7, v13, v7
	v_mul_f32_e32 v13, v12, v7
	v_fma_f32 v14, -v6, v13, v12
	v_fmac_f32_e32 v13, v14, v7
	v_fma_f32 v6, -v6, v13, v12
	v_div_fmas_f32 v6, v6, v7, v13
	v_div_fixup_f32 v6, v6, v24, -v57
	v_fma_f32 v7, v6, v6, 1.0
	v_mul_f32_e32 v12, 0x4f800000, v7
	v_cmp_gt_f32_e32 vcc, s46, v7
	v_cndmask_b32_e32 v7, v7, v12, vcc
	v_sqrt_f32_e32 v12, v7
                                        ; implicit-def: $vgpr24
	v_add_u32_e32 v13, -1, v12
	v_fma_f32 v14, -v13, v12, v7
	v_cmp_ge_f32_e64 s[12:13], 0, v14
	v_add_u32_e32 v14, 1, v12
	v_cndmask_b32_e64 v13, v12, v13, s[12:13]
	v_fma_f32 v12, -v14, v12, v7
	v_cmp_lt_f32_e64 s[12:13], 0, v12
	v_cndmask_b32_e64 v12, v13, v14, s[12:13]
	v_mul_f32_e32 v13, 0x37800000, v12
	v_cndmask_b32_e32 v12, v12, v13, vcc
	v_cmp_class_f32_e32 vcc, v7, v8
	v_cndmask_b32_e32 v7, v12, v7, vcc
	v_div_scale_f32 v12, s[12:13], v7, v7, 1.0
	v_rcp_f32_e32 v13, v12
	v_fma_f32 v14, -v12, v13, 1.0
	v_fmac_f32_e32 v13, v14, v13
	v_div_scale_f32 v14, vcc, 1.0, v7, 1.0
	v_mul_f32_e32 v15, v14, v13
	v_fma_f32 v18, -v12, v15, v14
	v_fmac_f32_e32 v15, v18, v13
	v_fma_f32 v12, -v12, v15, v14
	v_div_fmas_f32 v12, v12, v13, v15
	v_div_fixup_f32 v45, v12, v7, 1.0
	v_mul_f32_e32 v38, v6, v45
.LBB23_62:                              ;   in Loop: Header=BB23_43 Depth=2
	s_andn2_saveexec_b64 s[40:41], s[40:41]
	s_cbranch_execz .LBB23_64
; %bb.63:                               ;   in Loop: Header=BB23_43 Depth=2
	v_div_scale_f32 v6, s[12:13], v57, v57, -v24
	v_rcp_f32_e32 v7, v6
	v_div_scale_f32 v12, vcc, -v24, v57, -v24
	v_fma_f32 v13, -v6, v7, 1.0
	v_fmac_f32_e32 v7, v13, v7
	v_mul_f32_e32 v13, v12, v7
	v_fma_f32 v14, -v6, v13, v12
	v_fmac_f32_e32 v13, v14, v7
	v_fma_f32 v6, -v6, v13, v12
	v_div_fmas_f32 v6, v6, v7, v13
	v_div_fixup_f32 v6, v6, v57, -v24
	v_fma_f32 v7, v6, v6, 1.0
	v_mul_f32_e32 v12, 0x4f800000, v7
	v_cmp_gt_f32_e32 vcc, s46, v7
	v_cndmask_b32_e32 v7, v7, v12, vcc
	v_sqrt_f32_e32 v12, v7
	v_add_u32_e32 v13, -1, v12
	v_fma_f32 v14, -v13, v12, v7
	v_cmp_ge_f32_e64 s[12:13], 0, v14
	v_add_u32_e32 v14, 1, v12
	v_cndmask_b32_e64 v13, v12, v13, s[12:13]
	v_fma_f32 v12, -v14, v12, v7
	v_cmp_lt_f32_e64 s[12:13], 0, v12
	v_cndmask_b32_e64 v12, v13, v14, s[12:13]
	v_mul_f32_e32 v13, 0x37800000, v12
	v_cndmask_b32_e32 v12, v12, v13, vcc
	v_cmp_class_f32_e32 vcc, v7, v8
	v_cndmask_b32_e32 v7, v12, v7, vcc
	v_div_scale_f32 v12, s[12:13], v7, v7, 1.0
	v_rcp_f32_e32 v13, v12
	v_fma_f32 v14, -v12, v13, 1.0
	v_fmac_f32_e32 v13, v14, v13
	v_div_scale_f32 v14, vcc, 1.0, v7, 1.0
	v_mul_f32_e32 v15, v14, v13
	v_fma_f32 v18, -v12, v15, v14
	v_fmac_f32_e32 v15, v18, v13
	v_fma_f32 v12, -v12, v15, v14
	v_div_fmas_f32 v12, v12, v13, v15
	v_div_fixup_f32 v38, v12, v7, 1.0
	v_mul_f32_e32 v45, v6, v38
.LBB23_64:                              ;   in Loop: Header=BB23_43 Depth=2
	s_or_b64 exec, exec, s[40:41]
.LBB23_65:                              ;   in Loop: Header=BB23_43 Depth=2
	s_or_b64 exec, exec, s[38:39]
.LBB23_66:                              ;   in Loop: Header=BB23_43 Depth=2
	s_or_b64 exec, exec, s[36:37]
	v_add_co_u32_e32 v6, vcc, -4, v48
	v_addc_co_u32_e32 v7, vcc, -1, v49, vcc
	flat_load_dwordx2 v[6:7], v[6:7]
	v_accvgpr_read_b32 v12, a25
	v_add_co_u32_e32 v12, vcc, v12, v50
	v_accvgpr_read_b32 v13, a26
	v_addc_co_u32_e32 v13, vcc, v13, v51, vcc
	v_accvgpr_read_b32 v14, a28
	v_add_f32_e32 v18, v45, v45
	v_accvgpr_read_b32 v15, a29
	v_add_co_u32_e32 v14, vcc, v12, v14
	v_add_u32_e32 v60, -1, v56
	v_addc_co_u32_e32 v15, vcc, v13, v15, vcc
	v_cmp_gt_i32_e32 vcc, v60, v44
	s_waitcnt vmcnt(0) lgkmcnt(0)
	v_sub_f32_e32 v6, v6, v7
	v_mul_f32_e32 v6, v38, v6
	v_fma_f32 v6, v57, v18, -v6
	v_mul_f32_e64 v18, v6, -v38
	v_fma_f32 v7, v6, -v38, v7
	v_fma_f32 v24, v45, v6, -v57
	ds_write_b32 v25, v18 offset:8
	flat_store_dword v[48:49], v7
	flat_store_dword v[12:13], v45
	;; [unrolled: 1-line block ×3, first 2 shown]
	s_and_saveexec_b64 s[36:37], vcc
	s_cbranch_execz .LBB23_83
; %bb.67:                               ;   in Loop: Header=BB23_43 Depth=2
	v_ashrrev_i32_e32 v61, 31, v60
	v_lshlrev_b64 v[6:7], 2, v[60:61]
	v_accvgpr_read_b32 v12, a25
	v_add_co_u32_e32 v60, vcc, v12, v6
	v_accvgpr_read_b32 v12, a26
	v_addc_co_u32_e32 v61, vcc, v12, v7, vcc
	v_accvgpr_read_b32 v12, a27
	v_add_co_u32_e32 v48, vcc, v12, v6
	v_accvgpr_read_b32 v12, a30
	v_addc_co_u32_e32 v49, vcc, v12, v7, vcc
	v_add_co_u32_e32 v50, vcc, v19, v6
	v_accvgpr_read_b32 v6, a24
	v_xor_b32_e32 v39, 0x80000000, v38
	v_addc_co_u32_e32 v51, vcc, v6, v7, vcc
	s_mov_b32 s48, -1
	s_mov_b64 s[38:39], 0
	s_branch .LBB23_69
.LBB23_68:                              ;   in Loop: Header=BB23_69 Depth=3
	flat_load_dwordx2 v[6:7], v[48:49]
	ds_read_b32 v15, v25 offset:8
	v_accvgpr_read_b32 v12, a28
	v_accvgpr_read_b32 v13, a29
	v_add_co_u32_e32 v12, vcc, v60, v12
	v_addc_co_u32_e32 v13, vcc, v61, v13, vcc
	v_mul_f32_e32 v14, v45, v57
	v_add_f32_e32 v18, v53, v53
	s_add_i32 s48, s48, -1
	v_add_co_u32_e32 v50, vcc, -4, v50
	v_addc_co_u32_e32 v51, vcc, -1, v51, vcc
	v_add_u32_e32 v19, s48, v56
	v_cmp_le_i32_e32 vcc, v19, v44
	s_or_b64 s[38:39], vcc, s[38:39]
	v_xor_b32_e32 v39, 0x80000000, v38
	v_mov_b32_e32 v45, v53
	s_waitcnt vmcnt(0) lgkmcnt(0)
	v_sub_f32_e32 v7, v7, v15
	v_sub_f32_e32 v6, v6, v7
	v_mul_f32_e32 v6, v38, v6
	v_fma_f32 v6, v14, v18, -v6
	v_mul_f32_e64 v15, v6, -v38
	v_fma_f32 v7, v6, -v38, v7
	ds_write_b32 v25, v15 offset:8
	flat_store_dword v[48:49], v7 offset:4
	flat_store_dword v[60:61], v53
	flat_store_dword v[12:13], v38
	v_add_co_u32_e32 v60, vcc, -4, v60
	v_addc_co_u32_e32 v61, vcc, -1, v61, vcc
	v_add_co_u32_e32 v48, vcc, -4, v48
	v_fma_f32 v24, v53, v6, -v14
	v_addc_co_u32_e32 v49, vcc, -1, v49, vcc
	s_andn2_b64 exec, exec, s[38:39]
	s_cbranch_execz .LBB23_82
.LBB23_69:                              ;   Parent Loop BB23_6 Depth=1
                                        ;     Parent Loop BB23_43 Depth=2
                                        ; =>    This Inner Loop Header: Depth=3
	flat_load_dword v57, v[50:51]
	v_mov_b32_e32 v53, 1.0
	v_mov_b32_e32 v38, 0
	s_waitcnt vmcnt(0) lgkmcnt(0)
	v_mul_f32_e32 v52, v39, v57
	v_cmp_neq_f32_e32 vcc, 0, v52
	s_and_saveexec_b64 s[40:41], vcc
	s_cbranch_execz .LBB23_79
; %bb.70:                               ;   in Loop: Header=BB23_69 Depth=3
	v_cmp_neq_f32_e32 vcc, 0, v24
                                        ; implicit-def: $vgpr38
                                        ; implicit-def: $vgpr53
	s_and_saveexec_b64 s[12:13], vcc
	s_xor_b64 s[42:43], exec, s[12:13]
	s_cbranch_execz .LBB23_76
; %bb.71:                               ;   in Loop: Header=BB23_69 Depth=3
	v_cmp_ngt_f32_e64 s[12:13], |v52|, |v24|
                                        ; implicit-def: $vgpr38
                                        ; implicit-def: $vgpr53
	s_and_saveexec_b64 vcc, s[12:13]
	s_xor_b64 s[44:45], exec, vcc
	s_cbranch_execz .LBB23_73
; %bb.72:                               ;   in Loop: Header=BB23_69 Depth=3
	v_div_scale_f32 v6, s[12:13], v24, v24, -v52
	v_rcp_f32_e32 v7, v6
	v_div_scale_f32 v12, vcc, -v52, v24, -v52
	v_fma_f32 v13, -v6, v7, 1.0
	v_fmac_f32_e32 v7, v13, v7
	v_mul_f32_e32 v13, v12, v7
	v_fma_f32 v14, -v6, v13, v12
	v_fmac_f32_e32 v13, v14, v7
	v_fma_f32 v6, -v6, v13, v12
	v_div_fmas_f32 v6, v6, v7, v13
	v_div_fixup_f32 v6, v6, v24, -v52
	v_fma_f32 v7, v6, v6, 1.0
	v_mul_f32_e32 v12, 0x4f800000, v7
	v_cmp_gt_f32_e32 vcc, s46, v7
	v_cndmask_b32_e32 v7, v7, v12, vcc
	v_sqrt_f32_e32 v12, v7
	v_add_u32_e32 v13, -1, v12
	v_fma_f32 v14, -v13, v12, v7
	v_cmp_ge_f32_e64 s[12:13], 0, v14
	v_add_u32_e32 v14, 1, v12
	v_cndmask_b32_e64 v13, v12, v13, s[12:13]
	v_fma_f32 v12, -v14, v12, v7
	v_cmp_lt_f32_e64 s[12:13], 0, v12
	v_cndmask_b32_e64 v12, v13, v14, s[12:13]
	v_mul_f32_e32 v13, 0x37800000, v12
	v_cndmask_b32_e32 v12, v12, v13, vcc
	v_cmp_class_f32_e32 vcc, v7, v8
	v_cndmask_b32_e32 v7, v12, v7, vcc
	v_div_scale_f32 v12, s[12:13], v7, v7, 1.0
	v_rcp_f32_e32 v13, v12
	v_fma_f32 v14, -v12, v13, 1.0
	v_fmac_f32_e32 v13, v14, v13
	v_div_scale_f32 v14, vcc, 1.0, v7, 1.0
	v_mul_f32_e32 v15, v14, v13
	v_fma_f32 v18, -v12, v15, v14
	v_fmac_f32_e32 v15, v18, v13
	v_fma_f32 v12, -v12, v15, v14
	v_div_fmas_f32 v12, v12, v13, v15
	v_div_fixup_f32 v53, v12, v7, 1.0
	v_mul_f32_e32 v38, v6, v53
.LBB23_73:                              ;   in Loop: Header=BB23_69 Depth=3
	s_andn2_saveexec_b64 s[44:45], s[44:45]
	s_cbranch_execz .LBB23_75
; %bb.74:                               ;   in Loop: Header=BB23_69 Depth=3
	v_div_scale_f32 v6, s[12:13], v52, v52, -v24
	v_rcp_f32_e32 v7, v6
	v_div_scale_f32 v12, vcc, -v24, v52, -v24
	v_fma_f32 v13, -v6, v7, 1.0
	v_fmac_f32_e32 v7, v13, v7
	v_mul_f32_e32 v13, v12, v7
	v_fma_f32 v14, -v6, v13, v12
	v_fmac_f32_e32 v13, v14, v7
	v_fma_f32 v6, -v6, v13, v12
	v_div_fmas_f32 v6, v6, v7, v13
	v_div_fixup_f32 v6, v6, v52, -v24
	v_fma_f32 v7, v6, v6, 1.0
	v_mul_f32_e32 v12, 0x4f800000, v7
	v_cmp_gt_f32_e32 vcc, s46, v7
	v_cndmask_b32_e32 v7, v7, v12, vcc
	v_sqrt_f32_e32 v12, v7
	v_add_u32_e32 v13, -1, v12
	v_fma_f32 v14, -v13, v12, v7
	v_cmp_ge_f32_e64 s[12:13], 0, v14
	v_add_u32_e32 v14, 1, v12
	v_cndmask_b32_e64 v13, v12, v13, s[12:13]
	v_fma_f32 v12, -v14, v12, v7
	v_cmp_lt_f32_e64 s[12:13], 0, v12
	v_cndmask_b32_e64 v12, v13, v14, s[12:13]
	v_mul_f32_e32 v13, 0x37800000, v12
	v_cndmask_b32_e32 v12, v12, v13, vcc
	v_cmp_class_f32_e32 vcc, v7, v8
	v_cndmask_b32_e32 v7, v12, v7, vcc
	v_div_scale_f32 v12, s[12:13], v7, v7, 1.0
	v_rcp_f32_e32 v13, v12
	v_fma_f32 v14, -v12, v13, 1.0
	v_fmac_f32_e32 v13, v14, v13
	v_div_scale_f32 v14, vcc, 1.0, v7, 1.0
	v_mul_f32_e32 v15, v14, v13
	v_fma_f32 v18, -v12, v15, v14
	v_fmac_f32_e32 v15, v18, v13
	v_fma_f32 v12, -v12, v15, v14
	v_div_fmas_f32 v12, v12, v13, v15
	v_div_fixup_f32 v38, v12, v7, 1.0
	v_mul_f32_e32 v53, v6, v38
.LBB23_75:                              ;   in Loop: Header=BB23_69 Depth=3
	s_or_b64 exec, exec, s[44:45]
	v_mul_f32_e32 v6, v52, v38
	v_fma_f32 v24, v24, v53, -v6
                                        ; implicit-def: $vgpr52
.LBB23_76:                              ;   in Loop: Header=BB23_69 Depth=3
	s_andn2_saveexec_b64 s[12:13], s[42:43]
; %bb.77:                               ;   in Loop: Header=BB23_69 Depth=3
	v_xor_b32_e32 v24, 0x80000000, v52
	v_mov_b32_e32 v38, 1.0
	v_mov_b32_e32 v53, 0
; %bb.78:                               ;   in Loop: Header=BB23_69 Depth=3
	s_or_b64 exec, exec, s[12:13]
.LBB23_79:                              ;   in Loop: Header=BB23_69 Depth=3
	s_or_b64 exec, exec, s[40:41]
	s_cmp_eq_u32 s48, 0
	s_cbranch_scc1 .LBB23_68
; %bb.80:                               ;   in Loop: Header=BB23_69 Depth=3
	flat_store_dword v[50:51], v24 offset:4
	s_branch .LBB23_68
.LBB23_81:                              ;   in Loop: Header=BB23_43 Depth=2
	s_andn2_b64 s[14:15], s[14:15], exec
	ds_write2_b32 v25, v56, v44 offset0:1 offset1:4
	s_or_b64 exec, exec, vcc
	s_and_saveexec_b64 s[12:13], s[14:15]
	s_cbranch_execnz .LBB23_54
	s_branch .LBB23_55
.LBB23_82:                              ;   in Loop: Header=BB23_43 Depth=2
	s_or_b64 exec, exec, s[38:39]
.LBB23_83:                              ;   in Loop: Header=BB23_43 Depth=2
	s_or_b64 exec, exec, s[36:37]
	ds_read_b32 v38, v25 offset:8
.LBB23_84:                              ;   in Loop: Header=BB23_43 Depth=2
	s_or_b64 exec, exec, s[14:15]
	flat_load_dword v6, v[46:47]
                                        ; implicit-def: $vgpr44
                                        ; implicit-def: $vgpr45
	s_waitcnt vmcnt(0) lgkmcnt(0)
	v_sub_f32_e32 v6, v6, v38
	flat_store_dword v[46:47], v6
	flat_store_dword v[58:59], v24
                                        ; implicit-def: $vgpr58_vgpr59
                                        ; implicit-def: $vgpr46_vgpr47
.LBB23_85:                              ;   in Loop: Header=BB23_43 Depth=2
	s_andn2_saveexec_b64 s[34:35], s[34:35]
	s_cbranch_execz .LBB23_118
; %bb.86:                               ;   in Loop: Header=BB23_43 Depth=2
	v_add_co_u32_e32 v6, vcc, v5, v58
	v_addc_co_u32_e32 v7, vcc, v62, v59, vcc
	flat_load_dword v38, v[46:47] offset:4
	flat_load_dword v50, v[6:7]
                                        ; implicit-def: $vgpr24
	s_waitcnt vmcnt(0) lgkmcnt(0)
	v_sub_f32_e32 v49, v45, v38
	v_add_f32_e32 v48, v50, v50
	v_and_b32_e32 v39, 0x7fffffff, v48
	v_cmp_ngt_f32_e64 s[12:13], |v49|, |v48|
	s_and_saveexec_b64 s[14:15], s[12:13]
	s_xor_b64 s[14:15], exec, s[14:15]
	s_cbranch_execz .LBB23_92
; %bb.87:                               ;   in Loop: Header=BB23_43 Depth=2
	v_cmp_nlt_f32_e64 s[12:13], |v49|, |v48|
                                        ; implicit-def: $vgpr24
	s_and_saveexec_b64 vcc, s[12:13]
	s_xor_b64 s[12:13], exec, vcc
; %bb.88:                               ;   in Loop: Header=BB23_43 Depth=2
	v_cvt_f64_f32_e32 v[52:53], v39
	v_mul_f64 v[52:53], v[52:53], s[20:21]
	v_cvt_f32_f64_e32 v24, v[52:53]
                                        ; implicit-def: $vgpr39
; %bb.89:                               ;   in Loop: Header=BB23_43 Depth=2
	s_andn2_saveexec_b64 s[36:37], s[12:13]
	s_cbranch_execz .LBB23_91
; %bb.90:                               ;   in Loop: Header=BB23_43 Depth=2
	v_and_b32_e32 v12, 0x7fffffff, v49
	v_div_scale_f32 v13, s[12:13], v39, v39, v12
	v_rcp_f32_e32 v14, v13
	v_div_scale_f32 v12, vcc, v12, v39, v12
	v_fma_f32 v15, -v13, v14, 1.0
	v_fmac_f32_e32 v14, v15, v14
	v_mul_f32_e32 v15, v12, v14
	v_fma_f32 v18, -v13, v15, v12
	v_fmac_f32_e32 v15, v18, v14
	v_fma_f32 v12, -v13, v15, v12
	v_div_fmas_f32 v12, v12, v14, v15
	v_div_fixup_f32 v12, v12, |v48|, |v49|
	v_fma_f32 v12, v12, v12, 1.0
	v_mul_f32_e32 v13, 0x4f800000, v12
	v_cmp_gt_f32_e32 vcc, s46, v12
	v_cndmask_b32_e32 v12, v12, v13, vcc
	v_sqrt_f32_e32 v13, v12
	v_add_u32_e32 v14, -1, v13
	v_fma_f32 v15, -v14, v13, v12
	v_cmp_ge_f32_e64 s[12:13], 0, v15
	v_add_u32_e32 v15, 1, v13
	v_cndmask_b32_e64 v14, v13, v14, s[12:13]
	v_fma_f32 v13, -v15, v13, v12
	v_cmp_lt_f32_e64 s[12:13], 0, v13
	v_cndmask_b32_e64 v13, v14, v15, s[12:13]
	v_mul_f32_e32 v14, 0x37800000, v13
	v_cndmask_b32_e32 v13, v13, v14, vcc
	v_cmp_class_f32_e32 vcc, v12, v8
	v_cndmask_b32_e32 v12, v13, v12, vcc
	v_mul_f32_e64 v24, |v48|, v12
.LBB23_91:                              ;   in Loop: Header=BB23_43 Depth=2
	s_or_b64 exec, exec, s[36:37]
                                        ; implicit-def: $vgpr39
.LBB23_92:                              ;   in Loop: Header=BB23_43 Depth=2
	s_andn2_saveexec_b64 s[14:15], s[14:15]
	s_cbranch_execz .LBB23_94
; %bb.93:                               ;   in Loop: Header=BB23_43 Depth=2
	v_and_b32_e32 v12, 0x7fffffff, v49
	v_div_scale_f32 v13, s[12:13], v12, v12, v39
	v_rcp_f32_e32 v14, v13
	v_div_scale_f32 v12, vcc, v39, v12, v39
	v_fma_f32 v15, -v13, v14, 1.0
	v_fmac_f32_e32 v14, v15, v14
	v_mul_f32_e32 v15, v12, v14
	v_fma_f32 v18, -v13, v15, v12
	v_fmac_f32_e32 v15, v18, v14
	v_fma_f32 v12, -v13, v15, v12
	v_div_fmas_f32 v12, v12, v14, v15
	v_div_fixup_f32 v12, v12, |v49|, |v48|
	v_fma_f32 v12, v12, v12, 1.0
	v_mul_f32_e32 v13, 0x4f800000, v12
	v_cmp_gt_f32_e32 vcc, s46, v12
	v_cndmask_b32_e32 v12, v12, v13, vcc
	v_sqrt_f32_e32 v13, v12
	v_add_u32_e32 v14, -1, v13
	v_fma_f32 v15, -v14, v13, v12
	v_cmp_ge_f32_e64 s[12:13], 0, v15
	v_add_u32_e32 v15, 1, v13
	v_cndmask_b32_e64 v14, v13, v14, s[12:13]
	v_fma_f32 v13, -v15, v13, v12
	v_cmp_lt_f32_e64 s[12:13], 0, v13
	v_cndmask_b32_e64 v13, v14, v15, s[12:13]
	v_mul_f32_e32 v14, 0x37800000, v13
	v_cndmask_b32_e32 v13, v13, v14, vcc
	v_cmp_class_f32_e32 vcc, v12, v8
	v_cndmask_b32_e32 v12, v13, v12, vcc
	v_mul_f32_e64 v24, |v49|, v12
.LBB23_94:                              ;   in Loop: Header=BB23_43 Depth=2
	s_or_b64 exec, exec, s[14:15]
	v_add_f32_e32 v52, v45, v38
	v_cmp_gt_f32_e64 vcc, |v45|, |v38|
	v_cndmask_b32_e32 v39, v45, v38, vcc
	v_cndmask_b32_e32 v38, v38, v45, vcc
	v_cmp_ngt_f32_e32 vcc, 0, v52
                                        ; implicit-def: $vgpr51
                                        ; implicit-def: $vgpr60_vgpr61
	s_and_saveexec_b64 s[12:13], vcc
	s_xor_b64 s[12:13], exec, s[12:13]
	s_cbranch_execz .LBB23_100
; %bb.95:                               ;   in Loop: Header=BB23_43 Depth=2
	v_cmp_nlt_f32_e32 vcc, 0, v52
                                        ; implicit-def: $sgpr36
                                        ; implicit-def: $vgpr60_vgpr61
	s_and_saveexec_b64 s[14:15], vcc
	s_xor_b64 s[14:15], exec, s[14:15]
; %bb.96:                               ;   in Loop: Header=BB23_43 Depth=2
	v_pk_mul_f32 v[60:61], v[24:25], s[22:23] op_sel_hi:[0,1]
	s_mov_b32 s36, 1
                                        ; implicit-def: $vgpr52
                                        ; implicit-def: $vgpr38
                                        ; implicit-def: $vgpr39
                                        ; implicit-def: $vgpr50
; %bb.97:                               ;   in Loop: Header=BB23_43 Depth=2
	s_or_saveexec_b64 s[14:15], s[14:15]
	v_mov_b32_e32 v51, s36
	s_xor_b64 exec, exec, s[14:15]
	s_cbranch_execz .LBB23_99
; %bb.98:                               ;   in Loop: Header=BB23_43 Depth=2
	v_add_f32_e32 v12, v52, v24
	v_mul_f32_e32 v60, 0.5, v12
	v_cvt_f64_f32_e32 v[12:13], v38
	v_cvt_f64_f32_e32 v[14:15], v60
	v_div_scale_f64 v[18:19], vcc, v[14:15], v[14:15], v[12:13]
	v_rcp_f64_e32 v[28:29], v[18:19]
	v_accvgpr_mov_b32 a18, a7
	v_fma_f64 v[32:33], -v[18:19], v[28:29], 1.0
	v_fmac_f64_e32 v[28:29], v[28:29], v[32:33]
	v_fma_f64 v[32:33], -v[18:19], v[28:29], 1.0
	v_fmac_f64_e32 v[28:29], v[28:29], v[32:33]
	v_div_scale_f64 v[32:33], vcc, v[12:13], v[14:15], v[12:13]
	v_mul_f64 v[52:53], v[32:33], v[28:29]
	v_fma_f64 v[18:19], -v[18:19], v[52:53], v[32:33]
	v_cvt_f64_f32_e32 v[32:33], v50
	v_div_scale_f64 v[50:51], s[36:37], v[14:15], v[14:15], v[32:33]
	v_rcp_f64_e32 v[56:57], v[50:51]
	v_div_fmas_f64 v[18:19], v[18:19], v[28:29], v[52:53]
	v_div_fixup_f64 v[12:13], v[18:19], v[14:15], v[12:13]
	v_cvt_f64_f32_e32 v[18:19], v39
	v_fma_f64 v[28:29], -v[50:51], v[56:57], 1.0
	v_fmac_f64_e32 v[56:57], v[56:57], v[28:29]
	v_fma_f64 v[28:29], -v[50:51], v[56:57], 1.0
	v_fmac_f64_e32 v[56:57], v[56:57], v[28:29]
	v_div_scale_f64 v[28:29], vcc, v[32:33], v[14:15], v[32:33]
	v_mul_f64 v[38:39], v[28:29], v[56:57]
	v_fma_f64 v[28:29], -v[50:51], v[38:39], v[28:29]
	v_mov_b32_e32 v51, 1
	s_nop 0
	v_div_fmas_f64 v[28:29], v[28:29], v[56:57], v[38:39]
	v_div_fixup_f64 v[14:15], v[28:29], v[14:15], v[32:33]
	v_mul_f64 v[14:15], v[14:15], v[32:33]
	v_fma_f64 v[12:13], v[12:13], v[18:19], -v[14:15]
	v_accvgpr_read_b32 v29, a12
	v_accvgpr_read_b32 v33, a21
	;; [unrolled: 1-line block ×3, first 2 shown]
	v_cvt_f32_f64_e32 v61, v[12:13]
.LBB23_99:                              ;   in Loop: Header=BB23_43 Depth=2
	s_or_b64 exec, exec, s[14:15]
                                        ; implicit-def: $vgpr52
                                        ; implicit-def: $vgpr38
                                        ; implicit-def: $vgpr39
                                        ; implicit-def: $vgpr50
.LBB23_100:                             ;   in Loop: Header=BB23_43 Depth=2
	s_andn2_saveexec_b64 s[12:13], s[12:13]
	s_cbranch_execz .LBB23_102
; %bb.101:                              ;   in Loop: Header=BB23_43 Depth=2
	v_sub_f32_e32 v12, v52, v24
	v_mul_f32_e32 v60, 0.5, v12
	v_cvt_f64_f32_e32 v[52:53], v38
	v_cvt_f64_f32_e32 v[18:19], v60
	v_div_scale_f64 v[28:29], s[14:15], v[18:19], v[18:19], v[52:53]
	v_rcp_f64_e32 v[12:13], v[28:29]
	v_accvgpr_mov_b32 a18, a7
	v_fma_f64 v[32:33], -v[28:29], v[12:13], 1.0
	v_fmac_f64_e32 v[12:13], v[12:13], v[32:33]
	v_fma_f64 v[32:33], -v[28:29], v[12:13], 1.0
	v_fmac_f64_e32 v[12:13], v[12:13], v[32:33]
	v_div_scale_f64 v[32:33], vcc, v[52:53], v[18:19], v[52:53]
	v_mul_f64 v[14:15], v[32:33], v[12:13]
	v_fma_f64 v[28:29], -v[28:29], v[14:15], v[32:33]
	v_cvt_f64_f32_e32 v[32:33], v50
	v_div_scale_f64 v[50:51], s[14:15], v[18:19], v[18:19], v[32:33]
	v_rcp_f64_e32 v[56:57], v[50:51]
	v_div_fmas_f64 v[12:13], v[28:29], v[12:13], v[14:15]
	v_cvt_f64_f32_e32 v[14:15], v39
	v_div_fixup_f64 v[12:13], v[12:13], v[18:19], v[52:53]
	v_fma_f64 v[28:29], -v[50:51], v[56:57], 1.0
	v_fmac_f64_e32 v[56:57], v[56:57], v[28:29]
	v_fma_f64 v[28:29], -v[50:51], v[56:57], 1.0
	v_fmac_f64_e32 v[56:57], v[56:57], v[28:29]
	v_div_scale_f64 v[28:29], vcc, v[32:33], v[18:19], v[32:33]
	v_mul_f64 v[38:39], v[28:29], v[56:57]
	v_fma_f64 v[28:29], -v[50:51], v[38:39], v[28:29]
	v_mov_b32_e32 v51, -1
	s_nop 0
	v_div_fmas_f64 v[28:29], v[28:29], v[56:57], v[38:39]
	v_div_fixup_f64 v[18:19], v[28:29], v[18:19], v[32:33]
	v_mul_f64 v[18:19], v[18:19], v[32:33]
	v_fma_f64 v[12:13], v[12:13], v[14:15], -v[18:19]
	v_accvgpr_read_b32 v29, a12
	v_accvgpr_read_b32 v33, a21
	;; [unrolled: 1-line block ×3, first 2 shown]
	v_cvt_f32_f64_e32 v61, v[12:13]
.LBB23_102:                             ;   in Loop: Header=BB23_43 Depth=2
	s_or_b64 exec, exec, s[12:13]
	v_cmp_nle_f32_e64 s[12:13], 0, v49
	v_cndmask_b32_e64 v12, v24, -v24, s[12:13]
	v_add_f32_e32 v24, v49, v12
	v_cmp_ngt_f32_e64 s[14:15], |v24|, |v48|
                                        ; implicit-def: $vgpr38
                                        ; implicit-def: $vgpr39
	s_and_saveexec_b64 vcc, s[14:15]
	s_xor_b64 s[36:37], exec, vcc
	s_cbranch_execz .LBB23_106
; %bb.103:                              ;   in Loop: Header=BB23_43 Depth=2
	v_cmp_neq_f32_e32 vcc, 0, v48
	v_mov_b32_e32 v38, 1.0
	v_mov_b32_e32 v39, 0
	s_and_saveexec_b64 s[38:39], vcc
	s_cbranch_execz .LBB23_105
; %bb.104:                              ;   in Loop: Header=BB23_43 Depth=2
	v_div_scale_f32 v12, s[14:15], v48, v48, -v24
	v_rcp_f32_e32 v13, v12
	v_div_scale_f32 v14, vcc, -v24, v48, -v24
	v_fma_f32 v15, -v12, v13, 1.0
	v_fmac_f32_e32 v13, v15, v13
	v_mul_f32_e32 v15, v14, v13
	v_fma_f32 v18, -v12, v15, v14
	v_fmac_f32_e32 v15, v18, v13
	v_fma_f32 v12, -v12, v15, v14
	v_div_fmas_f32 v12, v12, v13, v15
	v_div_fixup_f32 v12, v12, v48, -v24
	v_fma_f32 v13, v12, v12, 1.0
	v_mul_f32_e32 v14, 0x4f800000, v13
	v_cmp_gt_f32_e32 vcc, s46, v13
	v_cndmask_b32_e32 v13, v13, v14, vcc
	v_sqrt_f32_e32 v14, v13
	v_add_u32_e32 v15, -1, v14
	v_fma_f32 v18, -v15, v14, v13
	v_cmp_ge_f32_e64 s[14:15], 0, v18
	v_add_u32_e32 v18, 1, v14
	v_cndmask_b32_e64 v15, v14, v15, s[14:15]
	v_fma_f32 v14, -v18, v14, v13
	v_cmp_lt_f32_e64 s[14:15], 0, v14
	v_cndmask_b32_e64 v14, v15, v18, s[14:15]
	v_mul_f32_e32 v15, 0x37800000, v14
	v_cndmask_b32_e32 v14, v14, v15, vcc
	v_cmp_class_f32_e32 vcc, v13, v8
	v_cndmask_b32_e32 v13, v14, v13, vcc
	v_div_scale_f32 v14, s[14:15], v13, v13, 1.0
	v_rcp_f32_e32 v15, v14
	v_fma_f32 v18, -v14, v15, 1.0
	v_fmac_f32_e32 v15, v18, v15
	v_div_scale_f32 v18, vcc, 1.0, v13, 1.0
	v_mul_f32_e32 v19, v18, v15
	v_fma_f32 v24, -v14, v19, v18
	v_fmac_f32_e32 v19, v24, v15
	v_fma_f32 v14, -v14, v19, v18
	v_div_fmas_f32 v14, v14, v15, v19
	v_div_fixup_f32 v38, v14, v13, 1.0
	v_mul_f32_e32 v39, v12, v38
.LBB23_105:                             ;   in Loop: Header=BB23_43 Depth=2
	s_or_b64 exec, exec, s[38:39]
                                        ; implicit-def: $vgpr24
                                        ; implicit-def: $vgpr48
.LBB23_106:                             ;   in Loop: Header=BB23_43 Depth=2
	s_andn2_saveexec_b64 s[36:37], s[36:37]
	s_cbranch_execz .LBB23_108
; %bb.107:                              ;   in Loop: Header=BB23_43 Depth=2
	v_div_scale_f32 v12, s[14:15], v24, v24, -v48
	v_rcp_f32_e32 v13, v12
	v_div_scale_f32 v14, vcc, -v48, v24, -v48
	v_fma_f32 v15, -v12, v13, 1.0
	v_fmac_f32_e32 v13, v15, v13
	v_mul_f32_e32 v15, v14, v13
	v_fma_f32 v18, -v12, v15, v14
	v_fmac_f32_e32 v15, v18, v13
	v_fma_f32 v12, -v12, v15, v14
	v_div_fmas_f32 v12, v12, v13, v15
	v_div_fixup_f32 v12, v12, v24, -v48
	v_fma_f32 v13, v12, v12, 1.0
	v_mul_f32_e32 v14, 0x4f800000, v13
	v_cmp_gt_f32_e32 vcc, s46, v13
	v_cndmask_b32_e32 v13, v13, v14, vcc
	v_sqrt_f32_e32 v14, v13
	v_add_u32_e32 v15, -1, v14
	v_fma_f32 v18, -v15, v14, v13
	v_cmp_ge_f32_e64 s[14:15], 0, v18
	v_add_u32_e32 v18, 1, v14
	v_cndmask_b32_e64 v15, v14, v15, s[14:15]
	v_fma_f32 v14, -v18, v14, v13
	v_cmp_lt_f32_e64 s[14:15], 0, v14
	v_cndmask_b32_e64 v14, v15, v18, s[14:15]
	v_mul_f32_e32 v15, 0x37800000, v14
	v_cndmask_b32_e32 v14, v14, v15, vcc
	v_cmp_class_f32_e32 vcc, v13, v8
	v_cndmask_b32_e32 v13, v14, v13, vcc
	v_div_scale_f32 v14, s[14:15], v13, v13, 1.0
	v_rcp_f32_e32 v15, v14
	v_fma_f32 v18, -v14, v15, 1.0
	v_fmac_f32_e32 v15, v18, v15
	v_div_scale_f32 v18, vcc, 1.0, v13, 1.0
	v_mul_f32_e32 v19, v18, v15
	v_fma_f32 v24, -v14, v19, v18
	v_fmac_f32_e32 v19, v24, v15
	v_fma_f32 v14, -v14, v19, v18
	v_div_fmas_f32 v14, v14, v15, v19
	v_div_fixup_f32 v39, v14, v13, 1.0
	v_mul_f32_e32 v38, v12, v39
.LBB23_108:                             ;   in Loop: Header=BB23_43 Depth=2
	s_or_b64 exec, exec, s[36:37]
	v_cndmask_b32_e64 v12, 1, -1, s[12:13]
	v_cmp_eq_u32_e32 vcc, v51, v12
	v_accvgpr_read_b32 v12, a22
	v_cndmask_b32_e32 v14, v39, v38, vcc
	v_cndmask_b32_e64 v15, v38, -v39, vcc
	v_add_co_u32_e32 v12, vcc, v12, v58
	v_addc_co_u32_e32 v13, vcc, v33, v59, vcc
	v_accvgpr_read_b32 v18, a28
	flat_store_dword v[12:13], v15
	v_accvgpr_read_b32 v19, a29
	v_add_co_u32_e32 v12, vcc, v12, v18
	v_addc_co_u32_e32 v13, vcc, v13, v19, vcc
	flat_store_dword v[12:13], v14
	flat_store_dwordx2 v[46:47], v[60:61]
	flat_store_dword v[6:7], v25
	v_add_u32_e32 v6, 2, v44
	ds_write_b32 v25, v6
	s_or_b64 exec, exec, s[34:35]
                                        ; implicit-def: $vgpr46_vgpr47
                                        ; implicit-def: $vgpr45
                                        ; implicit-def: $vgpr44
.LBB23_109:                             ;   in Loop: Header=BB23_43 Depth=2
	s_andn2_saveexec_b64 s[12:13], s[30:31]
	s_cbranch_execz .LBB23_111
.LBB23_110:                             ;   in Loop: Header=BB23_43 Depth=2
	v_add_u32_e32 v6, 1, v44
	flat_store_dword v[46:47], v45
	ds_write_b32 v25, v6
.LBB23_111:                             ;   in Loop: Header=BB23_43 Depth=2
	s_or_b64 exec, exec, s[12:13]
.LBB23_112:                             ;   in Loop: Header=BB23_43 Depth=2
	s_or_b64 exec, exec, s[28:29]
	s_waitcnt lgkmcnt(0)
	s_barrier
	ds_read_b64 v[48:49], v25
	s_waitcnt lgkmcnt(0)
	v_cmp_eq_u32_e32 vcc, v49, v48
	s_cbranch_vccnz .LBB23_42
; %bb.113:                              ;   in Loop: Header=BB23_43 Depth=2
	s_and_saveexec_b64 s[28:29], s[8:9]
	s_cbranch_execz .LBB23_41
; %bb.114:                              ;   in Loop: Header=BB23_43 Depth=2
	ds_read_b32 v6, v25 offset:16
	v_accvgpr_read_b32 v14, a18
	s_mov_b64 s[30:31], 0
	v_mov_b32_e32 v44, v0
	s_waitcnt lgkmcnt(0)
	v_mul_lo_u32 v12, v6, v20
	v_ashrrev_i32_e32 v13, 31, v12
	v_lshlrev_b64 v[12:13], 2, v[12:13]
	v_add_co_u32_e32 v52, vcc, v29, v12
	v_sub_u32_e32 v60, v49, v6
	v_addc_co_u32_e32 v53, vcc, v14, v13, vcc
	v_mad_i64_i32 v[14:15], s[12:13], v60, v20, 0
	v_add_u32_e32 v24, -1, v60
	v_lshlrev_b64 v[14:15], 2, v[14:15]
	v_mad_u64_u32 v[12:13], s[14:15], v30, v24, v[12:13]
	v_add_co_u32_e32 v38, vcc, v52, v14
	v_mov_b32_e32 v14, v13
	v_addc_co_u32_e32 v39, vcc, v53, v15, vcc
	v_mad_u64_u32 v[14:15], s[14:15], v31, v24, v[14:15]
	v_mov_b32_e32 v13, v14
	v_accvgpr_read_b32 v14, a31
	v_ashrrev_i32_e32 v7, 31, v6
	v_add_co_u32_e32 v48, vcc, v14, v12
	v_accvgpr_read_b32 v12, a32
	v_addc_co_u32_e32 v49, vcc, v12, v13, vcc
	v_lshlrev_b64 v[6:7], 2, v[6:7]
	v_lshlrev_b64 v[12:13], 2, v[24:25]
	v_add_co_u32_e32 v6, vcc, v6, v12
	v_addc_co_u32_e32 v7, vcc, v7, v13, vcc
	v_accvgpr_read_b32 v12, a22
	v_add_co_u32_e32 v50, vcc, v12, v6
	v_cmp_lt_i32_e64 s[12:13], 0, v60
	v_addc_co_u32_e32 v51, vcc, v33, v7, vcc
	s_branch .LBB23_116
.LBB23_115:                             ;   in Loop: Header=BB23_116 Depth=3
	v_add_u32_e32 v44, v44, v22
	v_cmp_ge_i32_e32 vcc, v44, v2
	s_or_b64 s[30:31], vcc, s[30:31]
	v_add_co_u32_e32 v48, vcc, v48, v26
	v_addc_co_u32_e32 v49, vcc, v49, v27, vcc
	s_waitcnt vmcnt(0) lgkmcnt(0)
	flat_store_dword v[46:47], v45
	s_andn2_b64 exec, exec, s[30:31]
	s_cbranch_execz .LBB23_41
.LBB23_116:                             ;   Parent Loop BB23_6 Depth=1
                                        ;     Parent Loop BB23_43 Depth=2
                                        ; =>    This Loop Header: Depth=3
                                        ;         Child Loop BB23_117 Depth 4
	v_ashrrev_i32_e32 v45, 31, v44
	v_lshlrev_b64 v[6:7], 2, v[44:45]
	v_add_co_u32_e32 v12, vcc, v38, v6
	v_addc_co_u32_e32 v13, vcc, v39, v7, vcc
	flat_load_dword v45, v[12:13]
	v_add_co_u32_e32 v46, vcc, v52, v6
	v_addc_co_u32_e32 v47, vcc, v53, v7, vcc
	s_andn2_b64 vcc, exec, s[12:13]
	v_pk_mov_b32 v[56:57], v[50:51], v[50:51] op_sel:[0,1]
	v_pk_mov_b32 v[58:59], v[48:49], v[48:49] op_sel:[0,1]
	v_mov_b32_e32 v24, v60
	s_cbranch_vccnz .LBB23_115
.LBB23_117:                             ;   Parent Loop BB23_6 Depth=1
                                        ;     Parent Loop BB23_43 Depth=2
                                        ;       Parent Loop BB23_116 Depth=3
                                        ; =>      This Inner Loop Header: Depth=4
	v_add_co_u32_e32 v6, vcc, v56, v3
	v_addc_co_u32_e32 v7, vcc, v57, v23, vcc
	flat_load_dword v14, v[58:59]
	flat_load_dword v15, v[56:57]
	;; [unrolled: 1-line block ×3, first 2 shown]
	v_mad_u64_u32 v[6:7], s[14:15], v24, v20, 0
	v_add_co_u32_e32 v58, vcc, v58, v1
	v_mov_b32_e32 v12, v7
	v_addc_co_u32_e32 v59, vcc, v59, v17, vcc
	v_mad_u64_u32 v[12:13], s[14:15], v24, v21, v[12:13]
	v_add_co_u32_e32 v56, vcc, -4, v56
	v_mov_b32_e32 v7, v12
	v_add_u32_e32 v19, -1, v24
	v_addc_co_u32_e32 v57, vcc, -1, v57, vcc
	v_lshlrev_b64 v[6:7], 2, v[6:7]
	s_waitcnt vmcnt(0) lgkmcnt(0)
	v_mov_b32_e32 v28, v45
	v_cmp_eq_u32_e32 vcc, 0, v19
	v_add_co_u32_e64 v6, s[14:15], v46, v6
	s_and_b64 vcc, exec, vcc
	v_mov_b32_e32 v24, v19
	v_addc_co_u32_e64 v7, s[14:15], v47, v7, s[14:15]
	v_mul_f32_e32 v45, v15, v14
	v_mul_f32_e32 v12, v18, v14
	v_fmac_f32_e32 v45, v28, v18
	v_fma_f32 v12, v28, v15, -v12
	flat_store_dword v[6:7], v12
	s_cbranch_vccz .LBB23_117
	s_branch .LBB23_115
.LBB23_118:                             ;   in Loop: Header=BB23_43 Depth=2
	s_or_b64 exec, exec, s[34:35]
                                        ; implicit-def: $vgpr46_vgpr47
                                        ; implicit-def: $vgpr45
                                        ; implicit-def: $vgpr44
	s_andn2_saveexec_b64 s[12:13], s[30:31]
	s_cbranch_execnz .LBB23_110
	s_branch .LBB23_111
.LBB23_119:                             ;   in Loop: Header=BB23_6 Depth=1
	v_lshlrev_b64 v[32:33], 2, v[54:55]
	v_add_co_u32_e32 v48, vcc, v9, v32
	v_addc_co_u32_e32 v49, vcc, v4, v33, vcc
	v_add_co_u32_e32 v50, vcc, v5, v32
	v_addc_co_u32_e32 v51, vcc, v62, v33, vcc
	s_mov_b64 s[28:29], 0
	v_pk_mov_b32 v[40:41], v[54:55], v[54:55] op_sel:[0,1]
                                        ; implicit-def: $sgpr26_sgpr27
                                        ; implicit-def: $sgpr34_sgpr35
                                        ; implicit-def: $sgpr30_sgpr31
	s_branch .LBB23_121
.LBB23_120:                             ;   in Loop: Header=BB23_121 Depth=2
	s_or_b64 exec, exec, s[10:11]
	s_xor_b64 s[10:11], s[30:31], -1
	s_and_b64 vcc, exec, s[34:35]
	s_or_b64 s[28:29], vcc, s[28:29]
	s_andn2_b64 s[26:27], s[26:27], exec
	s_and_b64 s[10:11], s[10:11], exec
	s_or_b64 s[26:27], s[26:27], s[10:11]
	s_andn2_b64 exec, exec, s[28:29]
	s_cbranch_execz .LBB23_124
.LBB23_121:                             ;   Parent Loop BB23_6 Depth=1
                                        ; =>  This Inner Loop Header: Depth=2
	flat_load_dword v6, v[50:51]
	flat_load_dwordx2 v[38:39], v[48:49]
	v_pk_mov_b32 v[18:19], v[40:41], v[40:41] op_sel:[0,1]
	v_pk_mov_b32 v[34:35], v[50:51], v[50:51] op_sel:[0,1]
	s_or_b64 s[30:31], s[30:31], exec
	s_or_b64 s[34:35], s[34:35], exec
                                        ; implicit-def: $vgpr40_vgpr41
                                        ; implicit-def: $vgpr50_vgpr51
	s_waitcnt vmcnt(0) lgkmcnt(0)
	v_cmp_lt_f32_e64 vcc, |v39|, s46
	v_mul_f32_e64 v7, |v39|, s47
	v_cndmask_b32_e64 v7, |v39|, v7, vcc
	v_sqrt_f32_e32 v12, v7
	v_add_u32_e32 v13, -1, v12
	v_fma_f32 v14, -v13, v12, v7
	v_cmp_ge_f32_e64 s[10:11], 0, v14
	v_add_u32_e32 v14, 1, v12
	v_cndmask_b32_e64 v13, v12, v13, s[10:11]
	v_fma_f32 v12, -v14, v12, v7
	v_cmp_lt_f32_e64 s[10:11], 0, v12
	v_cndmask_b32_e64 v12, v13, v14, s[10:11]
	v_mul_f32_e32 v13, 0x37800000, v12
	v_cndmask_b32_e32 v12, v12, v13, vcc
	v_cmp_class_f32_e32 vcc, v7, v8
	v_cndmask_b32_e32 v7, v12, v7, vcc
	v_cmp_lt_f32_e64 vcc, |v38|, s46
	v_mul_f32_e64 v12, |v38|, s47
	v_cndmask_b32_e64 v12, |v38|, v12, vcc
	v_sqrt_f32_e32 v13, v12
	v_add_u32_e32 v14, -1, v13
	v_fma_f32 v15, -v14, v13, v12
	v_cmp_ge_f32_e64 s[10:11], 0, v15
	v_add_u32_e32 v15, 1, v13
	v_cndmask_b32_e64 v14, v13, v14, s[10:11]
	v_fma_f32 v13, -v15, v13, v12
	v_cmp_lt_f32_e64 s[10:11], 0, v13
	v_cndmask_b32_e64 v13, v14, v15, s[10:11]
	v_mul_f32_e32 v14, 0x37800000, v13
	v_cndmask_b32_e32 v13, v13, v14, vcc
	v_cmp_class_f32_e32 vcc, v12, v8
	v_cndmask_b32_e32 v12, v13, v12, vcc
	v_mul_f32_e32 v7, v12, v7
	v_mul_f32_e32 v7, v7, v59
	v_cmp_nle_f32_e64 vcc, |v6|, v7
	s_and_saveexec_b64 s[10:11], vcc
	s_cbranch_execz .LBB23_120
; %bb.122:                              ;   in Loop: Header=BB23_121 Depth=2
	v_add_co_u32_e32 v40, vcc, 1, v18
	v_addc_co_u32_e32 v41, vcc, 0, v19, vcc
	v_add_co_u32_e32 v48, vcc, 4, v48
	v_addc_co_u32_e32 v49, vcc, 0, v49, vcc
	;; [unrolled: 2-line block ×3, first 2 shown]
	v_cmp_ge_i32_e32 vcc, v40, v56
	s_andn2_b64 s[34:35], s[34:35], exec
	s_and_b64 vcc, vcc, exec
	s_andn2_b64 s[30:31], s[30:31], exec
	s_or_b64 s[34:35], s[34:35], vcc
	s_branch .LBB23_120
.LBB23_123:                             ;   in Loop: Header=BB23_6 Depth=1
                                        ; implicit-def: $agpr0_agpr1
                                        ; implicit-def: $vgpr42_vgpr43
                                        ; implicit-def: $vgpr55
	s_branch .LBB23_128
.LBB23_124:                             ;   in Loop: Header=BB23_6 Depth=1
	s_or_b64 exec, exec, s[28:29]
	s_andn2_b64 s[14:15], s[14:15], exec
	s_and_b64 s[26:27], s[26:27], exec
	v_accvgpr_write_b32 a2, v54
	s_mov_b64 s[10:11], exec
	s_or_b64 s[14:15], s[14:15], s[26:27]
	v_accvgpr_write_b32 a3, v55
	v_mov_b32_e32 v24, v56
	v_pk_mov_b32 v[48:49], v[56:57], v[56:57] op_sel:[0,1]
	v_pk_mov_b32 v[50:51], v[54:55], v[54:55] op_sel:[0,1]
	v_accvgpr_read_b32 v32, a20
	v_accvgpr_read_b32 v33, a21
	s_or_b64 exec, exec, s[24:25]
	s_and_saveexec_b64 s[24:25], s[14:15]
	s_cbranch_execz .LBB23_13
.LBB23_125:                             ;   in Loop: Header=BB23_6 Depth=1
	ds_write_b32 v25, v24 offset:4
	s_andn2_b64 s[10:11], s[10:11], exec
	s_or_b64 exec, exec, s[24:25]
	s_and_saveexec_b64 s[14:15], s[10:11]
	s_cbranch_execnz .LBB23_14
	s_branch .LBB23_15
.LBB23_126:                             ;   in Loop: Header=BB23_6 Depth=1
	s_or_b64 exec, exec, s[26:27]
	v_accvgpr_read_b32 v57, a17
	v_accvgpr_read_b32 v56, a16
	;; [unrolled: 1-line block ×6, first 2 shown]
.LBB23_127:                             ;   in Loop: Header=BB23_6 Depth=1
	s_or_b64 exec, exec, s[24:25]
	s_cbranch_execnz .LBB23_210
.LBB23_128:                             ;   in Loop: Header=BB23_6 Depth=1
	s_and_saveexec_b64 s[14:15], s[10:11]
	s_cbranch_execz .LBB23_209
; %bb.129:                              ;   in Loop: Header=BB23_6 Depth=1
	s_mov_b64 s[24:25], 0
	s_branch .LBB23_132
.LBB23_130:                             ;   in Loop: Header=BB23_132 Depth=2
	s_or_b64 exec, exec, s[12:13]
	s_waitcnt lgkmcnt(0)
	s_barrier
	ds_read_b32 v54, v25
.LBB23_131:                             ;   in Loop: Header=BB23_132 Depth=2
	ds_read2_b32 v[40:41], v25 offset0:5 offset1:7
	s_waitcnt lgkmcnt(0)
	v_cmp_lt_i32_e32 vcc, v54, v40
	v_cmp_ge_i32_e64 s[10:11], v41, v32
	s_or_b64 s[10:11], vcc, s[10:11]
	s_and_b64 s[10:11], exec, s[10:11]
	s_or_b64 s[24:25], s[10:11], s[24:25]
	s_andn2_b64 exec, exec, s[24:25]
	s_cbranch_execz .LBB23_208
.LBB23_132:                             ;   Parent Loop BB23_6 Depth=1
                                        ; =>  This Loop Header: Depth=2
                                        ;       Child Loop BB23_138 Depth 3
                                        ;       Child Loop BB23_158 Depth 3
	;; [unrolled: 1-line block ×3, first 2 shown]
                                        ;         Child Loop BB23_206 Depth 4
	s_and_saveexec_b64 s[26:27], s[4:5]
	s_cbranch_execz .LBB23_201
; %bb.133:                              ;   in Loop: Header=BB23_132 Depth=2
	v_cmp_gt_i32_e32 vcc, v54, v40
	s_mov_b64 s[12:13], 0
	s_cbranch_vccnz .LBB23_135
; %bb.134:                              ;   in Loop: Header=BB23_132 Depth=2
	v_ashrrev_i32_e32 v55, 31, v54
	s_mov_b64 s[10:11], -1
	v_pk_mov_b32 v[48:49], v[54:55], v[54:55] op_sel:[0,1]
	v_mov_b32_e32 v44, v54
	s_cbranch_execz .LBB23_136
	s_branch .LBB23_141
.LBB23_135:                             ;   in Loop: Header=BB23_132 Depth=2
                                        ; implicit-def: $vgpr48_vgpr49
	s_mov_b64 s[10:11], 0
	v_mov_b32_e32 v44, v54
.LBB23_136:                             ;   in Loop: Header=BB23_132 Depth=2
	v_ashrrev_i32_e32 v55, 31, v54
	v_lshlrev_b64 v[6:7], 2, v[54:55]
	v_accvgpr_read_b32 v10, a27
	v_add_co_u32_e32 v38, vcc, v10, v6
	v_accvgpr_read_b32 v10, a30
	v_addc_co_u32_e32 v39, vcc, v10, v7, vcc
	v_add_co_u32_e32 v48, vcc, v61, v6
	v_accvgpr_read_b32 v6, a24
	v_addc_co_u32_e32 v49, vcc, v6, v7, vcc
	v_mov_b32_e32 v24, v54
                                        ; implicit-def: $sgpr10_sgpr11
                                        ; implicit-def: $sgpr30_sgpr31
                                        ; implicit-def: $sgpr28_sgpr29
	s_branch .LBB23_138
.LBB23_137:                             ;   in Loop: Header=BB23_138 Depth=3
	s_or_b64 exec, exec, s[34:35]
	s_xor_b64 vcc, s[28:29], -1
	s_and_b64 s[34:35], exec, s[30:31]
	s_or_b64 s[12:13], s[34:35], s[12:13]
	s_andn2_b64 s[10:11], s[10:11], exec
	s_and_b64 vcc, vcc, exec
	s_or_b64 s[10:11], s[10:11], vcc
	s_andn2_b64 exec, exec, s[12:13]
	s_cbranch_execz .LBB23_140
.LBB23_138:                             ;   Parent Loop BB23_6 Depth=1
                                        ;     Parent Loop BB23_132 Depth=2
                                        ; =>    This Inner Loop Header: Depth=3
	flat_load_dwordx2 v[6:7], v[38:39]
	flat_load_dword v12, v[48:49]
	v_pk_mov_b32 v[36:37], v[48:49], v[48:49] op_sel:[0,1]
	v_mov_b32_e32 v10, v24
	s_or_b64 s[28:29], s[28:29], exec
	s_or_b64 s[30:31], s[30:31], exec
                                        ; implicit-def: $vgpr24
                                        ; implicit-def: $vgpr48_vgpr49
	s_waitcnt vmcnt(0) lgkmcnt(0)
	v_mul_f32_e32 v6, v7, v6
	v_mul_f32_e32 v7, v12, v12
	v_mul_f32_e64 v6, v11, |v6|
	v_cmp_nle_f32_e64 vcc, |v7|, v6
	s_and_saveexec_b64 s[34:35], vcc
	s_cbranch_execz .LBB23_137
; %bb.139:                              ;   in Loop: Header=BB23_138 Depth=3
	v_add_co_u32_e32 v38, vcc, -4, v38
	v_addc_co_u32_e32 v39, vcc, -1, v39, vcc
	v_add_co_u32_e32 v48, vcc, -4, v36
	v_add_u32_e32 v24, -1, v10
	v_addc_co_u32_e32 v49, vcc, -1, v37, vcc
	v_cmp_le_i32_e32 vcc, v24, v40
	s_andn2_b64 s[30:31], s[30:31], exec
	s_and_b64 vcc, vcc, exec
	s_andn2_b64 s[28:29], s[28:29], exec
	s_or_b64 s[30:31], s[30:31], vcc
	s_branch .LBB23_137
.LBB23_140:                             ;   in Loop: Header=BB23_132 Depth=2
	s_or_b64 exec, exec, s[12:13]
	v_accvgpr_write_b32 a10, v54
	s_mov_b64 s[12:13], -1
	v_accvgpr_write_b32 a11, v55
	v_mov_b32_e32 v44, v40
	v_pk_mov_b32 v[48:49], v[54:55], v[54:55] op_sel:[0,1]
.LBB23_141:                             ;   in Loop: Header=BB23_132 Depth=2
	s_and_saveexec_b64 s[28:29], s[10:11]
	s_cbranch_execnz .LBB23_170
; %bb.142:                              ;   in Loop: Header=BB23_132 Depth=2
	s_or_b64 exec, exec, s[28:29]
	s_and_saveexec_b64 s[10:11], s[12:13]
	s_cbranch_execz .LBB23_144
.LBB23_143:                             ;   in Loop: Header=BB23_132 Depth=2
	v_accvgpr_read_b32 v49, a11
	v_accvgpr_read_b32 v48, a10
	v_mov_b32_e32 v44, v10
	ds_write2_b32 v25, v10, v54 offset0:1 offset1:4
	flat_store_dword v[36:37], v25
.LBB23_144:                             ;   in Loop: Header=BB23_132 Depth=2
	s_or_b64 exec, exec, s[10:11]
	v_lshlrev_b64 v[46:47], 2, v[48:49]
	v_add_co_u32_e32 v42, vcc, v9, v46
	v_addc_co_u32_e32 v43, vcc, v4, v47, vcc
	flat_load_dword v55, v[42:43]
	v_cmp_ne_u32_e32 vcc, v44, v54
	s_waitcnt vmcnt(0) lgkmcnt(0)
	ds_write_b32 v25, v55 offset:8
	s_and_saveexec_b64 s[10:11], vcc
	s_xor_b64 s[28:29], exec, s[10:11]
	s_cbranch_execz .LBB23_198
; %bb.145:                              ;   in Loop: Header=BB23_132 Depth=2
	v_add_u32_e32 v6, -1, v54
	v_cmp_ne_u32_e32 vcc, v44, v6
	s_and_saveexec_b64 s[10:11], vcc
	s_xor_b64 s[30:31], exec, s[10:11]
	s_cbranch_execz .LBB23_174
; %bb.146:                              ;   in Loop: Header=BB23_132 Depth=2
	v_add_co_u32_e32 v6, vcc, -4, v42
	v_addc_co_u32_e32 v7, vcc, -1, v43, vcc
	flat_load_dword v6, v[6:7]
	v_add_co_u32_e32 v46, vcc, v61, v46
	v_accvgpr_read_b32 v7, a24
	v_addc_co_u32_e32 v47, vcc, v7, v47, vcc
	flat_load_dword v7, v[46:47]
	v_ashrrev_i32_e32 v45, 31, v44
	v_lshlrev_b64 v[50:51], 2, v[44:45]
	v_add_co_u32_e32 v48, vcc, v9, v50
	v_addc_co_u32_e32 v49, vcc, v4, v51, vcc
	flat_load_dword v12, v[48:49]
	v_mov_b32_e32 v38, 0
	s_waitcnt vmcnt(0) lgkmcnt(0)
	v_sub_f32_e32 v6, v6, v55
	v_add_f32_e32 v13, v7, v7
	v_div_scale_f32 v14, s[10:11], v13, v13, v6
	v_rcp_f32_e32 v15, v14
	v_div_scale_f32 v18, vcc, v6, v13, v6
	v_cmp_lt_i32_e64 s[10:11], v44, v54
	v_fma_f32 v19, -v14, v15, 1.0
	v_fmac_f32_e32 v15, v19, v15
	v_mul_f32_e32 v19, v18, v15
	v_fma_f32 v24, -v14, v19, v18
	v_fmac_f32_e32 v19, v24, v15
	v_fma_f32 v14, -v14, v19, v18
	v_div_fmas_f32 v14, v14, v15, v19
	v_div_fixup_f32 v6, v14, v13, v6
	v_fma_f32 v13, v6, v6, 1.0
	v_mul_f32_e32 v14, 0x4f800000, v13
	v_cmp_gt_f32_e32 vcc, s46, v13
	v_cndmask_b32_e32 v13, v13, v14, vcc
	v_sqrt_f32_e32 v14, v13
	v_add_u32_e32 v15, 1, v41
	ds_write2_b32 v25, v25, v15 offset0:2 offset1:7
	v_sub_f32_e32 v12, v12, v55
	v_add_u32_e32 v15, -1, v14
	v_add_u32_e32 v18, 1, v14
	v_fma_f32 v19, -v15, v14, v13
	v_fma_f32 v24, -v18, v14, v13
	v_cmp_ge_f32_e64 s[12:13], 0, v19
	v_cndmask_b32_e64 v14, v14, v15, s[12:13]
	v_cmp_lt_f32_e64 s[12:13], 0, v24
	v_cndmask_b32_e64 v14, v14, v18, s[12:13]
	v_mul_f32_e32 v15, 0x37800000, v14
	v_cndmask_b32_e32 v14, v14, v15, vcc
	v_cmp_class_f32_e32 vcc, v13, v8
	v_cndmask_b32_e32 v13, v14, v13, vcc
	v_cmp_nle_f32_e32 vcc, 0, v6
	v_cndmask_b32_e64 v13, |v13|, -|v13|, vcc
	v_add_f32_e32 v6, v6, v13
	v_div_scale_f32 v13, s[12:13], v6, v6, v7
	v_rcp_f32_e32 v14, v13
	v_div_scale_f32 v15, vcc, v7, v6, v7
	v_fma_f32 v18, -v13, v14, 1.0
	v_fmac_f32_e32 v14, v18, v14
	v_mul_f32_e32 v18, v15, v14
	v_fma_f32 v19, -v13, v18, v15
	v_fmac_f32_e32 v18, v19, v14
	v_fma_f32 v13, -v13, v18, v15
	v_div_fmas_f32 v13, v13, v14, v18
	v_div_fixup_f32 v6, v13, v6, v7
	v_add_f32_e32 v24, v12, v6
	s_and_saveexec_b64 s[12:13], s[10:11]
	s_cbranch_execz .LBB23_173
; %bb.147:                              ;   in Loop: Header=BB23_132 Depth=2
	v_add_co_u32_e32 v6, vcc, v5, v50
	v_addc_co_u32_e32 v7, vcc, v62, v51, vcc
	flat_load_dword v41, v[6:7]
	v_mov_b32_e32 v55, 1.0
	v_mov_b32_e32 v38, 0
	s_waitcnt vmcnt(0) lgkmcnt(0)
	v_cmp_neq_f32_e32 vcc, 0, v41
	s_and_saveexec_b64 s[34:35], vcc
	s_cbranch_execz .LBB23_155
; %bb.148:                              ;   in Loop: Header=BB23_132 Depth=2
	v_cmp_neq_f32_e32 vcc, 0, v24
	v_mov_b32_e32 v38, 1.0
	v_mov_b32_e32 v55, 0
	s_and_saveexec_b64 s[36:37], vcc
	s_cbranch_execz .LBB23_154
; %bb.149:                              ;   in Loop: Header=BB23_132 Depth=2
	v_cmp_ngt_f32_e64 s[10:11], |v41|, |v24|
                                        ; implicit-def: $vgpr38
                                        ; implicit-def: $vgpr55
	s_and_saveexec_b64 vcc, s[10:11]
	s_xor_b64 s[38:39], exec, vcc
	s_cbranch_execz .LBB23_151
; %bb.150:                              ;   in Loop: Header=BB23_132 Depth=2
	v_div_scale_f32 v6, s[10:11], v24, v24, -v41
	v_rcp_f32_e32 v7, v6
	v_div_scale_f32 v12, vcc, -v41, v24, -v41
	v_fma_f32 v13, -v6, v7, 1.0
	v_fmac_f32_e32 v7, v13, v7
	v_mul_f32_e32 v13, v12, v7
	v_fma_f32 v14, -v6, v13, v12
	v_fmac_f32_e32 v13, v14, v7
	v_fma_f32 v6, -v6, v13, v12
	v_div_fmas_f32 v6, v6, v7, v13
	v_div_fixup_f32 v6, v6, v24, -v41
	v_fma_f32 v7, v6, v6, 1.0
	v_mul_f32_e32 v12, 0x4f800000, v7
	v_cmp_gt_f32_e32 vcc, s46, v7
	v_cndmask_b32_e32 v7, v7, v12, vcc
	v_sqrt_f32_e32 v12, v7
                                        ; implicit-def: $vgpr24
	v_add_u32_e32 v13, -1, v12
	v_fma_f32 v14, -v13, v12, v7
	v_cmp_ge_f32_e64 s[10:11], 0, v14
	v_add_u32_e32 v14, 1, v12
	v_cndmask_b32_e64 v13, v12, v13, s[10:11]
	v_fma_f32 v12, -v14, v12, v7
	v_cmp_lt_f32_e64 s[10:11], 0, v12
	v_cndmask_b32_e64 v12, v13, v14, s[10:11]
	v_mul_f32_e32 v13, 0x37800000, v12
	v_cndmask_b32_e32 v12, v12, v13, vcc
	v_cmp_class_f32_e32 vcc, v7, v8
	v_cndmask_b32_e32 v7, v12, v7, vcc
	v_div_scale_f32 v12, s[10:11], v7, v7, 1.0
	v_rcp_f32_e32 v13, v12
	v_fma_f32 v14, -v12, v13, 1.0
	v_fmac_f32_e32 v13, v14, v13
	v_div_scale_f32 v14, vcc, 1.0, v7, 1.0
	v_mul_f32_e32 v15, v14, v13
	v_fma_f32 v18, -v12, v15, v14
	v_fmac_f32_e32 v15, v18, v13
	v_fma_f32 v12, -v12, v15, v14
	v_div_fmas_f32 v12, v12, v13, v15
	v_div_fixup_f32 v55, v12, v7, 1.0
	v_mul_f32_e32 v38, v6, v55
.LBB23_151:                             ;   in Loop: Header=BB23_132 Depth=2
	s_andn2_saveexec_b64 s[38:39], s[38:39]
	s_cbranch_execz .LBB23_153
; %bb.152:                              ;   in Loop: Header=BB23_132 Depth=2
	v_div_scale_f32 v6, s[10:11], v41, v41, -v24
	v_rcp_f32_e32 v7, v6
	v_div_scale_f32 v12, vcc, -v24, v41, -v24
	v_fma_f32 v13, -v6, v7, 1.0
	v_fmac_f32_e32 v7, v13, v7
	v_mul_f32_e32 v13, v12, v7
	v_fma_f32 v14, -v6, v13, v12
	v_fmac_f32_e32 v13, v14, v7
	v_fma_f32 v6, -v6, v13, v12
	v_div_fmas_f32 v6, v6, v7, v13
	v_div_fixup_f32 v6, v6, v41, -v24
	v_fma_f32 v7, v6, v6, 1.0
	v_mul_f32_e32 v12, 0x4f800000, v7
	v_cmp_gt_f32_e32 vcc, s46, v7
	v_cndmask_b32_e32 v7, v7, v12, vcc
	v_sqrt_f32_e32 v12, v7
	v_add_u32_e32 v13, -1, v12
	v_fma_f32 v14, -v13, v12, v7
	v_cmp_ge_f32_e64 s[10:11], 0, v14
	v_add_u32_e32 v14, 1, v12
	v_cndmask_b32_e64 v13, v12, v13, s[10:11]
	v_fma_f32 v12, -v14, v12, v7
	v_cmp_lt_f32_e64 s[10:11], 0, v12
	v_cndmask_b32_e64 v12, v13, v14, s[10:11]
	v_mul_f32_e32 v13, 0x37800000, v12
	v_cndmask_b32_e32 v12, v12, v13, vcc
	v_cmp_class_f32_e32 vcc, v7, v8
	v_cndmask_b32_e32 v7, v12, v7, vcc
	v_div_scale_f32 v12, s[10:11], v7, v7, 1.0
	v_rcp_f32_e32 v13, v12
	v_fma_f32 v14, -v12, v13, 1.0
	v_fmac_f32_e32 v13, v14, v13
	v_div_scale_f32 v14, vcc, 1.0, v7, 1.0
	v_mul_f32_e32 v15, v14, v13
	v_fma_f32 v18, -v12, v15, v14
	v_fmac_f32_e32 v15, v18, v13
	v_fma_f32 v12, -v12, v15, v14
	v_div_fmas_f32 v12, v12, v13, v15
	v_div_fixup_f32 v38, v12, v7, 1.0
	v_mul_f32_e32 v55, v6, v38
.LBB23_153:                             ;   in Loop: Header=BB23_132 Depth=2
	s_or_b64 exec, exec, s[38:39]
.LBB23_154:                             ;   in Loop: Header=BB23_132 Depth=2
	s_or_b64 exec, exec, s[36:37]
.LBB23_155:                             ;   in Loop: Header=BB23_132 Depth=2
	s_or_b64 exec, exec, s[34:35]
	flat_load_dwordx2 v[6:7], v[48:49]
	v_add_co_u32_e32 v12, vcc, v60, v50
	v_addc_co_u32_e32 v13, vcc, v33, v51, vcc
	v_accvgpr_read_b32 v14, a28
	v_add_f32_e32 v18, v55, v55
	v_accvgpr_read_b32 v15, a29
	v_add_co_u32_e32 v14, vcc, v12, v14
	v_add_u32_e32 v40, 1, v44
	v_addc_co_u32_e32 v15, vcc, v13, v15, vcc
	v_xor_b32_e32 v39, 0x80000000, v38
	v_cmp_lt_i32_e32 vcc, v40, v54
	s_waitcnt vmcnt(0) lgkmcnt(0)
	v_sub_f32_e32 v7, v7, v6
	v_mul_f32_e32 v7, v38, v7
	v_fma_f32 v7, v41, v18, -v7
	v_mul_f32_e64 v18, v7, -v38
	v_fma_f32 v6, v7, -v38, v6
	v_fma_f32 v24, v55, v7, -v41
	ds_write_b32 v25, v18 offset:8
	flat_store_dword v[48:49], v6
	flat_store_dword v[12:13], v55
	;; [unrolled: 1-line block ×3, first 2 shown]
	s_and_saveexec_b64 s[34:35], vcc
	s_cbranch_execz .LBB23_172
; %bb.156:                              ;   in Loop: Header=BB23_132 Depth=2
	v_ashrrev_i32_e32 v41, 31, v40
	v_lshlrev_b64 v[6:7], 2, v[40:41]
	v_add_co_u32_e32 v40, vcc, v60, v6
	v_addc_co_u32_e32 v41, vcc, v33, v7, vcc
	v_add_co_u32_e32 v50, vcc, v9, v6
	v_addc_co_u32_e32 v51, vcc, v4, v7, vcc
	v_add_co_u32_e32 v48, vcc, v61, v6
	v_accvgpr_read_b32 v6, a24
	v_addc_co_u32_e32 v49, vcc, v6, v7, vcc
	s_mov_b32 s44, 1
	s_mov_b64 s[36:37], 0
	s_branch .LBB23_158
.LBB23_157:                             ;   in Loop: Header=BB23_158 Depth=3
	flat_load_dwordx2 v[6:7], v[50:51]
	ds_read_b32 v19, v25 offset:8
	v_add_co_u32_e32 v48, vcc, 4, v48
	v_addc_co_u32_e32 v49, vcc, 0, v49, vcc
	v_add_co_u32_e32 v12, vcc, 4, v50
	v_addc_co_u32_e32 v13, vcc, 0, v51, vcc
	v_accvgpr_read_b32 v14, a28
	v_mul_f32_e32 v18, v55, v45
	v_add_f32_e32 v24, v53, v53
	v_accvgpr_read_b32 v15, a29
	v_add_co_u32_e32 v14, vcc, v40, v14
	s_add_i32 s44, s44, 1
	v_addc_co_u32_e32 v15, vcc, v41, v15, vcc
	v_add_u32_e32 v28, s44, v44
	v_cmp_ge_i32_e32 vcc, v28, v54
	v_xor_b32_e32 v39, 0x80000000, v38
	s_or_b64 s[36:37], vcc, s[36:37]
	v_mov_b32_e32 v55, v53
	s_waitcnt vmcnt(0) lgkmcnt(0)
	v_sub_f32_e32 v6, v6, v19
	v_sub_f32_e32 v7, v7, v6
	v_mul_f32_e32 v7, v38, v7
	v_fma_f32 v7, v18, v24, -v7
	v_mul_f32_e64 v19, v7, -v38
	v_fma_f32 v6, v7, -v38, v6
	ds_write_b32 v25, v19 offset:8
	flat_store_dword v[50:51], v6
	flat_store_dword v[40:41], v53
	;; [unrolled: 1-line block ×3, first 2 shown]
	v_add_co_u32_e32 v40, vcc, 4, v40
	v_fma_f32 v24, v53, v7, -v18
	v_addc_co_u32_e32 v41, vcc, 0, v41, vcc
	v_pk_mov_b32 v[50:51], v[12:13], v[12:13] op_sel:[0,1]
	s_andn2_b64 exec, exec, s[36:37]
	s_cbranch_execz .LBB23_171
.LBB23_158:                             ;   Parent Loop BB23_6 Depth=1
                                        ;     Parent Loop BB23_132 Depth=2
                                        ; =>    This Inner Loop Header: Depth=3
	flat_load_dword v45, v[48:49] offset:4
	v_mov_b32_e32 v53, 1.0
	v_mov_b32_e32 v38, 0
	s_waitcnt vmcnt(0) lgkmcnt(0)
	v_mul_f32_e32 v52, v39, v45
	v_cmp_neq_f32_e32 vcc, 0, v52
	s_and_saveexec_b64 s[38:39], vcc
	s_cbranch_execz .LBB23_168
; %bb.159:                              ;   in Loop: Header=BB23_158 Depth=3
	v_cmp_neq_f32_e32 vcc, 0, v24
                                        ; implicit-def: $vgpr38
                                        ; implicit-def: $vgpr53
	s_and_saveexec_b64 s[10:11], vcc
	s_xor_b64 s[40:41], exec, s[10:11]
	s_cbranch_execz .LBB23_165
; %bb.160:                              ;   in Loop: Header=BB23_158 Depth=3
	v_cmp_ngt_f32_e64 s[10:11], |v52|, |v24|
                                        ; implicit-def: $vgpr38
                                        ; implicit-def: $vgpr53
	s_and_saveexec_b64 vcc, s[10:11]
	s_xor_b64 s[42:43], exec, vcc
	s_cbranch_execz .LBB23_162
; %bb.161:                              ;   in Loop: Header=BB23_158 Depth=3
	v_div_scale_f32 v6, s[10:11], v24, v24, -v52
	v_rcp_f32_e32 v7, v6
	v_div_scale_f32 v12, vcc, -v52, v24, -v52
	v_fma_f32 v13, -v6, v7, 1.0
	v_fmac_f32_e32 v7, v13, v7
	v_mul_f32_e32 v13, v12, v7
	v_fma_f32 v14, -v6, v13, v12
	v_fmac_f32_e32 v13, v14, v7
	v_fma_f32 v6, -v6, v13, v12
	v_div_fmas_f32 v6, v6, v7, v13
	v_div_fixup_f32 v6, v6, v24, -v52
	v_fma_f32 v7, v6, v6, 1.0
	v_mul_f32_e32 v12, 0x4f800000, v7
	v_cmp_gt_f32_e32 vcc, s46, v7
	v_cndmask_b32_e32 v7, v7, v12, vcc
	v_sqrt_f32_e32 v12, v7
	v_add_u32_e32 v13, -1, v12
	v_fma_f32 v14, -v13, v12, v7
	v_cmp_ge_f32_e64 s[10:11], 0, v14
	v_add_u32_e32 v14, 1, v12
	v_cndmask_b32_e64 v13, v12, v13, s[10:11]
	v_fma_f32 v12, -v14, v12, v7
	v_cmp_lt_f32_e64 s[10:11], 0, v12
	v_cndmask_b32_e64 v12, v13, v14, s[10:11]
	v_mul_f32_e32 v13, 0x37800000, v12
	v_cndmask_b32_e32 v12, v12, v13, vcc
	v_cmp_class_f32_e32 vcc, v7, v8
	v_cndmask_b32_e32 v7, v12, v7, vcc
	v_div_scale_f32 v12, s[10:11], v7, v7, 1.0
	v_rcp_f32_e32 v13, v12
	v_fma_f32 v14, -v12, v13, 1.0
	v_fmac_f32_e32 v13, v14, v13
	v_div_scale_f32 v14, vcc, 1.0, v7, 1.0
	v_mul_f32_e32 v15, v14, v13
	v_fma_f32 v18, -v12, v15, v14
	v_fmac_f32_e32 v15, v18, v13
	v_fma_f32 v12, -v12, v15, v14
	v_div_fmas_f32 v12, v12, v13, v15
	v_div_fixup_f32 v53, v12, v7, 1.0
	v_mul_f32_e32 v38, v6, v53
.LBB23_162:                             ;   in Loop: Header=BB23_158 Depth=3
	s_andn2_saveexec_b64 s[42:43], s[42:43]
	s_cbranch_execz .LBB23_164
; %bb.163:                              ;   in Loop: Header=BB23_158 Depth=3
	v_div_scale_f32 v6, s[10:11], v52, v52, -v24
	v_rcp_f32_e32 v7, v6
	v_div_scale_f32 v12, vcc, -v24, v52, -v24
	v_fma_f32 v13, -v6, v7, 1.0
	v_fmac_f32_e32 v7, v13, v7
	v_mul_f32_e32 v13, v12, v7
	v_fma_f32 v14, -v6, v13, v12
	v_fmac_f32_e32 v13, v14, v7
	v_fma_f32 v6, -v6, v13, v12
	v_div_fmas_f32 v6, v6, v7, v13
	v_div_fixup_f32 v6, v6, v52, -v24
	v_fma_f32 v7, v6, v6, 1.0
	v_mul_f32_e32 v12, 0x4f800000, v7
	v_cmp_gt_f32_e32 vcc, s46, v7
	v_cndmask_b32_e32 v7, v7, v12, vcc
	v_sqrt_f32_e32 v12, v7
	v_add_u32_e32 v13, -1, v12
	v_fma_f32 v14, -v13, v12, v7
	v_cmp_ge_f32_e64 s[10:11], 0, v14
	v_add_u32_e32 v14, 1, v12
	v_cndmask_b32_e64 v13, v12, v13, s[10:11]
	v_fma_f32 v12, -v14, v12, v7
	v_cmp_lt_f32_e64 s[10:11], 0, v12
	v_cndmask_b32_e64 v12, v13, v14, s[10:11]
	v_mul_f32_e32 v13, 0x37800000, v12
	v_cndmask_b32_e32 v12, v12, v13, vcc
	v_cmp_class_f32_e32 vcc, v7, v8
	v_cndmask_b32_e32 v7, v12, v7, vcc
	v_div_scale_f32 v12, s[10:11], v7, v7, 1.0
	v_rcp_f32_e32 v13, v12
	v_fma_f32 v14, -v12, v13, 1.0
	v_fmac_f32_e32 v13, v14, v13
	v_div_scale_f32 v14, vcc, 1.0, v7, 1.0
	v_mul_f32_e32 v15, v14, v13
	v_fma_f32 v18, -v12, v15, v14
	v_fmac_f32_e32 v15, v18, v13
	v_fma_f32 v12, -v12, v15, v14
	v_div_fmas_f32 v12, v12, v13, v15
	v_div_fixup_f32 v38, v12, v7, 1.0
	v_mul_f32_e32 v53, v6, v38
.LBB23_164:                             ;   in Loop: Header=BB23_158 Depth=3
	s_or_b64 exec, exec, s[42:43]
	v_mul_f32_e32 v6, v52, v38
	v_fma_f32 v24, v24, v53, -v6
                                        ; implicit-def: $vgpr52
.LBB23_165:                             ;   in Loop: Header=BB23_158 Depth=3
	s_andn2_saveexec_b64 s[10:11], s[40:41]
; %bb.166:                              ;   in Loop: Header=BB23_158 Depth=3
	v_xor_b32_e32 v24, 0x80000000, v52
	v_mov_b32_e32 v38, 1.0
	v_mov_b32_e32 v53, 0
; %bb.167:                              ;   in Loop: Header=BB23_158 Depth=3
	s_or_b64 exec, exec, s[10:11]
.LBB23_168:                             ;   in Loop: Header=BB23_158 Depth=3
	s_or_b64 exec, exec, s[38:39]
	s_cmp_eq_u32 s44, 0
	s_cbranch_scc1 .LBB23_157
; %bb.169:                              ;   in Loop: Header=BB23_158 Depth=3
	flat_store_dword v[48:49], v24
	s_branch .LBB23_157
.LBB23_170:                             ;   in Loop: Header=BB23_132 Depth=2
	s_andn2_b64 s[12:13], s[12:13], exec
	ds_write2_b32 v25, v44, v54 offset0:1 offset1:4
	s_or_b64 exec, exec, s[28:29]
	s_and_saveexec_b64 s[10:11], s[12:13]
	s_cbranch_execnz .LBB23_143
	s_branch .LBB23_144
.LBB23_171:                             ;   in Loop: Header=BB23_132 Depth=2
	s_or_b64 exec, exec, s[36:37]
.LBB23_172:                             ;   in Loop: Header=BB23_132 Depth=2
	s_or_b64 exec, exec, s[34:35]
	ds_read_b32 v38, v25 offset:8
.LBB23_173:                             ;   in Loop: Header=BB23_132 Depth=2
	s_or_b64 exec, exec, s[12:13]
	flat_load_dword v6, v[42:43]
                                        ; implicit-def: $vgpr54
                                        ; implicit-def: $vgpr55
                                        ; implicit-def: $vgpr44
	s_waitcnt vmcnt(0) lgkmcnt(0)
	v_sub_f32_e32 v6, v6, v38
	flat_store_dword v[42:43], v6
	flat_store_dword v[46:47], v24
                                        ; implicit-def: $vgpr42
                                        ; implicit-def: $vgpr46_vgpr47
.LBB23_174:                             ;   in Loop: Header=BB23_132 Depth=2
	s_andn2_saveexec_b64 s[30:31], s[30:31]
	s_cbranch_execz .LBB23_207
; %bb.175:                              ;   in Loop: Header=BB23_132 Depth=2
	v_ashrrev_i32_e32 v45, 31, v44
	v_lshlrev_b64 v[40:41], 2, v[44:45]
	v_add_co_u32_e32 v6, vcc, v9, v40
	v_addc_co_u32_e32 v7, vcc, v4, v41, vcc
	v_add_co_u32_e32 v12, vcc, v5, v40
	v_addc_co_u32_e32 v13, vcc, v62, v41, vcc
	flat_load_dword v38, v[6:7]
	flat_load_dword v50, v[12:13]
                                        ; implicit-def: $vgpr24
	s_waitcnt vmcnt(0) lgkmcnt(0)
	v_sub_f32_e32 v49, v38, v55
	v_add_f32_e32 v48, v50, v50
	v_and_b32_e32 v39, 0x7fffffff, v48
	v_cmp_ngt_f32_e64 s[10:11], |v49|, |v48|
	s_and_saveexec_b64 s[12:13], s[10:11]
	s_xor_b64 s[12:13], exec, s[12:13]
	s_cbranch_execz .LBB23_181
; %bb.176:                              ;   in Loop: Header=BB23_132 Depth=2
	v_cmp_nlt_f32_e64 s[10:11], |v49|, |v48|
                                        ; implicit-def: $vgpr24
	s_and_saveexec_b64 vcc, s[10:11]
	s_xor_b64 s[10:11], exec, vcc
; %bb.177:                              ;   in Loop: Header=BB23_132 Depth=2
	v_cvt_f64_f32_e32 v[6:7], v39
	v_mul_f64 v[6:7], v[6:7], s[20:21]
	v_cvt_f32_f64_e32 v24, v[6:7]
                                        ; implicit-def: $vgpr39
; %bb.178:                              ;   in Loop: Header=BB23_132 Depth=2
	s_andn2_saveexec_b64 s[34:35], s[10:11]
	s_cbranch_execz .LBB23_180
; %bb.179:                              ;   in Loop: Header=BB23_132 Depth=2
	v_and_b32_e32 v6, 0x7fffffff, v49
	v_div_scale_f32 v7, s[10:11], v39, v39, v6
	v_rcp_f32_e32 v12, v7
	v_div_scale_f32 v6, vcc, v6, v39, v6
	v_fma_f32 v13, -v7, v12, 1.0
	v_fmac_f32_e32 v12, v13, v12
	v_mul_f32_e32 v13, v6, v12
	v_fma_f32 v14, -v7, v13, v6
	v_fmac_f32_e32 v13, v14, v12
	v_fma_f32 v6, -v7, v13, v6
	v_div_fmas_f32 v6, v6, v12, v13
	v_div_fixup_f32 v6, v6, |v48|, |v49|
	v_fma_f32 v6, v6, v6, 1.0
	v_mul_f32_e32 v7, 0x4f800000, v6
	v_cmp_gt_f32_e32 vcc, s46, v6
	v_cndmask_b32_e32 v6, v6, v7, vcc
	v_sqrt_f32_e32 v7, v6
	v_add_u32_e32 v12, -1, v7
	v_fma_f32 v13, -v12, v7, v6
	v_cmp_ge_f32_e64 s[10:11], 0, v13
	v_add_u32_e32 v13, 1, v7
	v_cndmask_b32_e64 v12, v7, v12, s[10:11]
	v_fma_f32 v7, -v13, v7, v6
	v_cmp_lt_f32_e64 s[10:11], 0, v7
	v_cndmask_b32_e64 v7, v12, v13, s[10:11]
	v_mul_f32_e32 v12, 0x37800000, v7
	v_cndmask_b32_e32 v7, v7, v12, vcc
	v_cmp_class_f32_e32 vcc, v6, v8
	v_cndmask_b32_e32 v6, v7, v6, vcc
	v_mul_f32_e64 v24, |v48|, v6
.LBB23_180:                             ;   in Loop: Header=BB23_132 Depth=2
	s_or_b64 exec, exec, s[34:35]
                                        ; implicit-def: $vgpr39
.LBB23_181:                             ;   in Loop: Header=BB23_132 Depth=2
	s_andn2_saveexec_b64 s[12:13], s[12:13]
	s_cbranch_execz .LBB23_183
; %bb.182:                              ;   in Loop: Header=BB23_132 Depth=2
	v_and_b32_e32 v6, 0x7fffffff, v49
	v_div_scale_f32 v7, s[10:11], v6, v6, v39
	v_rcp_f32_e32 v12, v7
	v_div_scale_f32 v6, vcc, v39, v6, v39
	v_fma_f32 v13, -v7, v12, 1.0
	v_fmac_f32_e32 v12, v13, v12
	v_mul_f32_e32 v13, v6, v12
	v_fma_f32 v14, -v7, v13, v6
	v_fmac_f32_e32 v13, v14, v12
	v_fma_f32 v6, -v7, v13, v6
	v_div_fmas_f32 v6, v6, v12, v13
	v_div_fixup_f32 v6, v6, |v49|, |v48|
	v_fma_f32 v6, v6, v6, 1.0
	v_mul_f32_e32 v7, 0x4f800000, v6
	v_cmp_gt_f32_e32 vcc, s46, v6
	v_cndmask_b32_e32 v6, v6, v7, vcc
	v_sqrt_f32_e32 v7, v6
	v_add_u32_e32 v12, -1, v7
	v_fma_f32 v13, -v12, v7, v6
	v_cmp_ge_f32_e64 s[10:11], 0, v13
	v_add_u32_e32 v13, 1, v7
	v_cndmask_b32_e64 v12, v7, v12, s[10:11]
	v_fma_f32 v7, -v13, v7, v6
	v_cmp_lt_f32_e64 s[10:11], 0, v7
	v_cndmask_b32_e64 v7, v12, v13, s[10:11]
	v_mul_f32_e32 v12, 0x37800000, v7
	v_cndmask_b32_e32 v7, v7, v12, vcc
	v_cmp_class_f32_e32 vcc, v6, v8
	v_cndmask_b32_e32 v6, v7, v6, vcc
	v_mul_f32_e64 v24, |v49|, v6
.LBB23_183:                             ;   in Loop: Header=BB23_132 Depth=2
	s_or_b64 exec, exec, s[12:13]
	v_add_f32_e32 v52, v38, v55
	v_cmp_gt_f32_e64 vcc, |v38|, |v55|
	v_cndmask_b32_e32 v39, v38, v55, vcc
	v_cndmask_b32_e32 v38, v55, v38, vcc
	v_cmp_ngt_f32_e32 vcc, 0, v52
                                        ; implicit-def: $vgpr51
                                        ; implicit-def: $vgpr44_vgpr45
	s_and_saveexec_b64 s[10:11], vcc
	s_xor_b64 s[10:11], exec, s[10:11]
	s_cbranch_execz .LBB23_189
; %bb.184:                              ;   in Loop: Header=BB23_132 Depth=2
	v_cmp_nlt_f32_e32 vcc, 0, v52
                                        ; implicit-def: $sgpr34
                                        ; implicit-def: $vgpr44_vgpr45
	s_and_saveexec_b64 s[12:13], vcc
	s_xor_b64 s[12:13], exec, s[12:13]
; %bb.185:                              ;   in Loop: Header=BB23_132 Depth=2
	v_pk_mul_f32 v[44:45], v[24:25], s[22:23] op_sel_hi:[0,1]
	s_mov_b32 s34, 1
                                        ; implicit-def: $vgpr52
                                        ; implicit-def: $vgpr38
                                        ; implicit-def: $vgpr39
                                        ; implicit-def: $vgpr50
; %bb.186:                              ;   in Loop: Header=BB23_132 Depth=2
	s_or_saveexec_b64 s[12:13], s[12:13]
	v_mov_b32_e32 v51, s34
	s_xor_b64 exec, exec, s[12:13]
	s_cbranch_execz .LBB23_188
; %bb.187:                              ;   in Loop: Header=BB23_132 Depth=2
	v_add_f32_e32 v6, v52, v24
	v_mul_f32_e32 v44, 0.5, v6
	v_cvt_f64_f32_e32 v[6:7], v38
	v_cvt_f64_f32_e32 v[12:13], v44
	v_div_scale_f64 v[14:15], vcc, v[12:13], v[12:13], v[6:7]
	v_rcp_f64_e32 v[18:19], v[14:15]
	v_accvgpr_mov_b32 a18, a7
	v_fma_f64 v[28:29], -v[14:15], v[18:19], 1.0
	v_fmac_f64_e32 v[18:19], v[18:19], v[28:29]
	v_fma_f64 v[28:29], -v[14:15], v[18:19], 1.0
	v_fmac_f64_e32 v[18:19], v[18:19], v[28:29]
	v_div_scale_f64 v[28:29], vcc, v[6:7], v[12:13], v[6:7]
	v_mul_f64 v[32:33], v[28:29], v[18:19]
	v_fma_f64 v[14:15], -v[14:15], v[32:33], v[28:29]
	v_cvt_f64_f32_e32 v[28:29], v50
	v_div_scale_f64 v[50:51], s[34:35], v[12:13], v[12:13], v[28:29]
	v_rcp_f64_e32 v[52:53], v[50:51]
	v_div_fmas_f64 v[14:15], v[14:15], v[18:19], v[32:33]
	v_div_fixup_f64 v[6:7], v[14:15], v[12:13], v[6:7]
	v_cvt_f64_f32_e32 v[14:15], v39
	v_fma_f64 v[18:19], -v[50:51], v[52:53], 1.0
	v_fmac_f64_e32 v[52:53], v[52:53], v[18:19]
	v_fma_f64 v[18:19], -v[50:51], v[52:53], 1.0
	v_fmac_f64_e32 v[52:53], v[52:53], v[18:19]
	v_div_scale_f64 v[18:19], vcc, v[28:29], v[12:13], v[28:29]
	v_mul_f64 v[32:33], v[18:19], v[52:53]
	v_fma_f64 v[18:19], -v[50:51], v[32:33], v[18:19]
	v_mov_b32_e32 v51, 1
	s_nop 0
	v_div_fmas_f64 v[18:19], v[18:19], v[52:53], v[32:33]
	v_div_fixup_f64 v[12:13], v[18:19], v[12:13], v[28:29]
	v_mul_f64 v[12:13], v[12:13], v[28:29]
	v_fma_f64 v[6:7], v[6:7], v[14:15], -v[12:13]
	v_accvgpr_read_b32 v33, a21
	v_accvgpr_read_b32 v32, a20
	;; [unrolled: 1-line block ×3, first 2 shown]
	v_cvt_f32_f64_e32 v45, v[6:7]
.LBB23_188:                             ;   in Loop: Header=BB23_132 Depth=2
	s_or_b64 exec, exec, s[12:13]
                                        ; implicit-def: $vgpr52
                                        ; implicit-def: $vgpr38
                                        ; implicit-def: $vgpr39
                                        ; implicit-def: $vgpr50
.LBB23_189:                             ;   in Loop: Header=BB23_132 Depth=2
	s_andn2_saveexec_b64 s[10:11], s[10:11]
	s_cbranch_execz .LBB23_191
; %bb.190:                              ;   in Loop: Header=BB23_132 Depth=2
	v_sub_f32_e32 v6, v52, v24
	v_mul_f32_e32 v44, 0.5, v6
	v_cvt_f64_f32_e32 v[6:7], v38
	v_cvt_f64_f32_e32 v[12:13], v44
	v_div_scale_f64 v[14:15], s[12:13], v[12:13], v[12:13], v[6:7]
	v_rcp_f64_e32 v[18:19], v[14:15]
	v_accvgpr_mov_b32 a18, a7
	v_fma_f64 v[28:29], -v[14:15], v[18:19], 1.0
	v_fmac_f64_e32 v[18:19], v[18:19], v[28:29]
	v_fma_f64 v[28:29], -v[14:15], v[18:19], 1.0
	v_fmac_f64_e32 v[18:19], v[18:19], v[28:29]
	v_div_scale_f64 v[28:29], vcc, v[6:7], v[12:13], v[6:7]
	v_mul_f64 v[32:33], v[28:29], v[18:19]
	v_fma_f64 v[14:15], -v[14:15], v[32:33], v[28:29]
	v_cvt_f64_f32_e32 v[28:29], v50
	v_div_scale_f64 v[50:51], s[12:13], v[12:13], v[12:13], v[28:29]
	v_rcp_f64_e32 v[52:53], v[50:51]
	v_div_fmas_f64 v[14:15], v[14:15], v[18:19], v[32:33]
	v_div_fixup_f64 v[6:7], v[14:15], v[12:13], v[6:7]
	v_cvt_f64_f32_e32 v[14:15], v39
	v_fma_f64 v[18:19], -v[50:51], v[52:53], 1.0
	v_fmac_f64_e32 v[52:53], v[52:53], v[18:19]
	v_fma_f64 v[18:19], -v[50:51], v[52:53], 1.0
	v_fmac_f64_e32 v[52:53], v[52:53], v[18:19]
	v_div_scale_f64 v[18:19], vcc, v[28:29], v[12:13], v[28:29]
	v_mul_f64 v[32:33], v[18:19], v[52:53]
	v_fma_f64 v[18:19], -v[50:51], v[32:33], v[18:19]
	v_mov_b32_e32 v51, -1
	s_nop 0
	v_div_fmas_f64 v[18:19], v[18:19], v[52:53], v[32:33]
	v_div_fixup_f64 v[12:13], v[18:19], v[12:13], v[28:29]
	v_mul_f64 v[12:13], v[12:13], v[28:29]
	v_fma_f64 v[6:7], v[6:7], v[14:15], -v[12:13]
	v_accvgpr_read_b32 v33, a21
	v_accvgpr_read_b32 v32, a20
	;; [unrolled: 1-line block ×3, first 2 shown]
	v_cvt_f32_f64_e32 v45, v[6:7]
.LBB23_191:                             ;   in Loop: Header=BB23_132 Depth=2
	s_or_b64 exec, exec, s[10:11]
	v_cmp_nle_f32_e64 s[10:11], 0, v49
	v_cndmask_b32_e64 v6, v24, -v24, s[10:11]
	v_add_f32_e32 v24, v49, v6
	v_cmp_ngt_f32_e64 s[12:13], |v24|, |v48|
                                        ; implicit-def: $vgpr38
                                        ; implicit-def: $vgpr39
	s_and_saveexec_b64 vcc, s[12:13]
	s_xor_b64 s[34:35], exec, vcc
	s_cbranch_execz .LBB23_195
; %bb.192:                              ;   in Loop: Header=BB23_132 Depth=2
	v_cmp_neq_f32_e32 vcc, 0, v48
	v_mov_b32_e32 v38, 0
	v_mov_b32_e32 v39, 1.0
	s_and_saveexec_b64 s[36:37], vcc
	s_cbranch_execz .LBB23_194
; %bb.193:                              ;   in Loop: Header=BB23_132 Depth=2
	v_div_scale_f32 v6, s[12:13], v48, v48, -v24
	v_rcp_f32_e32 v7, v6
	v_div_scale_f32 v12, vcc, -v24, v48, -v24
	v_fma_f32 v13, -v6, v7, 1.0
	v_fmac_f32_e32 v7, v13, v7
	v_mul_f32_e32 v13, v12, v7
	v_fma_f32 v14, -v6, v13, v12
	v_fmac_f32_e32 v13, v14, v7
	v_fma_f32 v6, -v6, v13, v12
	v_div_fmas_f32 v6, v6, v7, v13
	v_div_fixup_f32 v6, v6, v48, -v24
	v_fma_f32 v7, v6, v6, 1.0
	v_mul_f32_e32 v12, 0x4f800000, v7
	v_cmp_gt_f32_e32 vcc, s46, v7
	v_cndmask_b32_e32 v7, v7, v12, vcc
	v_sqrt_f32_e32 v12, v7
	v_add_u32_e32 v13, -1, v12
	v_fma_f32 v14, -v13, v12, v7
	v_cmp_ge_f32_e64 s[12:13], 0, v14
	v_add_u32_e32 v14, 1, v12
	v_cndmask_b32_e64 v13, v12, v13, s[12:13]
	v_fma_f32 v12, -v14, v12, v7
	v_cmp_lt_f32_e64 s[12:13], 0, v12
	v_cndmask_b32_e64 v12, v13, v14, s[12:13]
	v_mul_f32_e32 v13, 0x37800000, v12
	v_cndmask_b32_e32 v12, v12, v13, vcc
	v_cmp_class_f32_e32 vcc, v7, v8
	v_cndmask_b32_e32 v7, v12, v7, vcc
	v_div_scale_f32 v12, s[12:13], v7, v7, 1.0
	v_rcp_f32_e32 v13, v12
	v_fma_f32 v14, -v12, v13, 1.0
	v_fmac_f32_e32 v13, v14, v13
	v_div_scale_f32 v14, vcc, 1.0, v7, 1.0
	v_mul_f32_e32 v15, v14, v13
	v_fma_f32 v18, -v12, v15, v14
	v_fmac_f32_e32 v15, v18, v13
	v_fma_f32 v12, -v12, v15, v14
	v_div_fmas_f32 v12, v12, v13, v15
	v_div_fixup_f32 v39, v12, v7, 1.0
	v_mul_f32_e32 v38, v6, v39
.LBB23_194:                             ;   in Loop: Header=BB23_132 Depth=2
	s_or_b64 exec, exec, s[36:37]
                                        ; implicit-def: $vgpr24
                                        ; implicit-def: $vgpr48
.LBB23_195:                             ;   in Loop: Header=BB23_132 Depth=2
	s_andn2_saveexec_b64 s[34:35], s[34:35]
	s_cbranch_execz .LBB23_197
; %bb.196:                              ;   in Loop: Header=BB23_132 Depth=2
	v_div_scale_f32 v6, s[12:13], v24, v24, -v48
	v_rcp_f32_e32 v7, v6
	v_div_scale_f32 v12, vcc, -v48, v24, -v48
	v_fma_f32 v13, -v6, v7, 1.0
	v_fmac_f32_e32 v7, v13, v7
	v_mul_f32_e32 v13, v12, v7
	v_fma_f32 v14, -v6, v13, v12
	v_fmac_f32_e32 v13, v14, v7
	v_fma_f32 v6, -v6, v13, v12
	v_div_fmas_f32 v6, v6, v7, v13
	v_div_fixup_f32 v6, v6, v24, -v48
	v_fma_f32 v7, v6, v6, 1.0
	v_mul_f32_e32 v12, 0x4f800000, v7
	v_cmp_gt_f32_e32 vcc, s46, v7
	v_cndmask_b32_e32 v7, v7, v12, vcc
	v_sqrt_f32_e32 v12, v7
	v_add_u32_e32 v13, -1, v12
	v_fma_f32 v14, -v13, v12, v7
	v_cmp_ge_f32_e64 s[12:13], 0, v14
	v_add_u32_e32 v14, 1, v12
	v_cndmask_b32_e64 v13, v12, v13, s[12:13]
	v_fma_f32 v12, -v14, v12, v7
	v_cmp_lt_f32_e64 s[12:13], 0, v12
	v_cndmask_b32_e64 v12, v13, v14, s[12:13]
	v_mul_f32_e32 v13, 0x37800000, v12
	v_cndmask_b32_e32 v12, v12, v13, vcc
	v_cmp_class_f32_e32 vcc, v7, v8
	v_cndmask_b32_e32 v7, v12, v7, vcc
	v_div_scale_f32 v12, s[12:13], v7, v7, 1.0
	v_rcp_f32_e32 v13, v12
	v_fma_f32 v14, -v12, v13, 1.0
	v_fmac_f32_e32 v13, v14, v13
	v_div_scale_f32 v14, vcc, 1.0, v7, 1.0
	v_mul_f32_e32 v15, v14, v13
	v_fma_f32 v18, -v12, v15, v14
	v_fmac_f32_e32 v15, v18, v13
	v_fma_f32 v12, -v12, v15, v14
	v_div_fmas_f32 v12, v12, v13, v15
	v_div_fixup_f32 v38, v12, v7, 1.0
	v_mul_f32_e32 v39, v6, v38
.LBB23_197:                             ;   in Loop: Header=BB23_132 Depth=2
	s_or_b64 exec, exec, s[34:35]
	v_cndmask_b32_e64 v6, 1, -1, s[10:11]
	v_cmp_eq_u32_e32 vcc, v51, v6
	v_cndmask_b32_e64 v12, v39, -v38, vcc
	v_cndmask_b32_e32 v13, v38, v39, vcc
	v_add_co_u32_e32 v6, vcc, v60, v40
	v_addc_co_u32_e32 v7, vcc, v33, v41, vcc
	v_accvgpr_read_b32 v14, a28
	flat_store_dword v[6:7], v12
	v_accvgpr_read_b32 v15, a29
	v_add_co_u32_e32 v6, vcc, v6, v14
	v_addc_co_u32_e32 v7, vcc, v7, v15, vcc
	flat_store_dword v[6:7], v13
	v_add_co_u32_e32 v6, vcc, -4, v42
	v_addc_co_u32_e32 v7, vcc, -1, v43, vcc
	flat_store_dwordx2 v[6:7], v[44:45]
	v_add_co_u32_e32 v6, vcc, v61, v46
	v_accvgpr_read_b32 v7, a24
	v_addc_co_u32_e32 v7, vcc, v7, v47, vcc
	flat_store_dword v[6:7], v25
	v_add_u32_e32 v6, -2, v54
	ds_write_b32 v25, v6
	s_or_b64 exec, exec, s[30:31]
                                        ; implicit-def: $vgpr42_vgpr43
                                        ; implicit-def: $vgpr55
                                        ; implicit-def: $vgpr54
.LBB23_198:                             ;   in Loop: Header=BB23_132 Depth=2
	s_andn2_saveexec_b64 s[10:11], s[28:29]
	s_cbranch_execz .LBB23_200
.LBB23_199:                             ;   in Loop: Header=BB23_132 Depth=2
	v_add_u32_e32 v6, -1, v54
	flat_store_dword v[42:43], v55
	ds_write_b32 v25, v6
.LBB23_200:                             ;   in Loop: Header=BB23_132 Depth=2
	s_or_b64 exec, exec, s[10:11]
.LBB23_201:                             ;   in Loop: Header=BB23_132 Depth=2
	s_or_b64 exec, exec, s[26:27]
	s_waitcnt lgkmcnt(0)
	s_barrier
	ds_read_b64 v[50:51], v25
	s_waitcnt lgkmcnt(0)
	v_cmp_eq_u32_e32 vcc, v51, v50
	v_mov_b32_e32 v54, v51
	s_cbranch_vccnz .LBB23_131
; %bb.202:                              ;   in Loop: Header=BB23_132 Depth=2
	s_and_saveexec_b64 s[12:13], s[8:9]
	s_cbranch_execz .LBB23_130
; %bb.203:                              ;   in Loop: Header=BB23_132 Depth=2
	ds_read_b32 v12, v25 offset:16
	v_ashrrev_i32_e32 v7, 31, v51
	v_mov_b32_e32 v6, v51
	v_lshlrev_b64 v[6:7], 2, v[6:7]
	v_add_co_u32_e32 v48, vcc, v60, v6
	v_mul_lo_u32 v6, v51, v20
	v_addc_co_u32_e32 v49, vcc, v33, v7, vcc
	v_ashrrev_i32_e32 v7, 31, v6
	v_lshlrev_b64 v[6:7], 2, v[6:7]
	s_waitcnt lgkmcnt(0)
	v_sub_u32_e32 v24, v12, v51
	v_add_co_u32_e32 v38, vcc, v29, v6
	v_accvgpr_read_b32 v12, a18
	v_addc_co_u32_e32 v39, vcc, v12, v7, vcc
	v_mad_i64_i32 v[12:13], s[26:27], v24, v20, 0
	v_lshlrev_b64 v[12:13], 2, v[12:13]
	v_add_co_u32_e32 v52, vcc, v38, v12
	v_addc_co_u32_e32 v53, vcc, v39, v13, vcc
	v_accvgpr_read_b32 v12, a31
	v_add_co_u32_e32 v50, vcc, v12, v6
	v_accvgpr_read_b32 v6, a32
	v_cmp_lt_i32_e64 s[10:11], 0, v24
	v_addc_co_u32_e32 v51, vcc, v6, v7, vcc
	s_mov_b64 s[26:27], 0
	v_mov_b32_e32 v54, v0
	s_branch .LBB23_205
.LBB23_204:                             ;   in Loop: Header=BB23_205 Depth=3
	v_add_co_u32_e32 v6, vcc, v52, v40
	v_addc_co_u32_e32 v7, vcc, v53, v41, vcc
	v_add_u32_e32 v54, v54, v22
	v_cmp_ge_i32_e32 vcc, v54, v2
	s_or_b64 s[26:27], vcc, s[26:27]
	v_add_co_u32_e32 v50, vcc, v50, v26
	v_addc_co_u32_e32 v51, vcc, v51, v27, vcc
	s_waitcnt vmcnt(0) lgkmcnt(0)
	flat_store_dword v[6:7], v55
	s_andn2_b64 exec, exec, s[26:27]
	s_cbranch_execz .LBB23_130
.LBB23_205:                             ;   Parent Loop BB23_6 Depth=1
                                        ;     Parent Loop BB23_132 Depth=2
                                        ; =>    This Loop Header: Depth=3
                                        ;         Child Loop BB23_206 Depth 4
	v_ashrrev_i32_e32 v55, 31, v54
	v_lshlrev_b64 v[40:41], 2, v[54:55]
	v_add_co_u32_e32 v6, vcc, v38, v40
	v_addc_co_u32_e32 v7, vcc, v39, v41, vcc
	flat_load_dword v55, v[6:7]
	s_andn2_b64 vcc, exec, s[10:11]
	v_pk_mov_b32 v[42:43], v[48:49], v[48:49] op_sel:[0,1]
	v_pk_mov_b32 v[44:45], v[50:51], v[50:51] op_sel:[0,1]
	v_mov_b32_e32 v46, v24
	s_cbranch_vccnz .LBB23_204
.LBB23_206:                             ;   Parent Loop BB23_6 Depth=1
                                        ;     Parent Loop BB23_132 Depth=2
                                        ;       Parent Loop BB23_205 Depth=3
                                        ; =>      This Inner Loop Header: Depth=4
	v_add_co_u32_e32 v6, vcc, v42, v3
	v_addc_co_u32_e32 v7, vcc, v43, v23, vcc
	flat_load_dword v12, v[6:7]
	v_add_co_u32_e32 v6, vcc, v44, v30
	v_addc_co_u32_e32 v7, vcc, v45, v31, vcc
	flat_load_dword v13, v[6:7]
	flat_load_dword v14, v[42:43]
	v_add_co_u32_e32 v42, vcc, 4, v42
	v_add_u32_e32 v46, -1, v46
	v_addc_co_u32_e32 v43, vcc, 0, v43, vcc
	v_cmp_eq_u32_e32 vcc, 0, v46
	s_and_b64 vcc, exec, vcc
	s_waitcnt vmcnt(0) lgkmcnt(0)
	v_mul_f32_e32 v15, v12, v13
	v_mul_f32_e32 v12, v55, v12
	v_fmac_f32_e32 v15, v55, v14
	v_fma_f32 v55, v14, v13, -v12
	flat_store_dword v[44:45], v15
	v_pk_mov_b32 v[44:45], v[6:7], v[6:7] op_sel:[0,1]
	s_cbranch_vccz .LBB23_206
	s_branch .LBB23_204
.LBB23_207:                             ;   in Loop: Header=BB23_132 Depth=2
	s_or_b64 exec, exec, s[30:31]
                                        ; implicit-def: $vgpr42_vgpr43
                                        ; implicit-def: $vgpr55
                                        ; implicit-def: $vgpr54
	s_andn2_saveexec_b64 s[10:11], s[28:29]
	s_cbranch_execnz .LBB23_199
	s_branch .LBB23_200
.LBB23_208:                             ;   in Loop: Header=BB23_6 Depth=1
	s_or_b64 exec, exec, s[24:25]
.LBB23_209:                             ;   in Loop: Header=BB23_6 Depth=1
	s_or_b64 exec, exec, s[14:15]
	v_accvgpr_read_b32 v43, a9
	v_accvgpr_mov_b32 a0, a4
	v_accvgpr_read_b32 v55, a6
	v_accvgpr_read_b32 v42, a8
	v_accvgpr_mov_b32 a1, a5
.LBB23_210:                             ;   in Loop: Header=BB23_6 Depth=1
	s_barrier
	ds_read_b32 v24, v25 offset:24
	s_waitcnt lgkmcnt(0)
	v_cmp_gt_f32_e32 vcc, v24, v58
	s_and_saveexec_b64 s[10:11], vcc
	s_cbranch_execz .LBB23_216
; %bb.211:                              ;   in Loop: Header=BB23_6 Depth=1
	v_div_scale_f32 v6, s[12:13], v24, v24, v58
	v_rcp_f32_e32 v7, v6
	ds_read2_b32 v[48:49], v25 offset0:4 offset1:8
	v_fma_f32 v12, -v6, v7, 1.0
	v_fmac_f32_e32 v7, v12, v7
	v_div_scale_f32 v12, vcc, v58, v24, v58
	v_mul_f32_e32 v13, v12, v7
	v_fma_f32 v14, -v6, v13, v12
	v_fmac_f32_e32 v13, v14, v7
	v_fma_f32 v6, -v6, v13, v12
	v_div_fmas_f32 v6, v6, v7, v13
	v_div_fixup_f32 v24, v6, v24, v58
	s_and_saveexec_b64 s[12:13], s[4:5]
	s_cbranch_execz .LBB23_213
; %bb.212:                              ;   in Loop: Header=BB23_6 Depth=1
	s_waitcnt lgkmcnt(0)
	v_ashrrev_i32_e32 v7, 31, v49
	v_mov_b32_e32 v6, v49
	v_lshlrev_b64 v[6:7], 2, v[6:7]
	v_add_co_u32_e32 v6, vcc, v9, v6
	v_addc_co_u32_e32 v7, vcc, v4, v7, vcc
	flat_load_dword v12, v[6:7]
	s_waitcnt vmcnt(0) lgkmcnt(0)
	v_mul_f32_e32 v12, v24, v12
	flat_store_dword v[6:7], v12
.LBB23_213:                             ;   in Loop: Header=BB23_6 Depth=1
	s_or_b64 exec, exec, s[12:13]
	s_waitcnt lgkmcnt(0)
	v_add_u32_e32 v50, v48, v0
	v_cmp_lt_i32_e32 vcc, v50, v49
	s_and_b64 exec, exec, vcc
	s_cbranch_execz .LBB23_216
; %bb.214:                              ;   in Loop: Header=BB23_6 Depth=1
	v_ashrrev_i32_e32 v51, 31, v50
	v_lshlrev_b64 v[52:53], 2, v[50:51]
	s_mov_b64 s[12:13], 0
.LBB23_215:                             ;   Parent Loop BB23_6 Depth=1
                                        ; =>  This Inner Loop Header: Depth=2
	v_add_co_u32_e32 v6, vcc, v9, v52
	v_addc_co_u32_e32 v7, vcc, v4, v53, vcc
	flat_load_dword v14, v[6:7]
	v_add_co_u32_e32 v12, vcc, v5, v52
	v_addc_co_u32_e32 v13, vcc, v62, v53, vcc
	v_add_co_u32_e32 v52, vcc, v52, v26
	v_add_u32_e32 v50, v50, v22
	v_addc_co_u32_e32 v53, vcc, v53, v27, vcc
	v_cmp_ge_i32_e32 vcc, v50, v49
	s_or_b64 s[12:13], vcc, s[12:13]
	s_waitcnt vmcnt(0) lgkmcnt(0)
	v_mul_f32_e32 v14, v24, v14
	flat_store_dword v[6:7], v14
	flat_load_dword v6, v[12:13]
	s_waitcnt vmcnt(0) lgkmcnt(0)
	v_mul_f32_e32 v6, v24, v6
	flat_store_dword v[12:13], v6
	s_andn2_b64 exec, exec, s[12:13]
	s_cbranch_execnz .LBB23_215
.LBB23_216:                             ;   in Loop: Header=BB23_6 Depth=1
	s_or_b64 exec, exec, s[10:11]
	ds_read_b32 v24, v25 offset:24
	s_waitcnt lgkmcnt(0)
	v_cmp_lt_f32_e32 vcc, v24, v16
	s_and_saveexec_b64 s[10:11], vcc
	s_cbranch_execz .LBB23_4
; %bb.217:                              ;   in Loop: Header=BB23_6 Depth=1
	v_div_scale_f32 v6, s[12:13], v24, v24, v16
	v_rcp_f32_e32 v7, v6
	ds_read2_b32 v[48:49], v25 offset0:4 offset1:8
	v_fma_f32 v12, -v6, v7, 1.0
	v_fmac_f32_e32 v7, v12, v7
	v_div_scale_f32 v12, vcc, v16, v24, v16
	v_mul_f32_e32 v13, v12, v7
	v_fma_f32 v14, -v6, v13, v12
	v_fmac_f32_e32 v13, v14, v7
	v_fma_f32 v6, -v6, v13, v12
	v_div_fmas_f32 v6, v6, v7, v13
	v_div_fixup_f32 v24, v6, v24, v16
	s_and_saveexec_b64 s[12:13], s[4:5]
	s_cbranch_execz .LBB23_219
; %bb.218:                              ;   in Loop: Header=BB23_6 Depth=1
	s_waitcnt lgkmcnt(0)
	v_ashrrev_i32_e32 v7, 31, v49
	v_mov_b32_e32 v6, v49
	v_lshlrev_b64 v[6:7], 2, v[6:7]
	v_add_co_u32_e32 v6, vcc, v9, v6
	v_addc_co_u32_e32 v7, vcc, v4, v7, vcc
	flat_load_dword v12, v[6:7]
	s_waitcnt vmcnt(0) lgkmcnt(0)
	v_mul_f32_e32 v12, v24, v12
	flat_store_dword v[6:7], v12
.LBB23_219:                             ;   in Loop: Header=BB23_6 Depth=1
	s_or_b64 exec, exec, s[12:13]
	s_waitcnt lgkmcnt(0)
	v_add_u32_e32 v50, v48, v0
	v_cmp_lt_i32_e32 vcc, v50, v49
	s_and_b64 exec, exec, vcc
	s_cbranch_execz .LBB23_4
; %bb.220:                              ;   in Loop: Header=BB23_6 Depth=1
	v_ashrrev_i32_e32 v51, 31, v50
	v_lshlrev_b64 v[52:53], 2, v[50:51]
	s_mov_b64 s[12:13], 0
.LBB23_221:                             ;   Parent Loop BB23_6 Depth=1
                                        ; =>  This Inner Loop Header: Depth=2
	v_add_co_u32_e32 v6, vcc, v9, v52
	v_addc_co_u32_e32 v7, vcc, v4, v53, vcc
	flat_load_dword v14, v[6:7]
	v_add_co_u32_e32 v12, vcc, v5, v52
	v_addc_co_u32_e32 v13, vcc, v62, v53, vcc
	v_add_co_u32_e32 v52, vcc, v52, v26
	v_add_u32_e32 v50, v50, v22
	v_addc_co_u32_e32 v53, vcc, v53, v27, vcc
	v_cmp_ge_i32_e32 vcc, v50, v49
	s_or_b64 s[12:13], vcc, s[12:13]
	s_waitcnt vmcnt(0) lgkmcnt(0)
	v_mul_f32_e32 v14, v24, v14
	flat_store_dword v[6:7], v14
	flat_load_dword v6, v[12:13]
	s_waitcnt vmcnt(0) lgkmcnt(0)
	v_mul_f32_e32 v6, v24, v6
	flat_store_dword v[12:13], v6
	s_andn2_b64 exec, exec, s[12:13]
	s_cbranch_execnz .LBB23_221
	s_branch .LBB23_4
.LBB23_222:
	s_or_b64 exec, exec, s[16:17]
; %bb.223:
	v_cmp_gt_i32_e32 vcc, v56, v0
	s_mov_b64 s[8:9], exec
	v_accvgpr_read_b32 v6, a14
	s_and_b64 s[10:11], s[8:9], vcc
	v_accvgpr_read_b32 v7, a15
	s_mov_b64 exec, s[10:11]
	s_cbranch_execz .LBB23_228
; %bb.224:
	v_ashrrev_i32_e32 v1, 31, v0
	v_lshlrev_b64 v[10:11], 2, v[0:1]
	v_add_co_u32_e32 v12, vcc, v5, v10
	v_ashrrev_i32_e32 v23, 31, v22
	v_addc_co_u32_e32 v13, vcc, v62, v11, vcc
	v_lshlrev_b64 v[14:15], 2, v[22:23]
	s_mov_b64 s[10:11], 0
	v_mov_b32_e32 v1, 1
	s_branch .LBB23_226
.LBB23_225:                             ;   in Loop: Header=BB23_226 Depth=1
	s_or_b64 exec, exec, s[12:13]
	v_add_u32_e32 v0, v0, v22
	v_cmp_ge_i32_e32 vcc, v0, v56
	s_or_b64 s[10:11], vcc, s[10:11]
	v_add_co_u32_e32 v12, vcc, v12, v14
	v_addc_co_u32_e32 v13, vcc, v13, v15, vcc
	s_andn2_b64 exec, exec, s[10:11]
	s_cbranch_execz .LBB23_228
.LBB23_226:                             ; =>This Inner Loop Header: Depth=1
	flat_load_dword v3, v[12:13]
	s_waitcnt vmcnt(0) lgkmcnt(0)
	v_cmp_neq_f32_e32 vcc, 0, v3
	s_and_saveexec_b64 s[12:13], vcc
	s_cbranch_execz .LBB23_225
; %bb.227:                              ;   in Loop: Header=BB23_226 Depth=1
	flat_atomic_add v[6:7], v1
	s_branch .LBB23_225
.LBB23_228:
	s_or_b64 exec, exec, s[8:9]
	v_cmp_lt_i32_e32 vcc, 1, v2
	s_mov_b32 s18, 1
	s_and_b64 s[8:9], vcc, s[6:7]
	s_and_saveexec_b64 s[6:7], s[8:9]
	s_cbranch_execz .LBB23_242
; %bb.229:
	v_add_co_u32_e32 v0, vcc, 4, v9
	v_addc_co_u32_e32 v1, vcc, 0, v4, vcc
	s_mov_b64 s[8:9], 0
	v_mov_b32_e32 v3, 0
	s_branch .LBB23_231
.LBB23_230:                             ;   in Loop: Header=BB23_231 Depth=1
	s_add_i32 s18, s18, 1
	v_cmp_eq_u32_e32 vcc, s18, v2
	s_or_b64 s[8:9], vcc, s[8:9]
	v_add_co_u32_e32 v0, vcc, 4, v0
	v_addc_co_u32_e32 v1, vcc, 0, v1, vcc
	s_waitcnt lgkmcnt(0)
	s_barrier
	s_andn2_b64 exec, exec, s[8:9]
	s_cbranch_execz .LBB23_242
.LBB23_231:                             ; =>This Loop Header: Depth=1
                                        ;     Child Loop BB23_234 Depth 2
                                        ;     Child Loop BB23_240 Depth 2
	s_and_saveexec_b64 s[10:11], s[4:5]
	s_cbranch_execz .LBB23_238
; %bb.232:                              ;   in Loop: Header=BB23_231 Depth=1
	s_add_i32 s12, s18, -1
	s_ashr_i32 s13, s12, 31
	s_lshl_b64 s[14:15], s[12:13], 2
	v_mov_b32_e32 v5, s15
	v_add_co_u32_e32 v10, vcc, s14, v9
	v_addc_co_u32_e32 v11, vcc, v4, v5, vcc
	flat_load_dword v5, v[10:11]
	s_mov_b64 s[14:15], 0
	v_pk_mov_b32 v[14:15], v[0:1], v[0:1] op_sel:[0,1]
	v_mov_b32_e32 v12, s12
	v_mov_b32_e32 v13, s12
	s_mov_b32 s13, s18
	ds_write_b64 v3, v[12:13]
	s_waitcnt vmcnt(0) lgkmcnt(0)
	ds_write_b32 v3, v5 offset:8
	s_branch .LBB23_234
.LBB23_233:                             ;   in Loop: Header=BB23_234 Depth=2
	s_or_b64 exec, exec, s[16:17]
	s_add_i32 s13, s13, 1
	v_cmp_ge_i32_e32 vcc, s13, v2
	s_or_b64 s[14:15], vcc, s[14:15]
	v_add_co_u32_e32 v14, vcc, 4, v14
	v_addc_co_u32_e32 v15, vcc, 0, v15, vcc
	s_andn2_b64 exec, exec, s[14:15]
	s_cbranch_execz .LBB23_236
.LBB23_234:                             ;   Parent Loop BB23_231 Depth=1
                                        ; =>  This Inner Loop Header: Depth=2
	flat_load_dword v6, v[14:15]
	s_waitcnt vmcnt(0) lgkmcnt(0)
	v_cmp_lt_f32_e32 vcc, v6, v5
	s_and_saveexec_b64 s[16:17], vcc
	s_cbranch_execz .LBB23_233
; %bb.235:                              ;   in Loop: Header=BB23_234 Depth=2
	v_mov_b32_e32 v5, s13
	v_mov_b32_e32 v12, s13
	ds_write2_b32 v3, v5, v6 offset0:1 offset1:2
	v_mov_b32_e32 v5, v6
	s_branch .LBB23_233
.LBB23_236:                             ;   in Loop: Header=BB23_231 Depth=1
	s_or_b64 exec, exec, s[14:15]
	v_cmp_ne_u32_e32 vcc, s12, v12
	s_and_b64 exec, exec, vcc
	s_cbranch_execz .LBB23_238
; %bb.237:                              ;   in Loop: Header=BB23_231 Depth=1
	flat_load_dword v5, v[10:11]
	v_ashrrev_i32_e32 v13, 31, v12
	v_lshlrev_b64 v[6:7], 2, v[12:13]
	v_add_co_u32_e32 v6, vcc, v9, v6
	v_addc_co_u32_e32 v7, vcc, v4, v7, vcc
	s_waitcnt vmcnt(0) lgkmcnt(0)
	flat_store_dword v[6:7], v5
	ds_read_b32 v5, v3 offset:8
	s_waitcnt lgkmcnt(0)
	flat_store_dword v[10:11], v5
.LBB23_238:                             ;   in Loop: Header=BB23_231 Depth=1
	s_or_b64 exec, exec, s[10:11]
	s_waitcnt lgkmcnt(0)
	s_barrier
	ds_read_b64 v[10:11], v3
	s_waitcnt lgkmcnt(0)
	v_cmp_eq_u32_e32 vcc, v11, v10
	s_cbranch_vccnz .LBB23_230
; %bb.239:                              ;   in Loop: Header=BB23_231 Depth=1
	v_mul_lo_u32 v6, v10, v20
	v_mul_lo_u32 v10, v11, v20
	v_ashrrev_i32_e32 v11, 31, v10
	v_lshlrev_b64 v[10:11], 2, v[10:11]
	v_add_co_u32_e32 v10, vcc, v29, v10
	v_accvgpr_read_b32 v5, a18
	v_ashrrev_i32_e32 v7, 31, v6
	v_addc_co_u32_e32 v11, vcc, v5, v11, vcc
	v_lshlrev_b64 v[6:7], 2, v[6:7]
	v_add_co_u32_e32 v12, vcc, v29, v6
	v_addc_co_u32_e32 v13, vcc, v5, v7, vcc
	s_mov_b64 s[10:11], 0
	v_mov_b32_e32 v5, v2
.LBB23_240:                             ;   Parent Loop BB23_231 Depth=1
                                        ; =>  This Inner Loop Header: Depth=2
	flat_load_dword v6, v[10:11]
	flat_load_dword v7, v[12:13]
	v_add_u32_e32 v5, -1, v5
	v_cmp_eq_u32_e32 vcc, 0, v5
	s_or_b64 s[10:11], vcc, s[10:11]
	s_waitcnt vmcnt(0) lgkmcnt(0)
	flat_store_dword v[12:13], v6
	flat_store_dword v[10:11], v7
	v_add_co_u32_e32 v10, vcc, 4, v10
	v_addc_co_u32_e32 v11, vcc, 0, v11, vcc
	v_add_co_u32_e32 v12, vcc, 4, v12
	v_addc_co_u32_e32 v13, vcc, 0, v13, vcc
	s_andn2_b64 exec, exec, s[10:11]
	s_cbranch_execnz .LBB23_240
; %bb.241:                              ;   in Loop: Header=BB23_231 Depth=1
	s_or_b64 exec, exec, s[10:11]
	s_branch .LBB23_230
.LBB23_242:
	s_or_b64 exec, exec, s[6:7]
	buffer_load_dword a35, off, s[0:3], s32 ; 4-byte Folded Reload
	buffer_load_dword a34, off, s[0:3], s32 offset:4 ; 4-byte Folded Reload
	buffer_load_dword a32, off, s[0:3], s32 offset:8 ; 4-byte Folded Reload
	;; [unrolled: 1-line block ×17, first 2 shown]
	v_readlane_b32 s30, v63, 15
	v_readlane_b32 s31, v63, 16
	;; [unrolled: 1-line block ×17, first 2 shown]
	s_or_saveexec_b64 s[4:5], -1
	buffer_load_dword v63, off, s[0:3], s32 offset:72 ; 4-byte Folded Reload
	s_mov_b64 exec, s[4:5]
	s_waitcnt vmcnt(0) lgkmcnt(0)
	s_setpc_b64 s[30:31]
.Lfunc_end23:
	.size	_ZN9rocsolver6v331009run_steqrIffEEviiiPT0_S3_PT_iPiS3_iS2_S2_S2_b, .Lfunc_end23-_ZN9rocsolver6v331009run_steqrIffEEviiiPT0_S3_PT_iPiS3_iS2_S2_S2_b
                                        ; -- End function
	.section	.AMDGPU.csdata,"",@progbits
; Function info:
; codeLenInByte = 14112
; NumSgprs: 53
; NumVgprs: 64
; NumAgprs: 36
; TotalNumVgprs: 100
; ScratchSize: 80
; MemoryBound: 0
	.section	.text._ZN9rocsolver6v33100L12steqr_kernelIffPfEEviPT0_lS4_lT1_iilPiS4_iS3_S3_S3_,"axG",@progbits,_ZN9rocsolver6v33100L12steqr_kernelIffPfEEviPT0_lS4_lT1_iilPiS4_iS3_S3_S3_,comdat
	.globl	_ZN9rocsolver6v33100L12steqr_kernelIffPfEEviPT0_lS4_lT1_iilPiS4_iS3_S3_S3_ ; -- Begin function _ZN9rocsolver6v33100L12steqr_kernelIffPfEEviPT0_lS4_lT1_iilPiS4_iS3_S3_S3_
	.p2align	8
	.type	_ZN9rocsolver6v33100L12steqr_kernelIffPfEEviPT0_lS4_lT1_iilPiS4_iS3_S3_S3_,@function
_ZN9rocsolver6v33100L12steqr_kernelIffPfEEviPT0_lS4_lT1_iilPiS4_iS3_S3_S3_: ; @_ZN9rocsolver6v33100L12steqr_kernelIffPfEEviPT0_lS4_lT1_iilPiS4_iS3_S3_S3_
; %bb.0:
	s_add_u32 flat_scratch_lo, s6, s10
	s_addc_u32 flat_scratch_hi, s7, 0
	s_add_u32 s0, s0, s10
	s_mov_b32 s6, s9
	s_load_dword s33, s[4:5], 0x0
	s_load_dword s7, s[4:5], 0x60
	;; [unrolled: 1-line block ×3, first 2 shown]
	s_load_dwordx8 s[24:31], s[4:5], 0x8
	s_load_dwordx8 s[12:19], s[4:5], 0x28
	s_load_dwordx2 s[10:11], s[4:5], 0x48
	s_load_dwordx4 s[20:23], s[4:5], 0x50
	s_addc_u32 s1, s1, 0
	s_waitcnt lgkmcnt(0)
	s_and_b32 s9, s9, 0xffff
	s_mul_i32 s8, s8, s9
	v_add_u32_e32 v0, s8, v0
	s_mul_i32 s34, s7, s9
	s_ashr_i32 s7, s6, 31
	s_mul_i32 s8, s6, s27
	s_mul_hi_u32 s9, s6, s26
	s_add_i32 s8, s9, s8
	s_mul_i32 s9, s7, s26
	s_add_i32 s9, s8, s9
	s_mul_i32 s8, s6, s26
	s_lshl_b32 s35, s33, 1
	s_lshl_b64 s[8:9], s[8:9], 2
	s_add_u32 s24, s24, s8
	s_addc_u32 s25, s25, s9
	s_mul_i32 s8, s6, s31
	s_mul_hi_u32 s9, s6, s30
	s_add_i32 s8, s9, s8
	s_mul_i32 s9, s7, s30
	s_add_i32 s9, s8, s9
	s_mul_i32 s8, s6, s30
	s_lshl_b64 s[8:9], s[8:9], 2
	s_add_u32 s26, s28, s8
	s_addc_u32 s27, s29, s9
	s_ashr_i32 s9, s14, 31
	s_mov_b32 s8, s14
	s_mul_i32 s14, s6, s17
	s_mul_hi_u32 s17, s6, s16
	s_add_i32 s14, s17, s14
	s_mul_i32 s17, s7, s16
	s_add_i32 s17, s14, s17
	s_mul_i32 s16, s6, s16
	s_lshl_b64 s[16:17], s[16:17], 2
	s_add_u32 s12, s12, s16
	s_addc_u32 s13, s13, s17
	s_lshl_b64 s[8:9], s[8:9], 2
	s_add_u32 s12, s12, s8
	s_addc_u32 s13, s13, s9
	s_mul_hi_i32 s9, s35, s6
	s_mul_i32 s8, s35, s6
	s_lshl_b64 s[8:9], s[8:9], 2
	s_add_u32 s10, s10, s8
	s_addc_u32 s11, s11, s9
	s_lshl_b64 s[6:7], s[6:7], 2
	s_add_u32 s6, s18, s6
	s_addc_u32 s7, s19, s7
	s_add_u32 s8, s4, 0x60
	s_addc_u32 s9, s5, 0
	v_mov_b32_e32 v1, s34
	v_mov_b32_e32 v2, s33
	;; [unrolled: 1-line block ×18, first 2 shown]
	s_mov_b32 s32, 0
	s_getpc_b64 s[4:5]
	s_add_u32 s4, s4, _ZN9rocsolver6v331009run_steqrIffEEviiiPT0_S3_PT_iPiS3_iS2_S2_S2_b@rel32@lo+4
	s_addc_u32 s5, s5, _ZN9rocsolver6v331009run_steqrIffEEviiiPT0_S3_PT_iPiS3_iS2_S2_S2_b@rel32@hi+12
	s_swappc_b64 s[30:31], s[4:5]
	s_endpgm
	.section	.rodata,"a",@progbits
	.p2align	6, 0x0
	.amdhsa_kernel _ZN9rocsolver6v33100L12steqr_kernelIffPfEEviPT0_lS4_lT1_iilPiS4_iS3_S3_S3_
		.amdhsa_group_segment_fixed_size 36
		.amdhsa_private_segment_fixed_size 80
		.amdhsa_kernarg_size 352
		.amdhsa_user_sgpr_count 8
		.amdhsa_user_sgpr_private_segment_buffer 1
		.amdhsa_user_sgpr_dispatch_ptr 0
		.amdhsa_user_sgpr_queue_ptr 0
		.amdhsa_user_sgpr_kernarg_segment_ptr 1
		.amdhsa_user_sgpr_dispatch_id 0
		.amdhsa_user_sgpr_flat_scratch_init 1
		.amdhsa_user_sgpr_kernarg_preload_length 0
		.amdhsa_user_sgpr_kernarg_preload_offset 0
		.amdhsa_user_sgpr_private_segment_size 0
		.amdhsa_uses_dynamic_stack 0
		.amdhsa_system_sgpr_private_segment_wavefront_offset 1
		.amdhsa_system_sgpr_workgroup_id_x 1
		.amdhsa_system_sgpr_workgroup_id_y 1
		.amdhsa_system_sgpr_workgroup_id_z 0
		.amdhsa_system_sgpr_workgroup_info 0
		.amdhsa_system_vgpr_workitem_id 0
		.amdhsa_next_free_vgpr 100
		.amdhsa_next_free_sgpr 49
		.amdhsa_accum_offset 64
		.amdhsa_reserve_vcc 1
		.amdhsa_reserve_flat_scratch 1
		.amdhsa_float_round_mode_32 0
		.amdhsa_float_round_mode_16_64 0
		.amdhsa_float_denorm_mode_32 3
		.amdhsa_float_denorm_mode_16_64 3
		.amdhsa_dx10_clamp 1
		.amdhsa_ieee_mode 1
		.amdhsa_fp16_overflow 0
		.amdhsa_tg_split 0
		.amdhsa_exception_fp_ieee_invalid_op 0
		.amdhsa_exception_fp_denorm_src 0
		.amdhsa_exception_fp_ieee_div_zero 0
		.amdhsa_exception_fp_ieee_overflow 0
		.amdhsa_exception_fp_ieee_underflow 0
		.amdhsa_exception_fp_ieee_inexact 0
		.amdhsa_exception_int_div_zero 0
	.end_amdhsa_kernel
	.section	.text._ZN9rocsolver6v33100L12steqr_kernelIffPfEEviPT0_lS4_lT1_iilPiS4_iS3_S3_S3_,"axG",@progbits,_ZN9rocsolver6v33100L12steqr_kernelIffPfEEviPT0_lS4_lT1_iilPiS4_iS3_S3_S3_,comdat
.Lfunc_end24:
	.size	_ZN9rocsolver6v33100L12steqr_kernelIffPfEEviPT0_lS4_lT1_iilPiS4_iS3_S3_S3_, .Lfunc_end24-_ZN9rocsolver6v33100L12steqr_kernelIffPfEEviPT0_lS4_lT1_iilPiS4_iS3_S3_S3_
                                        ; -- End function
	.section	.AMDGPU.csdata,"",@progbits
; Kernel info:
; codeLenInByte = 384
; NumSgprs: 55
; NumVgprs: 64
; NumAgprs: 36
; TotalNumVgprs: 100
; ScratchSize: 80
; MemoryBound: 0
; FloatMode: 240
; IeeeMode: 1
; LDSByteSize: 36 bytes/workgroup (compile time only)
; SGPRBlocks: 6
; VGPRBlocks: 12
; NumSGPRsForWavesPerEU: 55
; NumVGPRsForWavesPerEU: 100
; AccumOffset: 64
; Occupancy: 4
; WaveLimiterHint : 0
; COMPUTE_PGM_RSRC2:SCRATCH_EN: 1
; COMPUTE_PGM_RSRC2:USER_SGPR: 8
; COMPUTE_PGM_RSRC2:TRAP_HANDLER: 0
; COMPUTE_PGM_RSRC2:TGID_X_EN: 1
; COMPUTE_PGM_RSRC2:TGID_Y_EN: 1
; COMPUTE_PGM_RSRC2:TGID_Z_EN: 0
; COMPUTE_PGM_RSRC2:TIDIG_COMP_CNT: 0
; COMPUTE_PGM_RSRC3_GFX90A:ACCUM_OFFSET: 15
; COMPUTE_PGM_RSRC3_GFX90A:TG_SPLIT: 0
	.section	.text._ZN9rocsolver6v33100L10init_identIfPfEEviiT0_iil,"axG",@progbits,_ZN9rocsolver6v33100L10init_identIfPfEEviiT0_iil,comdat
	.globl	_ZN9rocsolver6v33100L10init_identIfPfEEviiT0_iil ; -- Begin function _ZN9rocsolver6v33100L10init_identIfPfEEviiT0_iil
	.p2align	8
	.type	_ZN9rocsolver6v33100L10init_identIfPfEEviiT0_iil,@function
_ZN9rocsolver6v33100L10init_identIfPfEEviiT0_iil: ; @_ZN9rocsolver6v33100L10init_identIfPfEEviiT0_iil
; %bb.0:
	s_load_dword s2, s[4:5], 0x2c
	s_load_dwordx2 s[0:1], s[4:5], 0x0
	v_and_b32_e32 v1, 0x3ff, v0
	v_bfe_u32 v0, v0, 10, 10
	s_waitcnt lgkmcnt(0)
	s_lshr_b32 s3, s2, 16
	s_and_b32 s2, s2, 0xffff
	s_mul_i32 s6, s6, s2
	s_mul_i32 s7, s7, s3
	v_add_u32_e32 v2, s6, v1
	v_add_u32_e32 v1, s7, v0
	v_cmp_gt_u32_e32 vcc, s0, v2
	v_cmp_gt_u32_e64 s[0:1], s1, v1
	s_and_b64 s[0:1], vcc, s[0:1]
	s_and_saveexec_b64 s[2:3], s[0:1]
	s_cbranch_execz .LBB25_6
; %bb.1:
	s_load_dwordx2 s[0:1], s[4:5], 0x10
	v_cmp_ne_u32_e32 vcc, v2, v1
                                        ; implicit-def: $sgpr6
                                        ; implicit-def: $vgpr0
	s_and_saveexec_b64 s[2:3], vcc
	s_xor_b64 s[2:3], exec, s[2:3]
	s_cbranch_execz .LBB25_3
; %bb.2:
	s_waitcnt lgkmcnt(0)
	v_mad_u64_u32 v[0:1], s[6:7], v1, s1, v[2:3]
	s_mov_b32 s6, 0
                                        ; implicit-def: $vgpr2
.LBB25_3:
	s_or_saveexec_b64 s[2:3], s[2:3]
	v_mov_b32_e32 v3, s6
	s_xor_b64 exec, exec, s[2:3]
	s_cbranch_execz .LBB25_5
; %bb.4:
	s_waitcnt lgkmcnt(0)
	v_mad_u64_u32 v[0:1], s[6:7], v2, s1, v[2:3]
	v_mov_b32_e32 v3, 1.0
.LBB25_5:
	s_or_b64 exec, exec, s[2:3]
	s_load_dwordx2 s[2:3], s[4:5], 0x18
	s_load_dwordx2 s[6:7], s[4:5], 0x8
	s_waitcnt lgkmcnt(0)
	s_ashr_i32 s1, s0, 31
	v_mov_b32_e32 v1, 0
	v_lshlrev_b64 v[0:1], 2, v[0:1]
	s_mul_i32 s3, s8, s3
	s_mul_hi_u32 s4, s8, s2
	s_mul_i32 s2, s8, s2
	s_add_i32 s3, s4, s3
	s_lshl_b64 s[2:3], s[2:3], 2
	s_add_u32 s2, s6, s2
	s_addc_u32 s3, s7, s3
	s_lshl_b64 s[0:1], s[0:1], 2
	s_add_u32 s0, s2, s0
	s_addc_u32 s1, s3, s1
	v_mov_b32_e32 v2, s1
	v_add_co_u32_e32 v0, vcc, s0, v0
	v_addc_co_u32_e32 v1, vcc, v2, v1, vcc
	global_store_dword v[0:1], v3, off
.LBB25_6:
	s_endpgm
	.section	.rodata,"a",@progbits
	.p2align	6, 0x0
	.amdhsa_kernel _ZN9rocsolver6v33100L10init_identIfPfEEviiT0_iil
		.amdhsa_group_segment_fixed_size 0
		.amdhsa_private_segment_fixed_size 0
		.amdhsa_kernarg_size 288
		.amdhsa_user_sgpr_count 6
		.amdhsa_user_sgpr_private_segment_buffer 1
		.amdhsa_user_sgpr_dispatch_ptr 0
		.amdhsa_user_sgpr_queue_ptr 0
		.amdhsa_user_sgpr_kernarg_segment_ptr 1
		.amdhsa_user_sgpr_dispatch_id 0
		.amdhsa_user_sgpr_flat_scratch_init 0
		.amdhsa_user_sgpr_kernarg_preload_length 0
		.amdhsa_user_sgpr_kernarg_preload_offset 0
		.amdhsa_user_sgpr_private_segment_size 0
		.amdhsa_uses_dynamic_stack 0
		.amdhsa_system_sgpr_private_segment_wavefront_offset 0
		.amdhsa_system_sgpr_workgroup_id_x 1
		.amdhsa_system_sgpr_workgroup_id_y 1
		.amdhsa_system_sgpr_workgroup_id_z 1
		.amdhsa_system_sgpr_workgroup_info 0
		.amdhsa_system_vgpr_workitem_id 1
		.amdhsa_next_free_vgpr 4
		.amdhsa_next_free_sgpr 9
		.amdhsa_accum_offset 4
		.amdhsa_reserve_vcc 1
		.amdhsa_reserve_flat_scratch 0
		.amdhsa_float_round_mode_32 0
		.amdhsa_float_round_mode_16_64 0
		.amdhsa_float_denorm_mode_32 3
		.amdhsa_float_denorm_mode_16_64 3
		.amdhsa_dx10_clamp 1
		.amdhsa_ieee_mode 1
		.amdhsa_fp16_overflow 0
		.amdhsa_tg_split 0
		.amdhsa_exception_fp_ieee_invalid_op 0
		.amdhsa_exception_fp_denorm_src 0
		.amdhsa_exception_fp_ieee_div_zero 0
		.amdhsa_exception_fp_ieee_overflow 0
		.amdhsa_exception_fp_ieee_underflow 0
		.amdhsa_exception_fp_ieee_inexact 0
		.amdhsa_exception_int_div_zero 0
	.end_amdhsa_kernel
	.section	.text._ZN9rocsolver6v33100L10init_identIfPfEEviiT0_iil,"axG",@progbits,_ZN9rocsolver6v33100L10init_identIfPfEEviiT0_iil,comdat
.Lfunc_end25:
	.size	_ZN9rocsolver6v33100L10init_identIfPfEEviiT0_iil, .Lfunc_end25-_ZN9rocsolver6v33100L10init_identIfPfEEviiT0_iil
                                        ; -- End function
	.section	.AMDGPU.csdata,"",@progbits
; Kernel info:
; codeLenInByte = 264
; NumSgprs: 13
; NumVgprs: 4
; NumAgprs: 0
; TotalNumVgprs: 4
; ScratchSize: 0
; MemoryBound: 0
; FloatMode: 240
; IeeeMode: 1
; LDSByteSize: 0 bytes/workgroup (compile time only)
; SGPRBlocks: 1
; VGPRBlocks: 0
; NumSGPRsForWavesPerEU: 13
; NumVGPRsForWavesPerEU: 4
; AccumOffset: 4
; Occupancy: 8
; WaveLimiterHint : 0
; COMPUTE_PGM_RSRC2:SCRATCH_EN: 0
; COMPUTE_PGM_RSRC2:USER_SGPR: 6
; COMPUTE_PGM_RSRC2:TRAP_HANDLER: 0
; COMPUTE_PGM_RSRC2:TGID_X_EN: 1
; COMPUTE_PGM_RSRC2:TGID_Y_EN: 1
; COMPUTE_PGM_RSRC2:TGID_Z_EN: 1
; COMPUTE_PGM_RSRC2:TIDIG_COMP_CNT: 1
; COMPUTE_PGM_RSRC3_GFX90A:ACCUM_OFFSET: 0
; COMPUTE_PGM_RSRC3_GFX90A:TG_SPLIT: 0
	.section	.text._ZN9rocsolver6v33100L19stedc_divide_kernelIfEEviiiPT_lS3_liPi,"axG",@progbits,_ZN9rocsolver6v33100L19stedc_divide_kernelIfEEviiiPT_lS3_liPi,comdat
	.globl	_ZN9rocsolver6v33100L19stedc_divide_kernelIfEEviiiPT_lS3_liPi ; -- Begin function _ZN9rocsolver6v33100L19stedc_divide_kernelIfEEviiiPT_lS3_liPi
	.p2align	8
	.type	_ZN9rocsolver6v33100L19stedc_divide_kernelIfEEviiiPT_lS3_liPi,@function
_ZN9rocsolver6v33100L19stedc_divide_kernelIfEEviiiPT_lS3_liPi: ; @_ZN9rocsolver6v33100L19stedc_divide_kernelIfEEviiiPT_lS3_liPi
; %bb.0:
	s_load_dword s0, s[4:5], 0x4c
	s_load_dword s1, s[4:5], 0x30
	s_waitcnt lgkmcnt(0)
	s_and_b32 s0, s0, 0xffff
	s_mul_i32 s6, s6, s0
	v_add_u32_e32 v4, s6, v0
	v_cmp_gt_i32_e32 vcc, s1, v4
	s_and_saveexec_b64 s[0:1], vcc
	s_cbranch_execz .LBB26_10
; %bb.1:
	s_load_dwordx4 s[8:11], s[4:5], 0x0
	s_load_dwordx2 s[2:3], s[4:5], 0x38
	s_waitcnt lgkmcnt(0)
	s_mul_i32 s0, s10, 13
	v_mul_lo_u32 v0, s0, v4
	v_ashrrev_i32_e32 v1, 31, v0
	v_lshlrev_b64 v[2:3], 2, v[0:1]
	v_mov_b32_e32 v5, s3
	v_add_co_u32_e32 v0, vcc, s2, v2
	v_addc_co_u32_e64 v1, s[0:1], v5, v3, vcc
	v_mov_b32_e32 v2, s10
	s_cmp_lt_i32 s8, 1
	global_store_dword v[0:1], v2, off
	s_cbranch_scc1 .LBB26_7
; %bb.2:
	v_mov_b32_e32 v2, s3
	v_addc_co_u32_e32 v2, vcc, v3, v2, vcc
	v_add_co_u32_e32 v5, vcc, -4, v0
	v_addc_co_u32_e32 v6, vcc, -1, v2, vcc
	s_mov_b32 s1, 0
	s_mov_b32 s2, 0
	s_branch .LBB26_4
.LBB26_3:                               ;   in Loop: Header=BB26_4 Depth=1
	s_add_i32 s2, s2, 1
	s_cmp_eq_u32 s2, s8
	s_cbranch_scc1 .LBB26_7
.LBB26_4:                               ; =>This Loop Header: Depth=1
                                        ;     Child Loop BB26_6 Depth 2
	s_cmp_eq_u32 s2, 31
	s_cbranch_scc1 .LBB26_3
; %bb.5:                                ;   in Loop: Header=BB26_4 Depth=1
	s_lshl_b32 s0, 1, s2
	s_lshl_b64 s[6:7], s[0:1], 2
	v_mov_b32_e32 v3, s7
	v_add_co_u32_e32 v2, vcc, s6, v5
	s_add_i32 s3, s0, 1
	v_addc_co_u32_e32 v3, vcc, v6, v3, vcc
	s_lshl_b32 s0, s0, 1
.LBB26_6:                               ;   Parent Loop BB26_4 Depth=1
                                        ; =>  This Inner Loop Header: Depth=2
	global_load_dword v7, v[2:3], off
	v_add_co_u32_e32 v2, vcc, -4, v2
	s_lshl_b64 s[6:7], s[0:1], 2
	v_addc_co_u32_e32 v3, vcc, -1, v3, vcc
	s_add_i32 s3, s3, -1
	s_add_i32 s0, s0, -2
	v_mov_b32_e32 v9, s7
	v_add_co_u32_e32 v8, vcc, s6, v0
	s_cmp_lt_i32 s3, 2
	v_addc_co_u32_e32 v9, vcc, v1, v9, vcc
	s_waitcnt vmcnt(0)
	v_lshrrev_b32_e32 v10, 31, v7
	v_and_b32_e32 v11, 1, v7
	v_add_u32_e32 v7, v7, v10
	v_ashrrev_i32_e32 v10, 1, v7
	v_add_u32_e32 v11, v10, v11
	global_store_dwordx2 v[8:9], v[10:11], off offset:-8
	s_cbranch_scc0 .LBB26_6
	s_branch .LBB26_3
.LBB26_7:
	s_ashr_i32 s11, s10, 31
	s_lshl_b64 s[0:1], s[10:11], 2
	v_mov_b32_e32 v2, s1
	v_add_co_u32_e32 v6, vcc, s0, v0
	v_addc_co_u32_e32 v7, vcc, v1, v2, vcc
	v_mov_b32_e32 v2, 0
	s_cmp_lt_i32 s9, 2
	global_store_dword v[6:7], v2, off
	s_cbranch_scc1 .LBB26_10
; %bb.8:
	s_load_dwordx8 s[12:19], s[4:5], 0x10
	v_ashrrev_i32_e32 v3, 31, v4
	s_waitcnt lgkmcnt(0)
	v_mul_lo_u32 v5, v4, s15
	v_mul_lo_u32 v8, v3, s14
	v_mad_u64_u32 v[6:7], s[2:3], v4, s14, 0
	v_add3_u32 v7, v7, v5, v8
	v_lshlrev_b64 v[6:7], 2, v[6:7]
	v_mov_b32_e32 v8, s13
	v_add_co_u32_e32 v5, vcc, s12, v6
	v_addc_co_u32_e32 v6, vcc, v8, v7, vcc
	v_mul_lo_u32 v7, v4, s19
	v_mul_lo_u32 v3, v3, s18
	v_mad_u64_u32 v[8:9], s[2:3], v4, s18, 0
	v_add3_u32 v9, v9, v7, v3
	v_lshlrev_b64 v[8:9], 2, v[8:9]
	v_mov_b32_e32 v3, s17
	v_add_co_u32_e32 v4, vcc, s16, v8
	s_add_i32 s2, s9, -1
	v_addc_co_u32_e32 v3, vcc, v3, v9, vcc
	s_add_u32 s0, s0, 4
	v_add_co_u32_e32 v4, vcc, -4, v4
	s_addc_u32 s1, s1, 0
	v_addc_co_u32_e32 v7, vcc, -1, v3, vcc
	v_mov_b32_e32 v8, s1
.LBB26_9:                               ; =>This Inner Loop Header: Depth=1
	global_load_dword v3, v[0:1], off
	s_add_i32 s2, s2, -1
	s_cmp_lg_u32 s2, 0
	s_waitcnt vmcnt(0)
	v_add_u32_e32 v2, v3, v2
	v_ashrrev_i32_e32 v3, 31, v2
	v_lshlrev_b64 v[10:11], 2, v[2:3]
	v_add_co_u32_e32 v12, vcc, v4, v10
	v_addc_co_u32_e32 v13, vcc, v7, v11, vcc
	v_add_co_u32_e32 v10, vcc, v5, v10
	v_addc_co_u32_e32 v11, vcc, v6, v11, vcc
	global_load_dword v3, v[12:13], off
	global_load_dwordx2 v[14:15], v[10:11], off offset:-4
	v_add_co_u32_e32 v12, vcc, s0, v0
	v_addc_co_u32_e32 v13, vcc, v1, v8, vcc
	v_add_co_u32_e32 v0, vcc, 4, v0
	v_addc_co_u32_e32 v1, vcc, 0, v1, vcc
	global_store_dword v[12:13], v2, off
	s_waitcnt vmcnt(1)
	v_sub_f32_e32 v13, v15, v3
	v_sub_f32_e32 v12, v14, v3
	global_store_dwordx2 v[10:11], v[12:13], off offset:-4
	s_cbranch_scc1 .LBB26_9
.LBB26_10:
	s_endpgm
	.section	.rodata,"a",@progbits
	.p2align	6, 0x0
	.amdhsa_kernel _ZN9rocsolver6v33100L19stedc_divide_kernelIfEEviiiPT_lS3_liPi
		.amdhsa_group_segment_fixed_size 0
		.amdhsa_private_segment_fixed_size 0
		.amdhsa_kernarg_size 320
		.amdhsa_user_sgpr_count 6
		.amdhsa_user_sgpr_private_segment_buffer 1
		.amdhsa_user_sgpr_dispatch_ptr 0
		.amdhsa_user_sgpr_queue_ptr 0
		.amdhsa_user_sgpr_kernarg_segment_ptr 1
		.amdhsa_user_sgpr_dispatch_id 0
		.amdhsa_user_sgpr_flat_scratch_init 0
		.amdhsa_user_sgpr_kernarg_preload_length 0
		.amdhsa_user_sgpr_kernarg_preload_offset 0
		.amdhsa_user_sgpr_private_segment_size 0
		.amdhsa_uses_dynamic_stack 0
		.amdhsa_system_sgpr_private_segment_wavefront_offset 0
		.amdhsa_system_sgpr_workgroup_id_x 1
		.amdhsa_system_sgpr_workgroup_id_y 0
		.amdhsa_system_sgpr_workgroup_id_z 0
		.amdhsa_system_sgpr_workgroup_info 0
		.amdhsa_system_vgpr_workitem_id 0
		.amdhsa_next_free_vgpr 16
		.amdhsa_next_free_sgpr 20
		.amdhsa_accum_offset 16
		.amdhsa_reserve_vcc 1
		.amdhsa_reserve_flat_scratch 0
		.amdhsa_float_round_mode_32 0
		.amdhsa_float_round_mode_16_64 0
		.amdhsa_float_denorm_mode_32 3
		.amdhsa_float_denorm_mode_16_64 3
		.amdhsa_dx10_clamp 1
		.amdhsa_ieee_mode 1
		.amdhsa_fp16_overflow 0
		.amdhsa_tg_split 0
		.amdhsa_exception_fp_ieee_invalid_op 0
		.amdhsa_exception_fp_denorm_src 0
		.amdhsa_exception_fp_ieee_div_zero 0
		.amdhsa_exception_fp_ieee_overflow 0
		.amdhsa_exception_fp_ieee_underflow 0
		.amdhsa_exception_fp_ieee_inexact 0
		.amdhsa_exception_int_div_zero 0
	.end_amdhsa_kernel
	.section	.text._ZN9rocsolver6v33100L19stedc_divide_kernelIfEEviiiPT_lS3_liPi,"axG",@progbits,_ZN9rocsolver6v33100L19stedc_divide_kernelIfEEviiiPT_lS3_liPi,comdat
.Lfunc_end26:
	.size	_ZN9rocsolver6v33100L19stedc_divide_kernelIfEEviiiPT_lS3_liPi, .Lfunc_end26-_ZN9rocsolver6v33100L19stedc_divide_kernelIfEEviiiPT_lS3_liPi
                                        ; -- End function
	.section	.AMDGPU.csdata,"",@progbits
; Kernel info:
; codeLenInByte = 592
; NumSgprs: 24
; NumVgprs: 16
; NumAgprs: 0
; TotalNumVgprs: 16
; ScratchSize: 0
; MemoryBound: 0
; FloatMode: 240
; IeeeMode: 1
; LDSByteSize: 0 bytes/workgroup (compile time only)
; SGPRBlocks: 2
; VGPRBlocks: 1
; NumSGPRsForWavesPerEU: 24
; NumVGPRsForWavesPerEU: 16
; AccumOffset: 16
; Occupancy: 8
; WaveLimiterHint : 1
; COMPUTE_PGM_RSRC2:SCRATCH_EN: 0
; COMPUTE_PGM_RSRC2:USER_SGPR: 6
; COMPUTE_PGM_RSRC2:TRAP_HANDLER: 0
; COMPUTE_PGM_RSRC2:TGID_X_EN: 1
; COMPUTE_PGM_RSRC2:TGID_Y_EN: 0
; COMPUTE_PGM_RSRC2:TGID_Z_EN: 0
; COMPUTE_PGM_RSRC2:TIDIG_COMP_CNT: 0
; COMPUTE_PGM_RSRC3_GFX90A:ACCUM_OFFSET: 3
; COMPUTE_PGM_RSRC3_GFX90A:TG_SPLIT: 0
	.section	.text._ZN9rocsolver6v33100L18stedc_solve_kernelIfEEviiPT_lS3_lS3_iilPiS3_S4_S2_S2_S2_,"axG",@progbits,_ZN9rocsolver6v33100L18stedc_solve_kernelIfEEviiPT_lS3_lS3_iilPiS3_S4_S2_S2_S2_,comdat
	.globl	_ZN9rocsolver6v33100L18stedc_solve_kernelIfEEviiPT_lS3_lS3_iilPiS3_S4_S2_S2_S2_ ; -- Begin function _ZN9rocsolver6v33100L18stedc_solve_kernelIfEEviiPT_lS3_lS3_iilPiS3_S4_S2_S2_S2_
	.p2align	8
	.type	_ZN9rocsolver6v33100L18stedc_solve_kernelIfEEviiPT_lS3_lS3_iilPiS3_S4_S2_S2_S2_,@function
_ZN9rocsolver6v33100L18stedc_solve_kernelIfEEviiPT_lS3_lS3_iilPiS3_S4_S2_S2_S2_: ; @_ZN9rocsolver6v33100L18stedc_solve_kernelIfEEviiPT_lS3_lS3_iilPiS3_S4_S2_S2_S2_
; %bb.0:
	s_add_u32 flat_scratch_lo, s6, s10
	s_addc_u32 flat_scratch_hi, s7, 0
	s_add_u32 s0, s0, s10
	s_load_dword s10, s[4:5], 0x4
	s_load_dword s7, s[4:5], 0x74
	s_load_dwordx4 s[28:31], s[4:5], 0x28
	s_load_dwordx8 s[20:27], s[4:5], 0x8
	s_load_dwordx8 s[12:19], s[4:5], 0x38
	s_mov_b32 s6, s9
	s_addc_u32 s1, s1, 0
	s_waitcnt lgkmcnt(0)
	s_and_b32 s33, s7, 0xffff
	s_ashr_i32 s7, s9, 31
	s_mul_i32 s9, s9, s13
	s_mul_hi_u32 s13, s6, s12
	s_add_i32 s9, s13, s9
	s_mul_i32 s13, s7, s12
	s_add_i32 s13, s9, s13
	s_mul_i32 s12, s6, s12
	s_ashr_i32 s11, s10, 31
	s_ashr_i32 s35, s30, 31
	s_lshl_b64 s[12:13], s[12:13], 2
	s_mov_b32 s34, s30
	s_add_u32 s9, s28, s12
	s_addc_u32 s28, s29, s13
	s_lshl_b64 s[12:13], s[34:35], 2
	s_add_u32 s29, s9, s12
	s_mul_i32 s9, s6, s23
	s_mul_hi_u32 s12, s6, s22
	s_addc_u32 s28, s28, s13
	s_add_i32 s9, s12, s9
	s_mul_i32 s12, s7, s22
	s_add_i32 s13, s9, s12
	s_mul_i32 s12, s6, s22
	s_lshl_b64 s[12:13], s[12:13], 2
	s_add_u32 s20, s20, s12
	s_mul_i32 s9, s6, s27
	s_mul_hi_u32 s12, s6, s26
	s_addc_u32 s21, s21, s13
	s_add_i32 s9, s12, s9
	s_mul_i32 s12, s7, s26
	s_add_i32 s13, s9, s12
	s_mul_i32 s12, s6, s26
	s_lshl_b64 s[12:13], s[12:13], 2
	s_add_u32 s22, s24, s12
	s_addc_u32 s23, s25, s13
	s_lshl_b64 s[12:13], s[6:7], 2
	s_mul_i32 s9, s6, s10
	s_add_u32 s24, s14, s12
	s_mul_i32 s6, s9, 13
	s_addc_u32 s25, s15, s13
	s_ashr_i32 s7, s6, 31
	s_lshl_b64 s[6:7], s[6:7], 2
	s_add_u32 s12, s18, s6
	s_addc_u32 s13, s19, s7
	s_lshl_b64 s[6:7], s[10:11], 2
	s_lshl_b32 s10, s9, 1
	s_ashr_i32 s11, s10, 31
	s_lshl_b64 s[10:11], s[10:11], 2
	s_add_u32 s16, s16, s10
	s_addc_u32 s17, s17, s11
	s_ashr_i32 s9, s8, 31
	s_lshl_b64 s[8:9], s[8:9], 2
	s_add_u32 s8, s12, s8
	s_addc_u32 s9, s13, s9
	s_add_u32 s6, s8, s6
	s_addc_u32 s7, s9, s7
	s_load_dword s10, s[6:7], 0x0
	s_load_dwordx4 s[12:15], s[4:5], 0x58
                                        ; kill: killed $sgpr6 killed $sgpr7
	s_waitcnt lgkmcnt(0)
	s_load_dword s15, s[8:9], 0x0
                                        ; kill: killed $sgpr8 killed $sgpr9
	v_mov_b32_e32 v1, s33
	v_mov_b32_e32 v9, s31
	s_ashr_i32 s11, s10, 31
	s_lshl_b64 s[6:7], s[10:11], 2
	s_add_u32 s11, s20, s6
	s_addc_u32 s18, s21, s7
	s_add_u32 s19, s22, s6
	s_addc_u32 s20, s23, s7
	s_add_u32 s8, s29, s6
	s_mul_i32 s6, s10, s31
	s_addc_u32 s9, s28, s7
	s_ashr_i32 s7, s6, 31
	s_lshl_b64 s[6:7], s[6:7], 2
	s_add_u32 s21, s8, s6
	s_addc_u32 s22, s9, s7
	s_lshl_b32 s6, s10, 1
	s_ashr_i32 s7, s6, 31
	s_lshl_b64 s[6:7], s[6:7], 2
	s_add_u32 s6, s16, s6
	s_addc_u32 s7, s17, s7
	s_waitcnt lgkmcnt(0)
	s_mul_i32 s10, s15, 30
	s_add_u32 s8, s4, 0x68
	s_addc_u32 s9, s5, 0
	v_mov_b32_e32 v2, s15
	v_mov_b32_e32 v3, s11
	;; [unrolled: 1-line block ×16, first 2 shown]
	s_mov_b32 s32, 0
	s_getpc_b64 s[4:5]
	s_add_u32 s4, s4, _ZN9rocsolver6v331009run_steqrIffEEviiiPT0_S3_PT_iPiS3_iS2_S2_S2_b@rel32@lo+4
	s_addc_u32 s5, s5, _ZN9rocsolver6v331009run_steqrIffEEviiiPT0_S3_PT_iPiS3_iS2_S2_S2_b@rel32@hi+12
	s_swappc_b64 s[30:31], s[4:5]
	s_endpgm
	.section	.rodata,"a",@progbits
	.p2align	6, 0x0
	.amdhsa_kernel _ZN9rocsolver6v33100L18stedc_solve_kernelIfEEviiPT_lS3_lS3_iilPiS3_S4_S2_S2_S2_
		.amdhsa_group_segment_fixed_size 36
		.amdhsa_private_segment_fixed_size 80
		.amdhsa_kernarg_size 360
		.amdhsa_user_sgpr_count 8
		.amdhsa_user_sgpr_private_segment_buffer 1
		.amdhsa_user_sgpr_dispatch_ptr 0
		.amdhsa_user_sgpr_queue_ptr 0
		.amdhsa_user_sgpr_kernarg_segment_ptr 1
		.amdhsa_user_sgpr_dispatch_id 0
		.amdhsa_user_sgpr_flat_scratch_init 1
		.amdhsa_user_sgpr_kernarg_preload_length 0
		.amdhsa_user_sgpr_kernarg_preload_offset 0
		.amdhsa_user_sgpr_private_segment_size 0
		.amdhsa_uses_dynamic_stack 0
		.amdhsa_system_sgpr_private_segment_wavefront_offset 1
		.amdhsa_system_sgpr_workgroup_id_x 1
		.amdhsa_system_sgpr_workgroup_id_y 1
		.amdhsa_system_sgpr_workgroup_id_z 0
		.amdhsa_system_sgpr_workgroup_info 0
		.amdhsa_system_vgpr_workitem_id 0
		.amdhsa_next_free_vgpr 100
		.amdhsa_next_free_sgpr 49
		.amdhsa_accum_offset 64
		.amdhsa_reserve_vcc 1
		.amdhsa_reserve_flat_scratch 1
		.amdhsa_float_round_mode_32 0
		.amdhsa_float_round_mode_16_64 0
		.amdhsa_float_denorm_mode_32 3
		.amdhsa_float_denorm_mode_16_64 3
		.amdhsa_dx10_clamp 1
		.amdhsa_ieee_mode 1
		.amdhsa_fp16_overflow 0
		.amdhsa_tg_split 0
		.amdhsa_exception_fp_ieee_invalid_op 0
		.amdhsa_exception_fp_denorm_src 0
		.amdhsa_exception_fp_ieee_div_zero 0
		.amdhsa_exception_fp_ieee_overflow 0
		.amdhsa_exception_fp_ieee_underflow 0
		.amdhsa_exception_fp_ieee_inexact 0
		.amdhsa_exception_int_div_zero 0
	.end_amdhsa_kernel
	.section	.text._ZN9rocsolver6v33100L18stedc_solve_kernelIfEEviiPT_lS3_lS3_iilPiS3_S4_S2_S2_S2_,"axG",@progbits,_ZN9rocsolver6v33100L18stedc_solve_kernelIfEEviiPT_lS3_lS3_iilPiS3_S4_S2_S2_S2_,comdat
.Lfunc_end27:
	.size	_ZN9rocsolver6v33100L18stedc_solve_kernelIfEEviiPT_lS3_lS3_iilPiS3_S4_S2_S2_S2_, .Lfunc_end27-_ZN9rocsolver6v33100L18stedc_solve_kernelIfEEviiPT_lS3_lS3_iilPiS3_S4_S2_S2_S2_
                                        ; -- End function
	.section	.AMDGPU.csdata,"",@progbits
; Kernel info:
; codeLenInByte = 516
; NumSgprs: 55
; NumVgprs: 64
; NumAgprs: 36
; TotalNumVgprs: 100
; ScratchSize: 80
; MemoryBound: 0
; FloatMode: 240
; IeeeMode: 1
; LDSByteSize: 36 bytes/workgroup (compile time only)
; SGPRBlocks: 6
; VGPRBlocks: 12
; NumSGPRsForWavesPerEU: 55
; NumVGPRsForWavesPerEU: 100
; AccumOffset: 64
; Occupancy: 4
; WaveLimiterHint : 0
; COMPUTE_PGM_RSRC2:SCRATCH_EN: 1
; COMPUTE_PGM_RSRC2:USER_SGPR: 8
; COMPUTE_PGM_RSRC2:TRAP_HANDLER: 0
; COMPUTE_PGM_RSRC2:TGID_X_EN: 1
; COMPUTE_PGM_RSRC2:TGID_Y_EN: 1
; COMPUTE_PGM_RSRC2:TGID_Z_EN: 0
; COMPUTE_PGM_RSRC2:TIDIG_COMP_CNT: 0
; COMPUTE_PGM_RSRC3_GFX90A:ACCUM_OFFSET: 15
; COMPUTE_PGM_RSRC3_GFX90A:TG_SPLIT: 0
	.section	.text._ZN9rocsolver6v33100L37stedc_mergePrepare_DeflateZero_kernelIfEEviiPT_lS3_lS3_iilS3_PiS2_,"axG",@progbits,_ZN9rocsolver6v33100L37stedc_mergePrepare_DeflateZero_kernelIfEEviiPT_lS3_lS3_iilS3_PiS2_,comdat
	.globl	_ZN9rocsolver6v33100L37stedc_mergePrepare_DeflateZero_kernelIfEEviiPT_lS3_lS3_iilS3_PiS2_ ; -- Begin function _ZN9rocsolver6v33100L37stedc_mergePrepare_DeflateZero_kernelIfEEviiPT_lS3_lS3_iilS3_PiS2_
	.p2align	8
	.type	_ZN9rocsolver6v33100L37stedc_mergePrepare_DeflateZero_kernelIfEEviiPT_lS3_lS3_iilS3_PiS2_,@function
_ZN9rocsolver6v33100L37stedc_mergePrepare_DeflateZero_kernelIfEEviiPT_lS3_lS3_iilS3_PiS2_: ; @_ZN9rocsolver6v33100L37stedc_mergePrepare_DeflateZero_kernelIfEEviiPT_lS3_lS3_iilS3_PiS2_
; %bb.0:
	s_load_dword s20, s[4:5], 0x4
	s_load_dwordx8 s[8:15], s[4:5], 0x8
	s_load_dwordx4 s[16:19], s[4:5], 0x38
	s_ashr_i32 s36, s7, 31
	s_load_dwordx2 s[0:1], s[4:5], 0x48
	s_waitcnt lgkmcnt(0)
	s_ashr_i32 s21, s20, 31
	s_mul_i32 s2, s7, s15
	s_mul_hi_u32 s3, s7, s14
	s_add_i32 s2, s3, s2
	s_mul_i32 s3, s36, s14
	s_add_i32 s3, s2, s3
	s_mul_i32 s2, s7, s14
	s_lshl_b64 s[2:3], s[2:3], 2
	s_add_u32 s22, s12, s2
	s_mul_i32 s12, s7, s20
	s_mul_i32 s2, s12, 13
	s_addc_u32 s23, s13, s3
	s_ashr_i32 s3, s2, 31
	s_lshl_b64 s[2:3], s[2:3], 2
	s_add_u32 s2, s0, s2
	s_addc_u32 s3, s1, s3
	s_lshl_b32 s0, s20, 3
	s_ashr_i32 s1, s0, 31
	s_lshl_b64 s[0:1], s[0:1], 2
	s_add_u32 s30, s2, s0
	s_addc_u32 s31, s3, s1
	s_mul_i32 s1, s20, 0xffffffe8
	s_mul_hi_i32 s0, s20, 0xffffffe8
	s_add_u32 s2, s30, s1
	s_addc_u32 s3, s31, s0
	s_mul_i32 s0, s12, 10
	s_ashr_i32 s1, s0, 31
	s_lshl_b64 s[14:15], s[20:21], 2
	s_lshl_b64 s[0:1], s[0:1], 2
	s_add_u32 s21, s18, s0
	s_mul_i32 s0, s20, 9
	s_addc_u32 s33, s19, s1
	s_ashr_i32 s1, s0, 31
	s_lshl_b64 s[0:1], s[0:1], 2
	s_add_u32 s34, s21, s0
	s_addc_u32 s35, s33, s1
	s_lshl_b32 s0, s6, 1
	s_ashr_i32 s1, s0, 31
	s_lshl_b64 s[0:1], s[0:1], 2
	s_add_u32 s0, s2, s0
	s_addc_u32 s1, s3, s1
	s_add_u32 s2, s0, s14
	s_addc_u32 s3, s1, s15
	s_load_dwordx2 s[12:13], s[2:3], 0x0
	s_waitcnt lgkmcnt(0)
	s_ashr_i32 s19, s13, 31
	s_mov_b32 s18, s13
	s_lshl_b64 s[2:3], s[18:19], 2
	s_add_u32 s2, s22, s2
	s_addc_u32 s3, s23, s3
	s_add_u32 s2, s2, -4
	s_addc_u32 s3, s3, -1
	s_load_dword s6, s[2:3], 0x0
	s_load_dwordx2 s[22:23], s[0:1], 0x0
	s_load_dwordx2 s[26:27], s[4:5], 0x28
	s_waitcnt lgkmcnt(0)
	v_add_f32_e64 v1, s6, s6
	s_add_i32 s13, s23, s22
	v_cmp_le_i32_e64 s[2:3], s13, v0
	v_cmp_gt_i32_e64 s[0:1], s13, v0
	s_and_saveexec_b64 s[24:25], s[0:1]
	s_cbranch_execz .LBB28_3
; %bb.1:
	s_load_dword s6, s[4:5], 0x64
	s_mov_b64 s[28:29], 0
	v_mov_b32_e32 v2, s35
	v_mov_b32_e32 v3, v0
	s_waitcnt lgkmcnt(0)
	s_and_b32 s6, s6, 0xffff
.LBB28_2:                               ; =>This Inner Loop Header: Depth=1
	v_add_u32_e32 v4, s12, v3
	v_add_u32_e32 v3, s6, v3
	v_ashrrev_i32_e32 v5, 31, v4
	v_cmp_le_i32_e32 vcc, s13, v3
	v_lshlrev_b64 v[4:5], 2, v[4:5]
	s_or_b64 s[28:29], vcc, s[28:29]
	v_add_co_u32_e32 v4, vcc, s34, v4
	v_addc_co_u32_e32 v5, vcc, v2, v5, vcc
	global_store_dword v[4:5], v1, off
	s_andn2_b64 exec, exec, s[28:29]
	s_cbranch_execnz .LBB28_2
.LBB28_3:
	s_or_b64 exec, exec, s[24:25]
	s_load_dwordx2 s[24:25], s[4:5], 0x30
	s_mul_i32 s6, s7, s17
	s_mul_hi_u32 s17, s7, s16
	s_add_i32 s6, s17, s6
	s_mul_i32 s17, s36, s16
	s_add_i32 s17, s6, s17
	s_mul_i32 s16, s7, s16
	s_waitcnt lgkmcnt(0)
	s_ashr_i32 s29, s24, 31
	s_lshl_b64 s[16:17], s[16:17], 2
	s_mov_b32 s28, s24
	s_add_u32 s6, s26, s16
	s_addc_u32 s24, s27, s17
	s_lshl_b64 s[16:17], s[28:29], 2
	s_add_u32 s6, s6, s16
	s_addc_u32 s37, s24, s17
	v_cmp_gt_i32_e32 vcc, s22, v0
	v_mov_b32_e32 v4, 0
	s_and_saveexec_b64 s[16:17], vcc
	s_cbranch_execz .LBB28_7
; %bb.4:
	s_load_dword s24, s[4:5], 0x64
	v_add_u32_e32 v2, s12, v0
	s_mov_b64 s[26:27], 0
	v_mul_lo_u32 v2, s25, v2
	v_mov_b32_e32 v4, 0
	s_waitcnt lgkmcnt(0)
	s_and_b32 s24, s24, 0xffff
	s_add_u32 s38, s6, -4
	s_addc_u32 s28, s37, -1
	v_mov_b32_e32 v5, s28
	s_mov_b32 s28, 0x667f3bcd
	s_mul_i32 s39, s25, s24
	v_mov_b32_e32 v3, s19
	s_mov_b32 s29, 0x3ff6a09e
	v_mov_b32_e32 v6, s33
	v_mov_b32_e32 v7, v0
.LBB28_5:                               ; =>This Inner Loop Header: Depth=1
	v_ashrrev_i32_e32 v9, 31, v2
	v_add_co_u32_e32 v8, vcc, s18, v2
	v_addc_co_u32_e32 v9, vcc, v9, v3, vcc
	v_lshlrev_b64 v[8:9], 2, v[8:9]
	v_add_co_u32_e32 v8, vcc, s38, v8
	v_addc_co_u32_e32 v9, vcc, v5, v9, vcc
	global_load_dword v10, v[8:9], off
	v_add_u32_e32 v8, s12, v7
	v_add_u32_e32 v7, s24, v7
	v_ashrrev_i32_e32 v9, 31, v8
	v_cmp_le_i32_e32 vcc, s22, v7
	v_lshlrev_b64 v[8:9], 2, v[8:9]
	s_or_b64 s[26:27], vcc, s[26:27]
	v_add_co_u32_e32 v8, vcc, s21, v8
	v_addc_co_u32_e32 v9, vcc, v6, v9, vcc
	v_add_u32_e32 v2, s39, v2
	s_waitcnt vmcnt(0)
	v_cvt_f64_f32_e32 v[10:11], v10
	v_div_scale_f64 v[12:13], s[40:41], s[28:29], s[28:29], v[10:11]
	v_rcp_f64_e32 v[16:17], v[12:13]
	v_div_scale_f64 v[14:15], vcc, v[10:11], s[28:29], v[10:11]
	v_fma_f64 v[18:19], -v[12:13], v[16:17], 1.0
	v_fmac_f64_e32 v[16:17], v[16:17], v[18:19]
	v_fma_f64 v[18:19], -v[12:13], v[16:17], 1.0
	v_fmac_f64_e32 v[16:17], v[16:17], v[18:19]
	v_mul_f64 v[18:19], v[14:15], v[16:17]
	v_fma_f64 v[12:13], -v[12:13], v[18:19], v[14:15]
	v_div_fmas_f64 v[12:13], v[12:13], v[16:17], v[18:19]
	v_div_fixup_f64 v[10:11], v[12:13], s[28:29], v[10:11]
	v_cvt_f32_f64_e32 v10, v[10:11]
	v_cmp_lt_f32_e64 s[40:41], v4, |v10|
	v_cndmask_b32_e64 v4, v4, |v10|, s[40:41]
	global_store_dword v[8:9], v10, off
	s_andn2_b64 exec, exec, s[26:27]
	s_cbranch_execnz .LBB28_5
; %bb.6:
	s_or_b64 exec, exec, s[26:27]
.LBB28_7:
	s_or_b64 exec, exec, s[16:17]
	v_cmp_le_i32_e32 vcc, s23, v0
                                        ; implicit-def: $sgpr26_sgpr27
	s_and_saveexec_b64 s[16:17], vcc
	s_xor_b64 s[16:17], exec, s[16:17]
	s_cbranch_execz .LBB28_11
; %bb.8:
	s_add_u32 s26, s4, 0x58
	s_addc_u32 s27, s5, 0
	s_or_saveexec_b64 s[16:17], s[16:17]
	v_pk_mov_b32 v[2:3], s[26:27], s[26:27] op_sel:[0,1]
	s_xor_b64 exec, exec, s[16:17]
	s_cbranch_execnz .LBB28_12
.LBB28_9:
	s_or_b64 exec, exec, s[16:17]
                                        ; implicit-def: $sgpr6
                                        ; implicit-def: $vgpr7
                                        ; implicit-def: $vgpr5
	s_and_saveexec_b64 s[16:17], s[2:3]
	s_xor_b64 s[2:3], exec, s[16:17]
	s_cbranch_execz .LBB28_15
.LBB28_10:
	global_load_ushort v7, v[2:3], off offset:12
	s_mov_b32 s6, 0
                                        ; implicit-def: $vgpr2_vgpr3
	s_waitcnt vmcnt(0)
	v_and_b32_e32 v5, 0xffff, v7
	s_or_saveexec_b64 s[2:3], s[2:3]
	v_mov_b32_e32 v6, s6
	s_xor_b64 exec, exec, s[2:3]
	s_cbranch_execz .LBB28_19
	s_branch .LBB28_16
.LBB28_11:
	s_or_saveexec_b64 s[16:17], s[16:17]
	v_pk_mov_b32 v[2:3], s[26:27], s[26:27] op_sel:[0,1]
	s_xor_b64 exec, exec, s[16:17]
	s_cbranch_execz .LBB28_9
.LBB28_12:
	s_load_dword s19, s[4:5], 0x64
	s_add_u32 s26, s4, 0x58
	v_add_u32_e32 v2, s18, v0
	s_addc_u32 s27, s5, 0
	s_mov_b32 s28, 0x667f3bcd
	s_waitcnt lgkmcnt(0)
	s_and_b32 s19, s19, 0xffff
	v_mul_lo_u32 v2, s25, v2
	s_mul_i32 s22, s25, s19
	s_mov_b64 s[24:25], 0
	v_mov_b32_e32 v3, s37
	s_mov_b32 s29, 0x3ff6a09e
	v_mov_b32_e32 v5, s33
	v_mov_b32_e32 v6, v0
.LBB28_13:                              ; =>This Inner Loop Header: Depth=1
	v_add_u32_e32 v8, s18, v2
	v_ashrrev_i32_e32 v9, 31, v8
	v_lshlrev_b64 v[8:9], 2, v[8:9]
	v_add_co_u32_e32 v8, vcc, s6, v8
	v_addc_co_u32_e32 v9, vcc, v3, v9, vcc
	global_load_dword v7, v[8:9], off
	v_add_u32_e32 v8, s18, v6
	v_add_u32_e32 v6, s19, v6
	v_ashrrev_i32_e32 v9, 31, v8
	v_cmp_le_i32_e32 vcc, s23, v6
	v_lshlrev_b64 v[8:9], 2, v[8:9]
	s_or_b64 s[24:25], vcc, s[24:25]
	v_add_co_u32_e32 v8, vcc, s21, v8
	v_addc_co_u32_e32 v9, vcc, v5, v9, vcc
	v_add_u32_e32 v2, s22, v2
	s_waitcnt vmcnt(0)
	v_cvt_f64_f32_e32 v[10:11], v7
	v_div_scale_f64 v[12:13], s[38:39], s[28:29], s[28:29], v[10:11]
	v_rcp_f64_e32 v[16:17], v[12:13]
	v_div_scale_f64 v[14:15], vcc, v[10:11], s[28:29], v[10:11]
	v_fma_f64 v[18:19], -v[12:13], v[16:17], 1.0
	v_fmac_f64_e32 v[16:17], v[16:17], v[18:19]
	v_fma_f64 v[18:19], -v[12:13], v[16:17], 1.0
	v_fmac_f64_e32 v[16:17], v[16:17], v[18:19]
	v_mul_f64 v[18:19], v[14:15], v[16:17]
	v_fma_f64 v[12:13], -v[12:13], v[18:19], v[14:15]
	v_div_fmas_f64 v[12:13], v[12:13], v[16:17], v[18:19]
	v_div_fixup_f64 v[10:11], v[12:13], s[28:29], v[10:11]
	v_cvt_f32_f64_e32 v7, v[10:11]
	v_cmp_lt_f32_e64 s[38:39], v4, |v7|
	v_cndmask_b32_e64 v4, v4, |v7|, s[38:39]
	global_store_dword v[8:9], v7, off
	s_andn2_b64 exec, exec, s[24:25]
	s_cbranch_execnz .LBB28_13
; %bb.14:
	s_or_b64 exec, exec, s[24:25]
	v_pk_mov_b32 v[2:3], s[26:27], s[26:27] op_sel:[0,1]
	s_or_b64 exec, exec, s[16:17]
                                        ; implicit-def: $sgpr6
                                        ; implicit-def: $vgpr7
                                        ; implicit-def: $vgpr5
	s_and_saveexec_b64 s[16:17], s[2:3]
	s_xor_b64 s[2:3], exec, s[16:17]
	s_cbranch_execnz .LBB28_10
.LBB28_15:
	s_or_saveexec_b64 s[2:3], s[2:3]
	v_mov_b32_e32 v6, s6
	s_xor_b64 exec, exec, s[2:3]
	s_cbranch_execz .LBB28_19
.LBB28_16:
	global_load_ushort v7, v[2:3], off offset:12
	s_mul_i32 s11, s7, s11
	s_mul_hi_u32 s16, s7, s10
	s_mul_i32 s17, s36, s10
	s_add_i32 s11, s16, s11
	s_mul_i32 s10, s7, s10
	s_add_i32 s11, s11, s17
	s_lshl_b64 s[10:11], s[10:11], 2
	s_add_u32 s8, s8, s10
	s_addc_u32 s9, s9, s11
	s_mov_b64 s[6:7], 0
	v_mov_b32_e32 v6, 0
	v_mov_b32_e32 v2, s9
	;; [unrolled: 1-line block ×3, first 2 shown]
	s_waitcnt vmcnt(0)
	v_and_b32_e32 v5, 0xffff, v7
.LBB28_17:                              ; =>This Inner Loop Header: Depth=1
	v_add_u32_e32 v8, s12, v3
	v_ashrrev_i32_e32 v9, 31, v8
	v_lshlrev_b64 v[8:9], 2, v[8:9]
	v_add_co_u32_e32 v8, vcc, s8, v8
	v_addc_co_u32_e32 v9, vcc, v2, v9, vcc
	global_load_dword v8, v[8:9], off
	v_add_u32_e32 v3, v3, v5
	v_cmp_le_i32_e32 vcc, s13, v3
	s_or_b64 s[6:7], vcc, s[6:7]
	s_waitcnt vmcnt(0)
	v_cmp_lt_f32_e64 s[10:11], v6, |v8|
	v_cndmask_b32_e64 v6, v6, |v8|, s[10:11]
	s_andn2_b64 exec, exec, s[6:7]
	s_cbranch_execnz .LBB28_17
; %bb.18:
	s_or_b64 exec, exec, s[6:7]
.LBB28_19:
	s_or_b64 exec, exec, s[2:3]
	v_lshlrev_b32_e32 v2, 2, v0
	v_cmp_lt_u16_e32 vcc, 1, v7
	ds_write2st64_b32 v2, v6, v4 offset1:8
	s_waitcnt lgkmcnt(0)
	s_barrier
	s_and_saveexec_b64 s[2:3], vcc
	s_cbranch_execz .LBB28_24
; %bb.20:
	v_or_b32_e32 v3, 0x800, v2
	s_mov_b64 s[6:7], 0
	v_mov_b32_e32 v7, v5
	s_branch .LBB28_22
.LBB28_21:                              ;   in Loop: Header=BB28_22 Depth=1
	s_or_b64 exec, exec, s[8:9]
	v_cmp_gt_u32_e32 vcc, 4, v7
	s_or_b64 s[6:7], vcc, s[6:7]
	v_mov_b32_e32 v7, v8
	s_waitcnt lgkmcnt(0)
	s_barrier
	s_andn2_b64 exec, exec, s[6:7]
	s_cbranch_execz .LBB28_24
.LBB28_22:                              ; =>This Inner Loop Header: Depth=1
	v_lshrrev_b32_e32 v8, 1, v7
	v_cmp_lt_u32_e32 vcc, v0, v8
	s_and_saveexec_b64 s[8:9], vcc
	s_cbranch_execz .LBB28_21
; %bb.23:                               ;   in Loop: Header=BB28_22 Depth=1
	v_lshlrev_b32_e32 v9, 2, v8
	v_add_u32_e32 v10, v2, v9
	ds_read_b32 v10, v10
	v_add_u32_e32 v9, v3, v9
	ds_read_b32 v9, v9
	s_waitcnt lgkmcnt(1)
	v_cmp_lt_f32_e32 vcc, v6, v10
	v_cndmask_b32_e32 v6, v6, v10, vcc
	s_waitcnt lgkmcnt(0)
	v_cmp_lt_f32_e32 vcc, v4, v9
	v_cndmask_b32_e32 v4, v4, v9, vcc
	ds_write_b32 v2, v6
	ds_write_b32 v3, v4
	s_branch .LBB28_21
.LBB28_24:
	s_or_b64 exec, exec, s[2:3]
	s_and_saveexec_b64 s[2:3], s[0:1]
	s_cbranch_execz .LBB28_29
; %bb.25:
	s_load_dword s0, s[4:5], 0x50
	v_mov_b32_e32 v2, 0
	ds_read2st64_b32 v[2:3], v2 offset1:8
	v_mov_b32_e32 v4, 0x41000000
	s_mul_i32 s1, s20, 0xffffffec
	s_waitcnt lgkmcnt(0)
	v_mul_f32_e32 v4, s0, v4
	s_mul_hi_i32 s0, s20, 0xffffffec
	s_add_u32 s2, s34, s1
	s_addc_u32 s4, s35, s0
	v_cmp_lt_f32_e32 vcc, v2, v3
	s_add_u32 s3, s2, s14
	v_cndmask_b32_e32 v2, v2, v3, vcc
	s_addc_u32 s5, s4, s15
	v_mul_f32_e32 v2, v4, v2
	s_mov_b64 s[0:1], 0
	v_mov_b32_e32 v3, s4
	v_mov_b32_e32 v4, s5
	;; [unrolled: 1-line block ×3, first 2 shown]
.LBB28_26:                              ; =>This Inner Loop Header: Depth=1
	v_add_u32_e32 v8, s12, v6
	v_add_u32_e32 v6, v6, v5
	v_ashrrev_i32_e32 v9, 31, v8
	v_cmp_le_i32_e32 vcc, s13, v6
	v_lshlrev_b64 v[8:9], 2, v[8:9]
	s_or_b64 s[0:1], vcc, s[0:1]
	v_add_co_u32_e32 v10, vcc, s2, v8
	v_addc_co_u32_e32 v11, vcc, v3, v9, vcc
	v_add_co_u32_e32 v8, vcc, s3, v8
	v_addc_co_u32_e32 v9, vcc, v4, v9, vcc
	global_store_dword v[10:11], v2, off
	global_store_dword v[8:9], v2, off
	s_andn2_b64 exec, exec, s[0:1]
	s_cbranch_execnz .LBB28_26
; %bb.27:
	s_or_b64 exec, exec, s[0:1]
	s_mov_b64 s[0:1], 0
	v_mov_b32_e32 v3, s33
	v_mov_b32_e32 v4, s31
.LBB28_28:                              ; =>This Inner Loop Header: Depth=1
	v_add_u32_e32 v6, s12, v0
	v_ashrrev_i32_e32 v7, 31, v6
	v_lshlrev_b64 v[6:7], 2, v[6:7]
	v_add_co_u32_e32 v8, vcc, s21, v6
	v_addc_co_u32_e32 v9, vcc, v3, v7, vcc
	global_load_dword v8, v[8:9], off
	v_add_u32_e32 v0, v0, v5
	v_cmp_le_i32_e32 vcc, s13, v0
	s_or_b64 s[0:1], vcc, s[0:1]
	v_add_co_u32_e32 v6, vcc, s30, v6
	v_addc_co_u32_e32 v7, vcc, v4, v7, vcc
	s_waitcnt vmcnt(0)
	v_mul_f32_e32 v8, v1, v8
	v_cmp_nle_f32_e64 s[2:3], |v8|, v2
	v_cndmask_b32_e64 v8, 0, 1, s[2:3]
	global_store_dword v[6:7], v8, off
	s_andn2_b64 exec, exec, s[0:1]
	s_cbranch_execnz .LBB28_28
.LBB28_29:
	s_endpgm
	.section	.rodata,"a",@progbits
	.p2align	6, 0x0
	.amdhsa_kernel _ZN9rocsolver6v33100L37stedc_mergePrepare_DeflateZero_kernelIfEEviiPT_lS3_lS3_iilS3_PiS2_
		.amdhsa_group_segment_fixed_size 4096
		.amdhsa_private_segment_fixed_size 0
		.amdhsa_kernarg_size 344
		.amdhsa_user_sgpr_count 6
		.amdhsa_user_sgpr_private_segment_buffer 1
		.amdhsa_user_sgpr_dispatch_ptr 0
		.amdhsa_user_sgpr_queue_ptr 0
		.amdhsa_user_sgpr_kernarg_segment_ptr 1
		.amdhsa_user_sgpr_dispatch_id 0
		.amdhsa_user_sgpr_flat_scratch_init 0
		.amdhsa_user_sgpr_kernarg_preload_length 0
		.amdhsa_user_sgpr_kernarg_preload_offset 0
		.amdhsa_user_sgpr_private_segment_size 0
		.amdhsa_uses_dynamic_stack 0
		.amdhsa_system_sgpr_private_segment_wavefront_offset 0
		.amdhsa_system_sgpr_workgroup_id_x 1
		.amdhsa_system_sgpr_workgroup_id_y 1
		.amdhsa_system_sgpr_workgroup_id_z 0
		.amdhsa_system_sgpr_workgroup_info 0
		.amdhsa_system_vgpr_workitem_id 0
		.amdhsa_next_free_vgpr 20
		.amdhsa_next_free_sgpr 42
		.amdhsa_accum_offset 20
		.amdhsa_reserve_vcc 1
		.amdhsa_reserve_flat_scratch 0
		.amdhsa_float_round_mode_32 0
		.amdhsa_float_round_mode_16_64 0
		.amdhsa_float_denorm_mode_32 3
		.amdhsa_float_denorm_mode_16_64 3
		.amdhsa_dx10_clamp 1
		.amdhsa_ieee_mode 1
		.amdhsa_fp16_overflow 0
		.amdhsa_tg_split 0
		.amdhsa_exception_fp_ieee_invalid_op 0
		.amdhsa_exception_fp_denorm_src 0
		.amdhsa_exception_fp_ieee_div_zero 0
		.amdhsa_exception_fp_ieee_overflow 0
		.amdhsa_exception_fp_ieee_underflow 0
		.amdhsa_exception_fp_ieee_inexact 0
		.amdhsa_exception_int_div_zero 0
	.end_amdhsa_kernel
	.section	.text._ZN9rocsolver6v33100L37stedc_mergePrepare_DeflateZero_kernelIfEEviiPT_lS3_lS3_iilS3_PiS2_,"axG",@progbits,_ZN9rocsolver6v33100L37stedc_mergePrepare_DeflateZero_kernelIfEEviiPT_lS3_lS3_iilS3_PiS2_,comdat
.Lfunc_end28:
	.size	_ZN9rocsolver6v33100L37stedc_mergePrepare_DeflateZero_kernelIfEEviiPT_lS3_lS3_iilS3_PiS2_, .Lfunc_end28-_ZN9rocsolver6v33100L37stedc_mergePrepare_DeflateZero_kernelIfEEviiPT_lS3_lS3_iilS3_PiS2_
                                        ; -- End function
	.section	.AMDGPU.csdata,"",@progbits
; Kernel info:
; codeLenInByte = 1840
; NumSgprs: 46
; NumVgprs: 20
; NumAgprs: 0
; TotalNumVgprs: 20
; ScratchSize: 0
; MemoryBound: 0
; FloatMode: 240
; IeeeMode: 1
; LDSByteSize: 4096 bytes/workgroup (compile time only)
; SGPRBlocks: 5
; VGPRBlocks: 2
; NumSGPRsForWavesPerEU: 46
; NumVGPRsForWavesPerEU: 20
; AccumOffset: 20
; Occupancy: 8
; WaveLimiterHint : 1
; COMPUTE_PGM_RSRC2:SCRATCH_EN: 0
; COMPUTE_PGM_RSRC2:USER_SGPR: 6
; COMPUTE_PGM_RSRC2:TRAP_HANDLER: 0
; COMPUTE_PGM_RSRC2:TGID_X_EN: 1
; COMPUTE_PGM_RSRC2:TGID_Y_EN: 1
; COMPUTE_PGM_RSRC2:TGID_Z_EN: 0
; COMPUTE_PGM_RSRC2:TIDIG_COMP_CNT: 0
; COMPUTE_PGM_RSRC3_GFX90A:ACCUM_OFFSET: 4
; COMPUTE_PGM_RSRC3_GFX90A:TG_SPLIT: 0
	.section	.text._ZN9rocsolver6v33100L31stedc_mergePrepare_SortD_kernelIfEEviiPT_lS3_Pi,"axG",@progbits,_ZN9rocsolver6v33100L31stedc_mergePrepare_SortD_kernelIfEEviiPT_lS3_Pi,comdat
	.globl	_ZN9rocsolver6v33100L31stedc_mergePrepare_SortD_kernelIfEEviiPT_lS3_Pi ; -- Begin function _ZN9rocsolver6v33100L31stedc_mergePrepare_SortD_kernelIfEEviiPT_lS3_Pi
	.p2align	8
	.type	_ZN9rocsolver6v33100L31stedc_mergePrepare_SortD_kernelIfEEviiPT_lS3_Pi,@function
_ZN9rocsolver6v33100L31stedc_mergePrepare_SortD_kernelIfEEviiPT_lS3_Pi: ; @_ZN9rocsolver6v33100L31stedc_mergePrepare_SortD_kernelIfEEviiPT_lS3_Pi
; %bb.0:
	s_load_dword s24, s[4:5], 0x4
	s_load_dwordx8 s[16:23], s[4:5], 0x8
	s_load_dword s8, s[4:5], 0x34
	s_ashr_i32 s0, s7, 31
	v_mov_b32_e32 v2, 0
	s_waitcnt lgkmcnt(0)
	s_ashr_i32 s25, s24, 31
	s_mul_i32 s1, s7, s19
	s_mul_hi_u32 s2, s7, s18
	s_add_i32 s1, s2, s1
	s_mul_i32 s0, s0, s18
	s_add_i32 s1, s1, s0
	s_mul_i32 s0, s7, s18
	s_lshl_b64 s[0:1], s[0:1], 2
	s_mul_i32 s34, s7, s24
	s_add_u32 s37, s16, s0
	s_mul_i32 s0, s34, 13
	s_addc_u32 s38, s17, s1
	s_ashr_i32 s1, s0, 31
	s_lshl_b64 s[0:1], s[0:1], 2
	s_add_u32 s2, s22, s0
	s_addc_u32 s3, s23, s1
	s_lshl_b32 s0, s24, 3
	s_ashr_i32 s1, s0, 31
	s_lshl_b64 s[0:1], s[0:1], 2
	s_add_u32 s39, s2, s0
	s_addc_u32 s40, s3, s1
	s_lshl_b64 s[0:1], s[24:25], 2
	s_sub_u32 s25, s39, s0
	s_subb_u32 s30, s40, s1
	s_mul_i32 s3, s24, 12
	s_mul_hi_i32 s2, s24, 12
	s_add_u32 s31, s25, s3
	s_addc_u32 s33, s30, s2
	s_mul_i32 s3, s24, 0xffffffec
	s_mul_hi_i32 s2, s24, 0xffffffec
	s_add_u32 s4, s31, s3
	s_addc_u32 s5, s33, s2
	s_ashr_i32 s7, s6, 31
	s_lshl_b64 s[18:19], s[6:7], 2
	s_add_u32 s2, s37, s18
	s_addc_u32 s3, s38, s19
	s_add_u32 s4, s4, s18
	s_addc_u32 s5, s5, s19
	;; [unrolled: 2-line block ×3, first 2 shown]
	s_and_b32 s36, s8, 0xffff
	s_lshl_b32 s41, s36, 3
	v_cvt_f32_u32_e32 v1, s41
	s_load_dword s42, s[4:5], 0x0
	s_load_dword s7, s[2:3], 0x0
	;; [unrolled: 1-line block ×3, first 2 shown]
	s_sub_i32 s2, 0, s41
	v_rcp_iflag_f32_e32 v1, v1
	s_waitcnt lgkmcnt(0)
	s_add_i32 s0, s42, -1
	s_ashr_i32 s1, s0, 31
	v_mul_f32_e32 v1, 0x4f7ffffe, v1
	v_cvt_u32_f32_e32 v1, v1
	s_abs_i32 s0, s0
	v_readfirstlane_b32 s3, v1
	s_mul_i32 s2, s2, s3
	s_mul_hi_u32 s2, s3, s2
	s_add_i32 s3, s3, s2
	s_mul_hi_u32 s2, s0, s3
	s_mul_i32 s3, s2, s41
	s_sub_i32 s0, s0, s3
	s_add_i32 s3, s2, 1
	s_sub_i32 s4, s0, s41
	s_cmp_ge_u32 s0, s41
	s_cselect_b32 s2, s3, s2
	s_cselect_b32 s0, s4, s0
	s_add_i32 s3, s2, 1
	s_cmp_ge_u32 s0, s41
	s_cselect_b32 s0, s3, s2
	s_xor_b32 s0, s0, s1
	s_sub_i32 s2, s0, s1
	s_cmp_lt_i32 s2, 0
	s_mov_b64 s[0:1], -1
	v_mov_b32_e32 v1, 0
	s_cbranch_scc1 .LBB29_68
; %bb.1:
	s_add_u32 s0, s39, s18
	s_addc_u32 s1, s40, s19
	s_load_dword s43, s[0:1], 0x0
	s_lshl_b32 s0, s36, 1
	s_add_i32 s45, s35, s0
	s_mul_i32 s0, s36, 3
	s_add_i32 s46, s35, s0
	s_lshl_b32 s0, s36, 2
	s_add_i32 s47, s35, s0
	s_mul_i32 s0, s36, 5
	s_add_i32 s48, s35, s0
	s_mul_i32 s0, s36, 6
	;; [unrolled: 2-line block ×3, first 2 shown]
	s_add_i32 s44, s2, 1
	s_add_i32 s50, s35, s0
	;; [unrolled: 1-line block ×3, first 2 shown]
	v_mov_b32_e32 v1, 0
	v_mov_b32_e32 v18, v0
	;; [unrolled: 1-line block ×5, first 2 shown]
                                        ; implicit-def: $vgpr2_vgpr3_vgpr4_vgpr5_vgpr6_vgpr7_vgpr8_vgpr9
                                        ; implicit-def: $vgpr10_vgpr11_vgpr12_vgpr13_vgpr14_vgpr15_vgpr16_vgpr17
	s_branch .LBB29_4
.LBB29_2:                               ;   in Loop: Header=BB29_4 Depth=1
	s_or_b64 exec, exec, s[8:9]
	v_cmp_u_f32_e32 vcc, v9, v9
	v_cndmask_b32_e64 v22, 0, 1, s[4:5]
	v_addc_co_u32_e32 v19, vcc, 0, v19, vcc
	v_add_u32_e32 v21, v21, v22
	v_cmp_lt_i32_e32 vcc, 0, v17
	v_cndmask_b32_e64 v22, 0, 1, s[0:1]
	v_addc_co_u32_e32 v1, vcc, 0, v1, vcc
	v_add_u32_e32 v20, v20, v22
.LBB29_3:                               ;   in Loop: Header=BB29_4 Depth=1
	s_or_b64 exec, exec, s[2:3]
	s_add_i32 s44, s44, -1
	s_cmp_eq_u32 s44, 0
	v_add_u32_e32 v18, s41, v18
	s_cbranch_scc1 .LBB29_67
.LBB29_4:                               ; =>This Inner Loop Header: Depth=1
	v_cmp_gt_i32_e64 s[14:15], s42, v18
	s_and_saveexec_b64 s[0:1], s[14:15]
	s_cbranch_execz .LBB29_6
; %bb.5:                                ;   in Loop: Header=BB29_4 Depth=1
	v_add_u32_e32 v22, s35, v18
	v_ashrrev_i32_e32 v23, 31, v22
	v_lshlrev_b64 v[22:23], 2, v[22:23]
	s_waitcnt vmcnt(1)
	v_mov_b32_e32 v2, s40
	v_add_co_u32_e32 v24, vcc, s39, v22
	v_addc_co_u32_e32 v25, vcc, v2, v23, vcc
	v_mov_b32_e32 v2, s38
	v_add_co_u32_e32 v22, vcc, s37, v22
	v_addc_co_u32_e32 v23, vcc, v2, v23, vcc
	global_load_dword v2, v[22:23], off
	global_load_dword v10, v[24:25], off
.LBB29_6:                               ;   in Loop: Header=BB29_4 Depth=1
	s_or_b64 exec, exec, s[0:1]
	v_add_u32_e32 v22, s36, v18
	v_cmp_gt_i32_e64 s[12:13], s42, v22
	s_and_saveexec_b64 s[0:1], s[12:13]
	s_cbranch_execz .LBB29_8
; %bb.7:                                ;   in Loop: Header=BB29_4 Depth=1
	v_add_u32_e32 v24, s51, v18
	v_ashrrev_i32_e32 v25, 31, v24
	v_lshlrev_b64 v[24:25], 2, v[24:25]
	s_waitcnt vmcnt(1)
	v_mov_b32_e32 v3, s40
	v_add_co_u32_e32 v26, vcc, s39, v24
	v_addc_co_u32_e32 v27, vcc, v3, v25, vcc
	v_mov_b32_e32 v3, s38
	v_add_co_u32_e32 v24, vcc, s37, v24
	v_addc_co_u32_e32 v25, vcc, v3, v25, vcc
	global_load_dword v3, v[24:25], off
	global_load_dword v11, v[26:27], off
.LBB29_8:                               ;   in Loop: Header=BB29_4 Depth=1
	s_or_b64 exec, exec, s[0:1]
	v_add_u32_e32 v22, s36, v22
	v_cmp_gt_i32_e64 s[10:11], s42, v22
	s_and_saveexec_b64 s[0:1], s[10:11]
	s_cbranch_execz .LBB29_10
; %bb.9:                                ;   in Loop: Header=BB29_4 Depth=1
	v_add_u32_e32 v24, s45, v18
	v_ashrrev_i32_e32 v25, 31, v24
	v_lshlrev_b64 v[24:25], 2, v[24:25]
	s_waitcnt vmcnt(1)
	v_mov_b32_e32 v4, s40
	v_add_co_u32_e32 v26, vcc, s39, v24
	v_addc_co_u32_e32 v27, vcc, v4, v25, vcc
	v_mov_b32_e32 v4, s38
	v_add_co_u32_e32 v24, vcc, s37, v24
	v_addc_co_u32_e32 v25, vcc, v4, v25, vcc
	global_load_dword v4, v[24:25], off
	global_load_dword v12, v[26:27], off
.LBB29_10:                              ;   in Loop: Header=BB29_4 Depth=1
	s_or_b64 exec, exec, s[0:1]
	v_add_u32_e32 v22, s36, v22
	v_cmp_gt_i32_e64 s[8:9], s42, v22
	s_and_saveexec_b64 s[0:1], s[8:9]
	s_cbranch_execz .LBB29_12
; %bb.11:                               ;   in Loop: Header=BB29_4 Depth=1
	v_add_u32_e32 v24, s46, v18
	v_ashrrev_i32_e32 v25, 31, v24
	v_lshlrev_b64 v[24:25], 2, v[24:25]
	s_waitcnt vmcnt(1)
	v_mov_b32_e32 v5, s40
	v_add_co_u32_e32 v26, vcc, s39, v24
	v_addc_co_u32_e32 v27, vcc, v5, v25, vcc
	v_mov_b32_e32 v5, s38
	v_add_co_u32_e32 v24, vcc, s37, v24
	v_addc_co_u32_e32 v25, vcc, v5, v25, vcc
	global_load_dword v5, v[24:25], off
	global_load_dword v13, v[26:27], off
.LBB29_12:                              ;   in Loop: Header=BB29_4 Depth=1
	s_or_b64 exec, exec, s[0:1]
	v_add_u32_e32 v22, s36, v22
	v_cmp_gt_i32_e64 s[4:5], s42, v22
	s_and_saveexec_b64 s[0:1], s[4:5]
	s_cbranch_execz .LBB29_14
; %bb.13:                               ;   in Loop: Header=BB29_4 Depth=1
	v_add_u32_e32 v24, s47, v18
	v_ashrrev_i32_e32 v25, 31, v24
	v_lshlrev_b64 v[24:25], 2, v[24:25]
	s_waitcnt vmcnt(1)
	v_mov_b32_e32 v6, s40
	v_add_co_u32_e32 v26, vcc, s39, v24
	v_addc_co_u32_e32 v27, vcc, v6, v25, vcc
	v_mov_b32_e32 v6, s38
	v_add_co_u32_e32 v24, vcc, s37, v24
	v_addc_co_u32_e32 v25, vcc, v6, v25, vcc
	global_load_dword v6, v[24:25], off
	global_load_dword v14, v[26:27], off
.LBB29_14:                              ;   in Loop: Header=BB29_4 Depth=1
	;; [unrolled: 19-line block ×4, first 2 shown]
	s_or_b64 exec, exec, s[16:17]
	v_add_u32_e32 v22, s36, v22
	v_cmp_gt_i32_e32 vcc, s42, v22
	s_and_saveexec_b64 s[22:23], vcc
	s_cbranch_execnz .LBB29_27
; %bb.19:                               ;   in Loop: Header=BB29_4 Depth=1
	s_or_b64 exec, exec, s[22:23]
	s_and_saveexec_b64 s[22:23], s[14:15]
	s_cbranch_execnz .LBB29_28
.LBB29_20:                              ;   in Loop: Header=BB29_4 Depth=1
	s_or_b64 exec, exec, s[22:23]
	s_and_saveexec_b64 s[16:17], s[12:13]
	s_cbranch_execnz .LBB29_33
.LBB29_21:                              ;   in Loop: Header=BB29_4 Depth=1
	s_or_b64 exec, exec, s[16:17]
	s_and_saveexec_b64 s[14:15], s[10:11]
	s_cbranch_execnz .LBB29_38
.LBB29_22:                              ;   in Loop: Header=BB29_4 Depth=1
	s_or_b64 exec, exec, s[14:15]
	s_and_saveexec_b64 s[12:13], s[8:9]
	s_cbranch_execnz .LBB29_43
.LBB29_23:                              ;   in Loop: Header=BB29_4 Depth=1
	s_or_b64 exec, exec, s[12:13]
	s_and_saveexec_b64 s[10:11], s[4:5]
	s_cbranch_execnz .LBB29_48
.LBB29_24:                              ;   in Loop: Header=BB29_4 Depth=1
	s_or_b64 exec, exec, s[10:11]
	s_and_saveexec_b64 s[8:9], s[2:3]
	s_cbranch_execnz .LBB29_53
.LBB29_25:                              ;   in Loop: Header=BB29_4 Depth=1
	s_or_b64 exec, exec, s[8:9]
	s_and_saveexec_b64 s[4:5], s[0:1]
	s_cbranch_execnz .LBB29_58
.LBB29_26:                              ;   in Loop: Header=BB29_4 Depth=1
	s_or_b64 exec, exec, s[4:5]
	s_and_saveexec_b64 s[2:3], vcc
	s_cbranch_execz .LBB29_3
	s_branch .LBB29_63
.LBB29_27:                              ;   in Loop: Header=BB29_4 Depth=1
	v_add_u32_e32 v22, s50, v18
	v_ashrrev_i32_e32 v23, 31, v22
	v_lshlrev_b64 v[22:23], 2, v[22:23]
	s_waitcnt vmcnt(1)
	v_mov_b32_e32 v9, s40
	v_add_co_u32_e64 v24, s[16:17], s39, v22
	v_addc_co_u32_e64 v25, s[16:17], v9, v23, s[16:17]
	v_mov_b32_e32 v9, s38
	v_add_co_u32_e64 v22, s[16:17], s37, v22
	v_addc_co_u32_e64 v23, s[16:17], v9, v23, s[16:17]
	global_load_dword v9, v[22:23], off
	global_load_dword v17, v[24:25], off
	s_or_b64 exec, exec, s[22:23]
	s_and_saveexec_b64 s[22:23], s[14:15]
	s_cbranch_execz .LBB29_20
.LBB29_28:                              ;   in Loop: Header=BB29_4 Depth=1
	s_waitcnt vmcnt(0) lgkmcnt(0)
	v_cmp_ge_i32_e64 s[14:15], s43, v10
	s_mov_b64 s[26:27], -1
	s_and_saveexec_b64 s[28:29], s[14:15]
; %bb.29:                               ;   in Loop: Header=BB29_4 Depth=1
	v_cmp_eq_u32_e64 s[14:15], s43, v10
	v_cmp_gt_f32_e64 s[16:17], s7, v2
	s_and_b64 s[14:15], s[14:15], s[16:17]
	s_orn2_b64 s[26:27], s[14:15], exec
; %bb.30:                               ;   in Loop: Header=BB29_4 Depth=1
	s_or_b64 exec, exec, s[28:29]
	v_cmp_eq_u32_e64 s[14:15], s43, v10
	v_cmp_eq_f32_e64 s[16:17], s7, v2
	s_and_b64 s[14:15], s[14:15], s[16:17]
	s_mov_b64 s[16:17], 0
	s_and_saveexec_b64 s[28:29], s[14:15]
; %bb.31:                               ;   in Loop: Header=BB29_4 Depth=1
	v_add_u32_e32 v22, s35, v18
	v_cmp_gt_i32_e64 s[14:15], s6, v22
	s_and_b64 s[16:17], s[14:15], exec
; %bb.32:                               ;   in Loop: Header=BB29_4 Depth=1
	s_or_b64 exec, exec, s[28:29]
	v_cmp_u_f32_e64 s[14:15], v2, v2
	v_cndmask_b32_e64 v22, 0, 1, s[26:27]
	v_addc_co_u32_e64 v19, s[14:15], 0, v19, s[14:15]
	v_add_u32_e32 v21, v21, v22
	v_cmp_lt_i32_e64 s[14:15], 0, v10
	v_cndmask_b32_e64 v22, 0, 1, s[16:17]
	v_addc_co_u32_e64 v1, s[14:15], 0, v1, s[14:15]
	v_add_u32_e32 v20, v20, v22
	s_or_b64 exec, exec, s[22:23]
	s_and_saveexec_b64 s[16:17], s[12:13]
	s_cbranch_execz .LBB29_21
.LBB29_33:                              ;   in Loop: Header=BB29_4 Depth=1
	s_waitcnt vmcnt(0) lgkmcnt(0)
	v_cmp_ge_i32_e64 s[12:13], s43, v11
	s_mov_b64 s[22:23], -1
	s_and_saveexec_b64 s[26:27], s[12:13]
; %bb.34:                               ;   in Loop: Header=BB29_4 Depth=1
	v_cmp_eq_u32_e64 s[12:13], s43, v11
	v_cmp_gt_f32_e64 s[14:15], s7, v3
	s_and_b64 s[12:13], s[12:13], s[14:15]
	s_orn2_b64 s[22:23], s[12:13], exec
; %bb.35:                               ;   in Loop: Header=BB29_4 Depth=1
	s_or_b64 exec, exec, s[26:27]
	v_cmp_eq_u32_e64 s[12:13], s43, v11
	v_cmp_eq_f32_e64 s[14:15], s7, v3
	s_and_b64 s[12:13], s[12:13], s[14:15]
	s_mov_b64 s[14:15], 0
	s_and_saveexec_b64 s[26:27], s[12:13]
; %bb.36:                               ;   in Loop: Header=BB29_4 Depth=1
	v_add_u32_e32 v22, s51, v18
	v_cmp_gt_i32_e64 s[12:13], s6, v22
	s_and_b64 s[14:15], s[12:13], exec
; %bb.37:                               ;   in Loop: Header=BB29_4 Depth=1
	s_or_b64 exec, exec, s[26:27]
	v_cmp_u_f32_e64 s[12:13], v3, v3
	v_cndmask_b32_e64 v22, 0, 1, s[22:23]
	v_addc_co_u32_e64 v19, s[12:13], 0, v19, s[12:13]
	v_add_u32_e32 v21, v21, v22
	v_cmp_lt_i32_e64 s[12:13], 0, v11
	v_cndmask_b32_e64 v22, 0, 1, s[14:15]
	v_addc_co_u32_e64 v1, s[12:13], 0, v1, s[12:13]
	v_add_u32_e32 v20, v20, v22
	s_or_b64 exec, exec, s[16:17]
	s_and_saveexec_b64 s[14:15], s[10:11]
	s_cbranch_execz .LBB29_22
.LBB29_38:                              ;   in Loop: Header=BB29_4 Depth=1
	s_waitcnt vmcnt(0) lgkmcnt(0)
	v_cmp_ge_i32_e64 s[10:11], s43, v12
	s_mov_b64 s[16:17], -1
	s_and_saveexec_b64 s[22:23], s[10:11]
; %bb.39:                               ;   in Loop: Header=BB29_4 Depth=1
	v_cmp_eq_u32_e64 s[10:11], s43, v12
	v_cmp_gt_f32_e64 s[12:13], s7, v4
	s_and_b64 s[10:11], s[10:11], s[12:13]
	s_orn2_b64 s[16:17], s[10:11], exec
; %bb.40:                               ;   in Loop: Header=BB29_4 Depth=1
	s_or_b64 exec, exec, s[22:23]
	v_cmp_eq_u32_e64 s[10:11], s43, v12
	v_cmp_eq_f32_e64 s[12:13], s7, v4
	s_and_b64 s[10:11], s[10:11], s[12:13]
	s_mov_b64 s[12:13], 0
	s_and_saveexec_b64 s[22:23], s[10:11]
; %bb.41:                               ;   in Loop: Header=BB29_4 Depth=1
	v_add_u32_e32 v22, s45, v18
	v_cmp_gt_i32_e64 s[10:11], s6, v22
	s_and_b64 s[12:13], s[10:11], exec
; %bb.42:                               ;   in Loop: Header=BB29_4 Depth=1
	s_or_b64 exec, exec, s[22:23]
	v_cmp_u_f32_e64 s[10:11], v4, v4
	v_cndmask_b32_e64 v22, 0, 1, s[16:17]
	v_addc_co_u32_e64 v19, s[10:11], 0, v19, s[10:11]
	v_add_u32_e32 v21, v21, v22
	v_cmp_lt_i32_e64 s[10:11], 0, v12
	v_cndmask_b32_e64 v22, 0, 1, s[12:13]
	v_addc_co_u32_e64 v1, s[10:11], 0, v1, s[10:11]
	v_add_u32_e32 v20, v20, v22
	s_or_b64 exec, exec, s[14:15]
	s_and_saveexec_b64 s[12:13], s[8:9]
	s_cbranch_execz .LBB29_23
.LBB29_43:                              ;   in Loop: Header=BB29_4 Depth=1
	s_waitcnt vmcnt(0) lgkmcnt(0)
	v_cmp_ge_i32_e64 s[8:9], s43, v13
	s_mov_b64 s[14:15], -1
	s_and_saveexec_b64 s[16:17], s[8:9]
; %bb.44:                               ;   in Loop: Header=BB29_4 Depth=1
	v_cmp_eq_u32_e64 s[8:9], s43, v13
	v_cmp_gt_f32_e64 s[10:11], s7, v5
	s_and_b64 s[8:9], s[8:9], s[10:11]
	s_orn2_b64 s[14:15], s[8:9], exec
; %bb.45:                               ;   in Loop: Header=BB29_4 Depth=1
	s_or_b64 exec, exec, s[16:17]
	v_cmp_eq_u32_e64 s[8:9], s43, v13
	v_cmp_eq_f32_e64 s[10:11], s7, v5
	s_and_b64 s[8:9], s[8:9], s[10:11]
	s_mov_b64 s[10:11], 0
	s_and_saveexec_b64 s[16:17], s[8:9]
; %bb.46:                               ;   in Loop: Header=BB29_4 Depth=1
	v_add_u32_e32 v22, s46, v18
	v_cmp_gt_i32_e64 s[8:9], s6, v22
	s_and_b64 s[10:11], s[8:9], exec
; %bb.47:                               ;   in Loop: Header=BB29_4 Depth=1
	s_or_b64 exec, exec, s[16:17]
	v_cmp_u_f32_e64 s[8:9], v5, v5
	v_cndmask_b32_e64 v22, 0, 1, s[14:15]
	v_addc_co_u32_e64 v19, s[8:9], 0, v19, s[8:9]
	v_add_u32_e32 v21, v21, v22
	v_cmp_lt_i32_e64 s[8:9], 0, v13
	v_cndmask_b32_e64 v22, 0, 1, s[10:11]
	v_addc_co_u32_e64 v1, s[8:9], 0, v1, s[8:9]
	v_add_u32_e32 v20, v20, v22
	s_or_b64 exec, exec, s[12:13]
	s_and_saveexec_b64 s[10:11], s[4:5]
	s_cbranch_execz .LBB29_24
.LBB29_48:                              ;   in Loop: Header=BB29_4 Depth=1
	s_waitcnt vmcnt(0) lgkmcnt(0)
	v_cmp_ge_i32_e64 s[4:5], s43, v14
	s_mov_b64 s[12:13], -1
	s_and_saveexec_b64 s[14:15], s[4:5]
; %bb.49:                               ;   in Loop: Header=BB29_4 Depth=1
	v_cmp_eq_u32_e64 s[4:5], s43, v14
	v_cmp_gt_f32_e64 s[8:9], s7, v6
	s_and_b64 s[4:5], s[4:5], s[8:9]
	s_orn2_b64 s[12:13], s[4:5], exec
; %bb.50:                               ;   in Loop: Header=BB29_4 Depth=1
	s_or_b64 exec, exec, s[14:15]
	v_cmp_eq_u32_e64 s[4:5], s43, v14
	v_cmp_eq_f32_e64 s[8:9], s7, v6
	s_and_b64 s[4:5], s[4:5], s[8:9]
	s_mov_b64 s[8:9], 0
	s_and_saveexec_b64 s[14:15], s[4:5]
; %bb.51:                               ;   in Loop: Header=BB29_4 Depth=1
	v_add_u32_e32 v22, s47, v18
	v_cmp_gt_i32_e64 s[4:5], s6, v22
	s_and_b64 s[8:9], s[4:5], exec
; %bb.52:                               ;   in Loop: Header=BB29_4 Depth=1
	s_or_b64 exec, exec, s[14:15]
	v_cmp_u_f32_e64 s[4:5], v6, v6
	v_cndmask_b32_e64 v22, 0, 1, s[12:13]
	v_addc_co_u32_e64 v19, s[4:5], 0, v19, s[4:5]
	v_add_u32_e32 v21, v21, v22
	v_cmp_lt_i32_e64 s[4:5], 0, v14
	v_cndmask_b32_e64 v22, 0, 1, s[8:9]
	v_addc_co_u32_e64 v1, s[4:5], 0, v1, s[4:5]
	v_add_u32_e32 v20, v20, v22
	s_or_b64 exec, exec, s[10:11]
	s_and_saveexec_b64 s[8:9], s[2:3]
	s_cbranch_execz .LBB29_25
.LBB29_53:                              ;   in Loop: Header=BB29_4 Depth=1
	s_waitcnt vmcnt(0) lgkmcnt(0)
	v_cmp_ge_i32_e64 s[2:3], s43, v15
	s_mov_b64 s[10:11], -1
	s_and_saveexec_b64 s[12:13], s[2:3]
; %bb.54:                               ;   in Loop: Header=BB29_4 Depth=1
	v_cmp_eq_u32_e64 s[2:3], s43, v15
	v_cmp_gt_f32_e64 s[4:5], s7, v7
	s_and_b64 s[2:3], s[2:3], s[4:5]
	s_orn2_b64 s[10:11], s[2:3], exec
; %bb.55:                               ;   in Loop: Header=BB29_4 Depth=1
	s_or_b64 exec, exec, s[12:13]
	v_cmp_eq_u32_e64 s[2:3], s43, v15
	v_cmp_eq_f32_e64 s[4:5], s7, v7
	s_and_b64 s[2:3], s[2:3], s[4:5]
	s_mov_b64 s[4:5], 0
	s_and_saveexec_b64 s[12:13], s[2:3]
; %bb.56:                               ;   in Loop: Header=BB29_4 Depth=1
	v_add_u32_e32 v22, s48, v18
	v_cmp_gt_i32_e64 s[2:3], s6, v22
	s_and_b64 s[4:5], s[2:3], exec
; %bb.57:                               ;   in Loop: Header=BB29_4 Depth=1
	s_or_b64 exec, exec, s[12:13]
	v_cmp_u_f32_e64 s[2:3], v7, v7
	v_cndmask_b32_e64 v22, 0, 1, s[10:11]
	v_addc_co_u32_e64 v19, s[2:3], 0, v19, s[2:3]
	v_add_u32_e32 v21, v21, v22
	v_cmp_lt_i32_e64 s[2:3], 0, v15
	v_cndmask_b32_e64 v22, 0, 1, s[4:5]
	v_addc_co_u32_e64 v1, s[2:3], 0, v1, s[2:3]
	v_add_u32_e32 v20, v20, v22
	s_or_b64 exec, exec, s[8:9]
	s_and_saveexec_b64 s[4:5], s[0:1]
	s_cbranch_execz .LBB29_26
.LBB29_58:                              ;   in Loop: Header=BB29_4 Depth=1
	s_waitcnt vmcnt(0) lgkmcnt(0)
	v_cmp_ge_i32_e64 s[0:1], s43, v16
	s_mov_b64 s[8:9], -1
	s_and_saveexec_b64 s[10:11], s[0:1]
; %bb.59:                               ;   in Loop: Header=BB29_4 Depth=1
	v_cmp_eq_u32_e64 s[0:1], s43, v16
	v_cmp_gt_f32_e64 s[2:3], s7, v8
	s_and_b64 s[0:1], s[0:1], s[2:3]
	s_orn2_b64 s[8:9], s[0:1], exec
; %bb.60:                               ;   in Loop: Header=BB29_4 Depth=1
	s_or_b64 exec, exec, s[10:11]
	v_cmp_eq_u32_e64 s[0:1], s43, v16
	v_cmp_eq_f32_e64 s[2:3], s7, v8
	s_and_b64 s[0:1], s[0:1], s[2:3]
	s_mov_b64 s[2:3], 0
	s_and_saveexec_b64 s[10:11], s[0:1]
; %bb.61:                               ;   in Loop: Header=BB29_4 Depth=1
	v_add_u32_e32 v22, s49, v18
	v_cmp_gt_i32_e64 s[0:1], s6, v22
	s_and_b64 s[2:3], s[0:1], exec
; %bb.62:                               ;   in Loop: Header=BB29_4 Depth=1
	s_or_b64 exec, exec, s[10:11]
	v_cmp_u_f32_e64 s[0:1], v8, v8
	v_cndmask_b32_e64 v22, 0, 1, s[8:9]
	v_addc_co_u32_e64 v19, s[0:1], 0, v19, s[0:1]
	v_add_u32_e32 v21, v21, v22
	v_cmp_lt_i32_e64 s[0:1], 0, v16
	v_cndmask_b32_e64 v22, 0, 1, s[2:3]
	v_addc_co_u32_e64 v1, s[0:1], 0, v1, s[0:1]
	v_add_u32_e32 v20, v20, v22
	s_or_b64 exec, exec, s[4:5]
	s_and_saveexec_b64 s[2:3], vcc
	s_cbranch_execz .LBB29_3
.LBB29_63:                              ;   in Loop: Header=BB29_4 Depth=1
	s_waitcnt vmcnt(0) lgkmcnt(0)
	v_cmp_ge_i32_e32 vcc, s43, v17
	s_mov_b64 s[4:5], -1
	s_and_saveexec_b64 s[8:9], vcc
; %bb.64:                               ;   in Loop: Header=BB29_4 Depth=1
	v_cmp_eq_u32_e32 vcc, s43, v17
	v_cmp_gt_f32_e64 s[0:1], s7, v9
	s_and_b64 s[0:1], vcc, s[0:1]
	s_orn2_b64 s[4:5], s[0:1], exec
; %bb.65:                               ;   in Loop: Header=BB29_4 Depth=1
	s_or_b64 exec, exec, s[8:9]
	v_cmp_eq_u32_e32 vcc, s43, v17
	v_cmp_eq_f32_e64 s[0:1], s7, v9
	s_and_b64 s[10:11], vcc, s[0:1]
	s_mov_b64 s[0:1], 0
	s_and_saveexec_b64 s[8:9], s[10:11]
	s_cbranch_execz .LBB29_2
; %bb.66:                               ;   in Loop: Header=BB29_4 Depth=1
	v_add_u32_e32 v22, s50, v18
	v_cmp_gt_i32_e32 vcc, s6, v22
	s_and_b64 s[0:1], vcc, exec
	s_branch .LBB29_2
.LBB29_67:
	s_waitcnt vmcnt(1)
	v_add_u32_e32 v2, v20, v21
	v_cmp_eq_u32_e64 s[0:1], 0, v19
.LBB29_68:
	v_lshlrev_b32_e32 v3, 2, v0
	s_cmp_lt_u32 s36, 2
	ds_write2st64_b32 v3, v1, v2 offset1:8
	s_cbranch_scc1 .LBB29_74
; %bb.69:
	v_or_b32_e32 v4, 0x800, v3
.LBB29_70:                              ; =>This Inner Loop Header: Depth=1
	s_lshr_b32 s4, s36, 1
	v_cmp_gt_u32_e32 vcc, s4, v0
	s_waitcnt lgkmcnt(0)
	s_barrier
	s_and_saveexec_b64 s[2:3], vcc
	s_cbranch_execz .LBB29_72
; %bb.71:                               ;   in Loop: Header=BB29_70 Depth=1
	s_lshl_b32 s5, s4, 2
	v_add_u32_e32 v5, s5, v4
	v_add_u32_e32 v6, s5, v3
	ds_read_b32 v5, v5
	ds_read_b32 v6, v6
	s_waitcnt lgkmcnt(1)
	v_add_u32_e32 v2, v5, v2
	s_waitcnt lgkmcnt(0)
	v_add_u32_e32 v1, v6, v1
	ds_write_b32 v4, v2
	ds_write_b32 v3, v1
.LBB29_72:                              ;   in Loop: Header=BB29_70 Depth=1
	s_or_b64 exec, exec, s[2:3]
	s_cmp_lt_u32 s36, 4
	s_cbranch_scc1 .LBB29_74
; %bb.73:                               ;   in Loop: Header=BB29_70 Depth=1
	s_mov_b32 s36, s4
	s_branch .LBB29_70
.LBB29_74:
	s_mul_i32 s4, s34, 10
	s_mul_i32 s2, s24, 6
	s_ashr_i32 s5, s4, 31
	s_xor_b64 s[0:1], s[0:1], -1
	s_ashr_i32 s3, s2, 31
	s_lshl_b64 s[4:5], s[4:5], 2
	s_add_u32 s4, s20, s4
	s_addc_u32 s5, s21, s5
	s_lshl_b64 s[2:3], s[2:3], 2
	s_add_u32 s4, s4, s2
	s_addc_u32 s5, s5, s3
	v_cmp_eq_u32_e32 vcc, 0, v0
	s_and_saveexec_b64 s[2:3], vcc
	s_cbranch_execz .LBB29_76
; %bb.75:
	v_add_u32_e32 v2, s35, v2
	v_ashrrev_i32_e32 v3, 31, v2
	v_lshlrev_b64 v[2:3], 2, v[2:3]
	v_mov_b32_e32 v0, s5
	v_add_co_u32_e32 v4, vcc, s4, v2
	v_addc_co_u32_e32 v5, vcc, v0, v3, vcc
	v_mov_b32_e32 v0, s33
	v_add_co_u32_e32 v6, vcc, s31, v2
	v_addc_co_u32_e32 v7, vcc, v0, v3, vcc
	;; [unrolled: 3-line block ×3, first 2 shown]
	v_mov_b32_e32 v0, s6
	global_store_dword v[2:3], v1, off
	global_store_dword v[6:7], v0, off
	v_mov_b32_e32 v0, s7
	global_store_dword v[4:5], v0, off
.LBB29_76:
	s_or_b64 exec, exec, s[2:3]
	s_waitcnt lgkmcnt(0)
	s_barrier
	s_and_saveexec_b64 s[2:3], s[0:1]
	s_cbranch_execz .LBB29_78
; %bb.77:
	s_add_u32 s0, s4, s18
	s_addc_u32 s1, s5, s19
	v_mov_b32_e32 v0, 0
	v_mov_b32_e32 v1, 0x7fc00000
	global_store_dword v0, v1, s[0:1]
.LBB29_78:
	s_endpgm
	.section	.rodata,"a",@progbits
	.p2align	6, 0x0
	.amdhsa_kernel _ZN9rocsolver6v33100L31stedc_mergePrepare_SortD_kernelIfEEviiPT_lS3_Pi
		.amdhsa_group_segment_fixed_size 4096
		.amdhsa_private_segment_fixed_size 0
		.amdhsa_kernarg_size 296
		.amdhsa_user_sgpr_count 6
		.amdhsa_user_sgpr_private_segment_buffer 1
		.amdhsa_user_sgpr_dispatch_ptr 0
		.amdhsa_user_sgpr_queue_ptr 0
		.amdhsa_user_sgpr_kernarg_segment_ptr 1
		.amdhsa_user_sgpr_dispatch_id 0
		.amdhsa_user_sgpr_flat_scratch_init 0
		.amdhsa_user_sgpr_kernarg_preload_length 0
		.amdhsa_user_sgpr_kernarg_preload_offset 0
		.amdhsa_user_sgpr_private_segment_size 0
		.amdhsa_uses_dynamic_stack 0
		.amdhsa_system_sgpr_private_segment_wavefront_offset 0
		.amdhsa_system_sgpr_workgroup_id_x 1
		.amdhsa_system_sgpr_workgroup_id_y 1
		.amdhsa_system_sgpr_workgroup_id_z 0
		.amdhsa_system_sgpr_workgroup_info 0
		.amdhsa_system_vgpr_workitem_id 0
		.amdhsa_next_free_vgpr 28
		.amdhsa_next_free_sgpr 52
		.amdhsa_accum_offset 28
		.amdhsa_reserve_vcc 1
		.amdhsa_reserve_flat_scratch 0
		.amdhsa_float_round_mode_32 0
		.amdhsa_float_round_mode_16_64 0
		.amdhsa_float_denorm_mode_32 3
		.amdhsa_float_denorm_mode_16_64 3
		.amdhsa_dx10_clamp 1
		.amdhsa_ieee_mode 1
		.amdhsa_fp16_overflow 0
		.amdhsa_tg_split 0
		.amdhsa_exception_fp_ieee_invalid_op 0
		.amdhsa_exception_fp_denorm_src 0
		.amdhsa_exception_fp_ieee_div_zero 0
		.amdhsa_exception_fp_ieee_overflow 0
		.amdhsa_exception_fp_ieee_underflow 0
		.amdhsa_exception_fp_ieee_inexact 0
		.amdhsa_exception_int_div_zero 0
	.end_amdhsa_kernel
	.section	.text._ZN9rocsolver6v33100L31stedc_mergePrepare_SortD_kernelIfEEviiPT_lS3_Pi,"axG",@progbits,_ZN9rocsolver6v33100L31stedc_mergePrepare_SortD_kernelIfEEviiPT_lS3_Pi,comdat
.Lfunc_end29:
	.size	_ZN9rocsolver6v33100L31stedc_mergePrepare_SortD_kernelIfEEviiPT_lS3_Pi, .Lfunc_end29-_ZN9rocsolver6v33100L31stedc_mergePrepare_SortD_kernelIfEEviiPT_lS3_Pi
                                        ; -- End function
	.section	.AMDGPU.csdata,"",@progbits
; Kernel info:
; codeLenInByte = 2884
; NumSgprs: 56
; NumVgprs: 28
; NumAgprs: 0
; TotalNumVgprs: 28
; ScratchSize: 0
; MemoryBound: 0
; FloatMode: 240
; IeeeMode: 1
; LDSByteSize: 4096 bytes/workgroup (compile time only)
; SGPRBlocks: 6
; VGPRBlocks: 3
; NumSGPRsForWavesPerEU: 56
; NumVGPRsForWavesPerEU: 28
; AccumOffset: 28
; Occupancy: 8
; WaveLimiterHint : 1
; COMPUTE_PGM_RSRC2:SCRATCH_EN: 0
; COMPUTE_PGM_RSRC2:USER_SGPR: 6
; COMPUTE_PGM_RSRC2:TRAP_HANDLER: 0
; COMPUTE_PGM_RSRC2:TGID_X_EN: 1
; COMPUTE_PGM_RSRC2:TGID_Y_EN: 1
; COMPUTE_PGM_RSRC2:TGID_Z_EN: 0
; COMPUTE_PGM_RSRC2:TIDIG_COMP_CNT: 0
; COMPUTE_PGM_RSRC3_GFX90A:ACCUM_OFFSET: 6
; COMPUTE_PGM_RSRC3_GFX90A:TG_SPLIT: 0
	.section	.text._ZN9rocsolver6v33100L38stedc_mergePrepare_SetCandFlags_kernelIfEEviiPT_lS3_Pi,"axG",@progbits,_ZN9rocsolver6v33100L38stedc_mergePrepare_SetCandFlags_kernelIfEEviiPT_lS3_Pi,comdat
	.globl	_ZN9rocsolver6v33100L38stedc_mergePrepare_SetCandFlags_kernelIfEEviiPT_lS3_Pi ; -- Begin function _ZN9rocsolver6v33100L38stedc_mergePrepare_SetCandFlags_kernelIfEEviiPT_lS3_Pi
	.p2align	8
	.type	_ZN9rocsolver6v33100L38stedc_mergePrepare_SetCandFlags_kernelIfEEviiPT_lS3_Pi,@function
_ZN9rocsolver6v33100L38stedc_mergePrepare_SetCandFlags_kernelIfEEviiPT_lS3_Pi: ; @_ZN9rocsolver6v33100L38stedc_mergePrepare_SetCandFlags_kernelIfEEviiPT_lS3_Pi
; %bb.0:
	s_load_dword s0, s[4:5], 0x34
	s_load_dword s8, s[4:5], 0x4
	s_waitcnt lgkmcnt(0)
	s_and_b32 s0, s0, 0xffff
	s_mul_i32 s6, s6, s0
	v_add_u32_e32 v0, s6, v0
	v_cmp_gt_i32_e32 vcc, s8, v0
	s_and_saveexec_b64 s[0:1], vcc
	s_cbranch_execz .LBB30_6
; %bb.1:
	s_load_dwordx4 s[0:3], s[4:5], 0x18
	s_mul_i32 s10, s7, s8
	s_mul_i32 s4, s10, 13
	s_ashr_i32 s5, s4, 31
	s_lshl_b64 s[4:5], s[4:5], 2
	s_waitcnt lgkmcnt(0)
	s_add_u32 s4, s2, s4
	s_mul_i32 s2, s8, 6
	s_addc_u32 s5, s3, s5
	s_ashr_i32 s3, s2, 31
	s_lshl_b64 s[2:3], s[2:3], 2
	s_add_u32 s2, s4, s2
	s_addc_u32 s3, s5, s3
	s_ashr_i32 s9, s8, 31
	s_mul_i32 s5, s8, 20
	s_mul_hi_i32 s4, s8, 20
	s_add_u32 s6, s2, s5
	s_addc_u32 s7, s3, s4
	s_mul_i32 s4, s10, 10
	s_ashr_i32 s5, s4, 31
	s_lshl_b64 s[4:5], s[4:5], 2
	s_add_u32 s4, s0, s4
	s_addc_u32 s5, s1, s5
	s_lshl_b32 s0, s8, 2
	s_ashr_i32 s1, s0, 31
	s_lshl_b64 s[0:1], s[0:1], 2
	s_add_u32 s4, s4, s0
	s_addc_u32 s5, s5, s1
	s_lshl_b64 s[0:1], s[8:9], 3
	s_add_u32 s10, s4, s0
	v_add_u32_e32 v1, -1, v0
	v_cmp_lt_i32_e32 vcc, 0, v0
	s_addc_u32 s11, s5, s1
	s_lshl_b64 s[0:1], s[8:9], 4
	v_cndmask_b32_e32 v4, 0, v1, vcc
	v_ashrrev_i32_e32 v1, 31, v0
	s_sub_u32 s9, s6, s0
	v_lshlrev_b64 v[2:3], 2, v[0:1]
	s_subb_u32 s12, s7, s1
	v_mov_b32_e32 v1, s5
	v_add_co_u32_e64 v6, s[0:1], s4, v2
	v_addc_co_u32_e64 v7, s[0:1], v1, v3, s[0:1]
	v_mov_b32_e32 v1, s11
	v_add_co_u32_e64 v8, s[0:1], s10, v2
	v_ashrrev_i32_e32 v5, 31, v4
	v_addc_co_u32_e64 v9, s[0:1], v1, v3, s[0:1]
	v_lshlrev_b64 v[10:11], 2, v[4:5]
	v_add_co_u32_e64 v12, s[0:1], s10, v10
	v_addc_co_u32_e64 v13, s[0:1], v1, v11, s[0:1]
	global_load_dword v1, v[6:7], off
	global_load_dword v4, v[8:9], off
	;; [unrolled: 1-line block ×3, first 2 shown]
	v_mov_b32_e32 v6, s12
	v_add_co_u32_e64 v8, s[0:1], s9, v2
	v_addc_co_u32_e64 v9, s[0:1], v6, v3, s[0:1]
	v_mov_b32_e32 v6, s3
	v_add_co_u32_e64 v12, s[0:1], s2, v2
	v_addc_co_u32_e64 v13, s[0:1], v6, v3, s[0:1]
	global_load_dword v6, v[8:9], off
	global_load_dword v7, v[12:13], off
	v_mov_b32_e32 v9, s3
	v_add_co_u32_e64 v8, s[0:1], s2, v10
	v_addc_co_u32_e64 v9, s[0:1], v9, v11, s[0:1]
	global_load_dword v8, v[8:9], off
	v_mov_b32_e32 v10, 0
	s_waitcnt vmcnt(2)
	v_add_u32_e32 v11, -1, v6
	s_waitcnt vmcnt(1)
	v_sub_u32_e32 v9, v0, v7
	v_cmp_lt_i32_e64 s[0:1], v9, v11
	s_and_saveexec_b64 s[4:5], s[0:1]
	s_cbranch_execz .LBB30_5
; %bb.2:
	v_add_u32_e32 v10, 1, v0
	v_cmp_gt_i32_e64 s[0:1], s8, v10
	v_cndmask_b32_e64 v10, v0, v10, s[0:1]
	v_ashrrev_i32_e32 v11, 31, v10
	v_lshlrev_b64 v[10:11], 2, v[10:11]
	v_mov_b32_e32 v13, s11
	v_add_co_u32_e64 v12, s[0:1], s10, v10
	v_addc_co_u32_e64 v13, s[0:1], v13, v11, s[0:1]
	v_mov_b32_e32 v14, s3
	v_add_co_u32_e64 v10, s[0:1], s2, v10
	v_addc_co_u32_e64 v11, s[0:1], v14, v11, s[0:1]
	global_load_dword v14, v[10:11], off
	global_load_dword v15, v[12:13], off
	s_waitcnt vmcnt(1)
	v_cmp_eq_u32_e64 s[0:1], v7, v14
	s_waitcnt vmcnt(0)
	v_sub_f32_e32 v10, v4, v15
	v_and_b32_e32 v10, 0x7fffffff, v10
	v_cmp_le_f32_e64 s[2:3], v10, v1
	s_and_b64 s[0:1], s[0:1], s[2:3]
	v_mov_b32_e32 v10, 0
	s_and_saveexec_b64 s[2:3], s[0:1]
; %bb.3:
	s_add_i32 s0, s8, -1
	v_cmp_ne_u32_e64 s[0:1], s0, v0
	v_cndmask_b32_e64 v10, 0, 1, s[0:1]
; %bb.4:
	s_or_b64 exec, exec, s[2:3]
.LBB30_5:
	s_or_b64 exec, exec, s[4:5]
	v_sub_f32_e32 v0, v4, v5
	v_cmp_ge_i32_e64 s[0:1], v9, v6
	s_waitcnt vmcnt(0)
	v_cmp_ne_u32_e64 s[2:3], v7, v8
	v_and_b32_e32 v0, 0x7fffffff, v0
	s_or_b64 s[2:3], s[0:1], s[2:3]
	v_cmp_nle_f32_e64 s[0:1], v0, v1
	v_cndmask_b32_e64 v0, 0, 2, vcc
	s_or_b64 s[0:1], s[2:3], s[0:1]
	v_cndmask_b32_e64 v0, v0, 0, s[0:1]
	v_or_b32_e32 v4, v10, v0
	v_mov_b32_e32 v1, s7
	v_add_co_u32_e32 v0, vcc, s6, v2
	v_addc_co_u32_e32 v1, vcc, v1, v3, vcc
	global_store_dword v[0:1], v4, off
.LBB30_6:
	s_endpgm
	.section	.rodata,"a",@progbits
	.p2align	6, 0x0
	.amdhsa_kernel _ZN9rocsolver6v33100L38stedc_mergePrepare_SetCandFlags_kernelIfEEviiPT_lS3_Pi
		.amdhsa_group_segment_fixed_size 0
		.amdhsa_private_segment_fixed_size 0
		.amdhsa_kernarg_size 296
		.amdhsa_user_sgpr_count 6
		.amdhsa_user_sgpr_private_segment_buffer 1
		.amdhsa_user_sgpr_dispatch_ptr 0
		.amdhsa_user_sgpr_queue_ptr 0
		.amdhsa_user_sgpr_kernarg_segment_ptr 1
		.amdhsa_user_sgpr_dispatch_id 0
		.amdhsa_user_sgpr_flat_scratch_init 0
		.amdhsa_user_sgpr_kernarg_preload_length 0
		.amdhsa_user_sgpr_kernarg_preload_offset 0
		.amdhsa_user_sgpr_private_segment_size 0
		.amdhsa_uses_dynamic_stack 0
		.amdhsa_system_sgpr_private_segment_wavefront_offset 0
		.amdhsa_system_sgpr_workgroup_id_x 1
		.amdhsa_system_sgpr_workgroup_id_y 1
		.amdhsa_system_sgpr_workgroup_id_z 0
		.amdhsa_system_sgpr_workgroup_info 0
		.amdhsa_system_vgpr_workitem_id 0
		.amdhsa_next_free_vgpr 16
		.amdhsa_next_free_sgpr 13
		.amdhsa_accum_offset 16
		.amdhsa_reserve_vcc 1
		.amdhsa_reserve_flat_scratch 0
		.amdhsa_float_round_mode_32 0
		.amdhsa_float_round_mode_16_64 0
		.amdhsa_float_denorm_mode_32 3
		.amdhsa_float_denorm_mode_16_64 3
		.amdhsa_dx10_clamp 1
		.amdhsa_ieee_mode 1
		.amdhsa_fp16_overflow 0
		.amdhsa_tg_split 0
		.amdhsa_exception_fp_ieee_invalid_op 0
		.amdhsa_exception_fp_denorm_src 0
		.amdhsa_exception_fp_ieee_div_zero 0
		.amdhsa_exception_fp_ieee_overflow 0
		.amdhsa_exception_fp_ieee_underflow 0
		.amdhsa_exception_fp_ieee_inexact 0
		.amdhsa_exception_int_div_zero 0
	.end_amdhsa_kernel
	.section	.text._ZN9rocsolver6v33100L38stedc_mergePrepare_SetCandFlags_kernelIfEEviiPT_lS3_Pi,"axG",@progbits,_ZN9rocsolver6v33100L38stedc_mergePrepare_SetCandFlags_kernelIfEEviiPT_lS3_Pi,comdat
.Lfunc_end30:
	.size	_ZN9rocsolver6v33100L38stedc_mergePrepare_SetCandFlags_kernelIfEEviiPT_lS3_Pi, .Lfunc_end30-_ZN9rocsolver6v33100L38stedc_mergePrepare_SetCandFlags_kernelIfEEviiPT_lS3_Pi
                                        ; -- End function
	.section	.AMDGPU.csdata,"",@progbits
; Kernel info:
; codeLenInByte = 680
; NumSgprs: 17
; NumVgprs: 16
; NumAgprs: 0
; TotalNumVgprs: 16
; ScratchSize: 0
; MemoryBound: 0
; FloatMode: 240
; IeeeMode: 1
; LDSByteSize: 0 bytes/workgroup (compile time only)
; SGPRBlocks: 2
; VGPRBlocks: 1
; NumSGPRsForWavesPerEU: 17
; NumVGPRsForWavesPerEU: 16
; AccumOffset: 16
; Occupancy: 8
; WaveLimiterHint : 0
; COMPUTE_PGM_RSRC2:SCRATCH_EN: 0
; COMPUTE_PGM_RSRC2:USER_SGPR: 6
; COMPUTE_PGM_RSRC2:TRAP_HANDLER: 0
; COMPUTE_PGM_RSRC2:TGID_X_EN: 1
; COMPUTE_PGM_RSRC2:TGID_Y_EN: 1
; COMPUTE_PGM_RSRC2:TGID_Z_EN: 0
; COMPUTE_PGM_RSRC2:TIDIG_COMP_CNT: 0
; COMPUTE_PGM_RSRC3_GFX90A:ACCUM_OFFSET: 3
; COMPUTE_PGM_RSRC3_GFX90A:TG_SPLIT: 0
	.section	.text._ZN9rocsolver6v33100L38stedc_mergePrepare_DeflateCount_kernelIfEEviiPT_lS3_Pi,"axG",@progbits,_ZN9rocsolver6v33100L38stedc_mergePrepare_DeflateCount_kernelIfEEviiPT_lS3_Pi,comdat
	.globl	_ZN9rocsolver6v33100L38stedc_mergePrepare_DeflateCount_kernelIfEEviiPT_lS3_Pi ; -- Begin function _ZN9rocsolver6v33100L38stedc_mergePrepare_DeflateCount_kernelIfEEviiPT_lS3_Pi
	.p2align	8
	.type	_ZN9rocsolver6v33100L38stedc_mergePrepare_DeflateCount_kernelIfEEviiPT_lS3_Pi,@function
_ZN9rocsolver6v33100L38stedc_mergePrepare_DeflateCount_kernelIfEEviiPT_lS3_Pi: ; @_ZN9rocsolver6v33100L38stedc_mergePrepare_DeflateCount_kernelIfEEviiPT_lS3_Pi
; %bb.0:
	s_load_dword s12, s[4:5], 0x4
	s_load_dwordx4 s[8:11], s[4:5], 0x18
	s_load_dword s2, s[4:5], 0x34
	s_waitcnt lgkmcnt(0)
	s_mul_i32 s20, s7, s12
	s_mul_i32 s0, s20, 13
	s_ashr_i32 s1, s0, 31
	s_lshl_b64 s[14:15], s[0:1], 2
	s_add_u32 s3, s10, s14
	s_mul_i32 s0, s12, 9
	s_addc_u32 s4, s11, s15
	s_ashr_i32 s1, s0, 31
	s_lshl_b64 s[16:17], s[0:1], 2
	s_add_u32 s24, s3, s16
	s_addc_u32 s25, s4, s17
	s_ashr_i32 s13, s12, 31
	s_lshl_b64 s[18:19], s[12:13], 3
	s_add_u32 s21, s24, s18
	s_addc_u32 s22, s25, s19
	s_and_b32 s26, s2, 0xffff
	s_mul_i32 s13, s6, s26
	v_add_u32_e32 v2, s13, v0
	v_add_u32_e32 v1, -1, v2
	v_cmp_lt_i32_e32 vcc, 0, v2
	v_cndmask_b32_e32 v4, 0, v1, vcc
	v_cmp_gt_i32_e32 vcc, s12, v4
	s_mov_b64 s[4:5], -1
	s_and_saveexec_b64 s[0:1], vcc
	s_cbranch_execz .LBB31_2
; %bb.1:
	v_ashrrev_i32_e32 v5, 31, v4
	v_lshlrev_b64 v[4:5], 2, v[4:5]
	v_mov_b32_e32 v1, s22
	v_add_co_u32_e32 v4, vcc, s21, v4
	v_addc_co_u32_e32 v5, vcc, v1, v5, vcc
	global_load_dword v1, v[4:5], off
	s_waitcnt vmcnt(0)
	v_and_b32_e32 v1, 1, v1
	v_cmp_eq_u32_e32 vcc, 0, v1
	s_orn2_b64 s[4:5], vcc, exec
.LBB31_2:
	s_or_b64 exec, exec, s[0:1]
	v_cmp_le_i32_e32 vcc, s12, v2
	v_cmp_gt_i32_e64 s[0:1], s12, v2
	s_mov_b64 s[2:3], 0
	v_ashrrev_i32_e32 v3, 31, v2
	s_and_saveexec_b64 s[6:7], s[0:1]
	s_cbranch_execz .LBB31_4
; %bb.3:
	v_lshlrev_b64 v[4:5], 2, v[2:3]
	v_mov_b32_e32 v1, s22
	v_add_co_u32_e64 v4, s[2:3], s21, v4
	v_addc_co_u32_e64 v5, s[2:3], v1, v5, s[2:3]
	global_load_dword v1, v[4:5], off
	s_waitcnt vmcnt(0)
	v_and_b32_e32 v1, 1, v1
	v_cmp_eq_u32_e64 s[2:3], 1, v1
	s_and_b64 s[2:3], s[2:3], exec
.LBB31_4:
	s_or_b64 exec, exec, s[6:7]
	s_mul_i32 s6, s20, 10
	s_ashr_i32 s7, s6, 31
	s_lshl_b64 s[6:7], s[6:7], 2
	s_add_u32 s22, s8, s6
	s_mul_i32 s20, s12, 6
	s_addc_u32 s23, s9, s7
	s_ashr_i32 s21, s20, 31
	s_lshl_b64 s[20:21], s[20:21], 2
	s_add_u32 s27, s22, s20
	s_addc_u32 s28, s23, s21
	v_mov_b32_e32 v7, 0
	s_and_saveexec_b64 s[22:23], s[0:1]
	s_cbranch_execz .LBB31_6
; %bb.5:
	v_lshlrev_b64 v[4:5], 2, v[2:3]
	v_mov_b32_e32 v1, s28
	v_add_co_u32_e64 v4, s[0:1], s27, v4
	v_addc_co_u32_e64 v5, s[0:1], v1, v5, s[0:1]
	global_load_dword v7, v[4:5], off
.LBB31_6:
	s_or_b64 exec, exec, s[22:23]
                                        ; implicit-def: $sgpr22
	s_and_saveexec_b64 s[0:1], vcc
	s_xor_b64 s[0:1], exec, s[0:1]
	s_cbranch_execz .LBB31_8
; %bb.7:
	s_mov_b32 s22, 0
	s_or_saveexec_b64 s[0:1], s[0:1]
	v_mov_b32_e32 v8, s22
	s_xor_b64 exec, exec, s[0:1]
	s_cbranch_execnz .LBB31_9
	s_branch .LBB31_10
.LBB31_8:
	s_or_saveexec_b64 s[0:1], s[0:1]
	v_mov_b32_e32 v8, s22
	s_xor_b64 exec, exec, s[0:1]
	s_cbranch_execz .LBB31_10
.LBB31_9:
	s_sub_u32 s22, s27, s18
	s_subb_u32 s23, s28, s19
	v_lshlrev_b64 v[4:5], 2, v[2:3]
	v_mov_b32_e32 v1, s23
	v_add_co_u32_e32 v4, vcc, s22, v4
	v_addc_co_u32_e32 v5, vcc, v1, v5, vcc
	global_load_dword v8, v[4:5], off
.LBB31_10:
	s_or_b64 exec, exec, s[0:1]
	s_lshl_b32 s22, s26, 2
	s_add_u32 s0, s18, s14
	s_addc_u32 s1, s19, s15
	s_add_u32 s16, s0, s16
	s_addc_u32 s17, s1, s17
	;; [unrolled: 2-line block ×3, first 2 shown]
	s_add_u32 s18, s6, s20
	v_lshlrev_b64 v[10:11], 2, v[2:3]
	s_addc_u32 s19, s7, s21
	v_mov_b32_e32 v4, s1
	v_add_co_u32_e32 v1, vcc, s0, v10
	s_add_u32 s0, s8, s18
	v_addc_co_u32_e32 v4, vcc, v4, v11, vcc
	s_addc_u32 s1, s9, s19
	v_lshlrev_b32_e32 v9, 2, v0
	v_mov_b32_e32 v6, s1
	v_add_co_u32_e32 v5, vcc, s0, v10
	v_addc_co_u32_e32 v6, vcc, v6, v11, vcc
	s_mov_b64 s[0:1], 0
	s_movk_i32 s20, 0xfff
	s_mov_b64 s[6:7], 0
	v_mov_b32_e32 v10, v9
	v_mov_b32_e32 v11, v0
	s_branch .LBB31_12
.LBB31_11:                              ;   in Loop: Header=BB31_12 Depth=1
	s_or_b64 exec, exec, s[14:15]
	v_add_u32_e32 v11, s26, v11
	s_add_u32 s6, s6, s22
	s_addc_u32 s7, s7, 0
	v_cmp_lt_u32_e32 vcc, s20, v11
	s_waitcnt vmcnt(0)
	ds_write2st64_b32 v10, v12, v13 offset1:64
	s_or_b64 s[0:1], vcc, s[0:1]
	v_add_u32_e32 v10, s22, v10
	s_andn2_b64 exec, exec, s[0:1]
	s_cbranch_execz .LBB31_14
.LBB31_12:                              ; =>This Inner Loop Header: Depth=1
	v_add_u32_e32 v12, s13, v11
	v_cmp_gt_i32_e32 vcc, s12, v12
	v_mov_b32_e32 v12, 0
	v_mov_b32_e32 v13, 0
	s_and_saveexec_b64 s[14:15], vcc
	s_cbranch_execz .LBB31_11
; %bb.13:                               ;   in Loop: Header=BB31_12 Depth=1
	v_mov_b32_e32 v15, s7
	v_add_co_u32_e32 v12, vcc, s6, v5
	v_addc_co_u32_e32 v13, vcc, v6, v15, vcc
	v_add_co_u32_e32 v14, vcc, s6, v1
	v_addc_co_u32_e32 v15, vcc, v4, v15, vcc
	global_load_dword v12, v[12:13], off
	s_nop 0
	global_load_dword v13, v[14:15], off
	s_branch .LBB31_11
.LBB31_14:
	s_or_b64 exec, exec, s[0:1]
	v_cmp_eq_u32_e32 vcc, 0, v2
	s_or_b64 s[0:1], vcc, s[4:5]
	s_and_b64 s[0:1], s[2:3], s[0:1]
	s_waitcnt lgkmcnt(0)
	s_barrier
	s_and_saveexec_b64 s[2:3], s[0:1]
	s_cbranch_execz .LBB31_22
; %bb.15:
	v_lshlrev_b32_e32 v1, 2, v0
	ds_read_b32 v1, v1 offset:16392
	v_add_u32_e32 v4, 2, v2
	v_cmp_gt_i32_e32 vcc, s12, v4
	s_waitcnt lgkmcnt(0)
	v_and_b32_e32 v1, 2, v1
	v_cmp_ne_u32_e64 s[0:1], 0, v1
	s_and_b64 s[0:1], vcc, s[0:1]
	s_and_saveexec_b64 s[2:3], s[0:1]
	s_cbranch_execz .LBB31_21
; %bb.16:
	v_ashrrev_i32_e32 v5, 31, v4
	s_add_u32 s0, s10, s16
	v_lshlrev_b64 v[10:11], 2, v[4:5]
	s_addc_u32 s1, s11, s17
	v_mov_b32_e32 v1, s1
	v_add_co_u32_e32 v3, vcc, s0, v10
	v_addc_co_u32_e32 v1, vcc, v1, v11, vcc
	v_add_co_u32_e32 v4, vcc, 4, v3
	s_add_u32 s0, s8, s18
	v_addc_co_u32_e32 v1, vcc, 0, v1, vcc
	s_addc_u32 s1, s9, s19
	v_mov_b32_e32 v3, s1
	v_add_co_u32_e32 v6, vcc, s0, v10
	s_mov_b64 s[0:1], src_shared_base
	v_addc_co_u32_e32 v5, vcc, v3, v11, vcc
	v_add_u32_e32 v9, 0x400c, v9
	s_mov_b64 s[4:5], 0
	s_movk_i32 s6, 0x1000
	v_mov_b32_e32 v10, s1
	s_branch .LBB31_18
.LBB31_17:                              ;   in Loop: Header=BB31_18 Depth=1
	s_or_b64 exec, exec, s[0:1]
	v_add_u32_e32 v3, 3, v0
	v_cmp_gt_i32_e32 vcc, s6, v3
	v_cndmask_b32_e32 v13, v1, v10, vcc
	v_cndmask_b32_e32 v12, v4, v9, vcc
	flat_load_dword v3, v[12:13]
	v_add_co_u32_e32 v6, vcc, 4, v6
	v_add_co_u32_e64 v4, s[0:1], 4, v4
	v_add_u32_e32 v11, 3, v11
	v_addc_co_u32_e32 v5, vcc, 0, v5, vcc
	v_addc_co_u32_e64 v1, s[0:1], 0, v1, s[0:1]
	v_cmp_le_i32_e32 vcc, s12, v11
	v_add_u32_e32 v0, 1, v0
	v_add_u32_e32 v9, 4, v9
	s_waitcnt vmcnt(0) lgkmcnt(0)
	v_and_b32_e32 v3, 2, v3
	v_cmp_eq_u32_e64 s[0:1], 0, v3
	s_or_b64 s[0:1], vcc, s[0:1]
	s_and_b64 s[0:1], exec, s[0:1]
	s_or_b64 s[4:5], s[0:1], s[4:5]
	s_andn2_b64 exec, exec, s[4:5]
	s_cbranch_execz .LBB31_20
.LBB31_18:                              ; =>This Inner Loop Header: Depth=1
	v_add_u32_e32 v3, 2, v0
	v_add_u32_e32 v11, 0xffffbffc, v9
	v_cmp_gt_i32_e32 vcc, s6, v3
	v_cndmask_b32_e32 v12, v6, v11, vcc
	v_cndmask_b32_e32 v13, v5, v10, vcc
	flat_load_dword v12, v[12:13]
	v_add_u32_e32 v11, s13, v0
	s_waitcnt vmcnt(0) lgkmcnt(0)
	v_sub_f32_e32 v3, v12, v7
	v_cmp_gt_f32_e32 vcc, v3, v8
	s_and_saveexec_b64 s[0:1], vcc
	s_cbranch_execz .LBB31_17
; %bb.19:                               ;   in Loop: Header=BB31_18 Depth=1
	v_ashrrev_i32_e32 v3, 31, v2
	v_lshlrev_b64 v[14:15], 2, v[2:3]
	v_mov_b32_e32 v3, s25
	v_add_co_u32_e32 v14, vcc, s24, v14
	v_sub_u32_e32 v2, v11, v2
	v_add_u32_e32 v13, 2, v11
	v_addc_co_u32_e32 v15, vcc, v3, v15, vcc
	v_add_u32_e32 v2, 1, v2
	global_store_dword v[14:15], v2, off
	v_mov_b32_e32 v7, v12
	v_mov_b32_e32 v2, v13
	s_branch .LBB31_17
.LBB31_20:
	s_or_b64 exec, exec, s[4:5]
	v_add3_u32 v4, s13, v0, 2
	v_ashrrev_i32_e32 v3, 31, v2
.LBB31_21:
	s_or_b64 exec, exec, s[2:3]
	v_lshlrev_b64 v[0:1], 2, v[2:3]
	v_xad_u32 v4, v2, -1, v4
	v_mov_b32_e32 v2, s25
	v_add_co_u32_e32 v0, vcc, s24, v0
	v_addc_co_u32_e32 v1, vcc, v2, v1, vcc
	global_store_dword v[0:1], v4, off
.LBB31_22:
	s_endpgm
	.section	.rodata,"a",@progbits
	.p2align	6, 0x0
	.amdhsa_kernel _ZN9rocsolver6v33100L38stedc_mergePrepare_DeflateCount_kernelIfEEviiPT_lS3_Pi
		.amdhsa_group_segment_fixed_size 32768
		.amdhsa_private_segment_fixed_size 0
		.amdhsa_kernarg_size 296
		.amdhsa_user_sgpr_count 6
		.amdhsa_user_sgpr_private_segment_buffer 1
		.amdhsa_user_sgpr_dispatch_ptr 0
		.amdhsa_user_sgpr_queue_ptr 0
		.amdhsa_user_sgpr_kernarg_segment_ptr 1
		.amdhsa_user_sgpr_dispatch_id 0
		.amdhsa_user_sgpr_flat_scratch_init 0
		.amdhsa_user_sgpr_kernarg_preload_length 0
		.amdhsa_user_sgpr_kernarg_preload_offset 0
		.amdhsa_user_sgpr_private_segment_size 0
		.amdhsa_uses_dynamic_stack 0
		.amdhsa_system_sgpr_private_segment_wavefront_offset 0
		.amdhsa_system_sgpr_workgroup_id_x 1
		.amdhsa_system_sgpr_workgroup_id_y 1
		.amdhsa_system_sgpr_workgroup_id_z 0
		.amdhsa_system_sgpr_workgroup_info 0
		.amdhsa_system_vgpr_workitem_id 0
		.amdhsa_next_free_vgpr 16
		.amdhsa_next_free_sgpr 29
		.amdhsa_accum_offset 16
		.amdhsa_reserve_vcc 1
		.amdhsa_reserve_flat_scratch 0
		.amdhsa_float_round_mode_32 0
		.amdhsa_float_round_mode_16_64 0
		.amdhsa_float_denorm_mode_32 3
		.amdhsa_float_denorm_mode_16_64 3
		.amdhsa_dx10_clamp 1
		.amdhsa_ieee_mode 1
		.amdhsa_fp16_overflow 0
		.amdhsa_tg_split 0
		.amdhsa_exception_fp_ieee_invalid_op 0
		.amdhsa_exception_fp_denorm_src 0
		.amdhsa_exception_fp_ieee_div_zero 0
		.amdhsa_exception_fp_ieee_overflow 0
		.amdhsa_exception_fp_ieee_underflow 0
		.amdhsa_exception_fp_ieee_inexact 0
		.amdhsa_exception_int_div_zero 0
	.end_amdhsa_kernel
	.section	.text._ZN9rocsolver6v33100L38stedc_mergePrepare_DeflateCount_kernelIfEEviiPT_lS3_Pi,"axG",@progbits,_ZN9rocsolver6v33100L38stedc_mergePrepare_DeflateCount_kernelIfEEviiPT_lS3_Pi,comdat
.Lfunc_end31:
	.size	_ZN9rocsolver6v33100L38stedc_mergePrepare_DeflateCount_kernelIfEEviiPT_lS3_Pi, .Lfunc_end31-_ZN9rocsolver6v33100L38stedc_mergePrepare_DeflateCount_kernelIfEEviiPT_lS3_Pi
                                        ; -- End function
	.section	.AMDGPU.csdata,"",@progbits
; Kernel info:
; codeLenInByte = 1120
; NumSgprs: 33
; NumVgprs: 16
; NumAgprs: 0
; TotalNumVgprs: 16
; ScratchSize: 0
; MemoryBound: 0
; FloatMode: 240
; IeeeMode: 1
; LDSByteSize: 32768 bytes/workgroup (compile time only)
; SGPRBlocks: 4
; VGPRBlocks: 1
; NumSGPRsForWavesPerEU: 33
; NumVGPRsForWavesPerEU: 16
; AccumOffset: 16
; Occupancy: 4
; WaveLimiterHint : 0
; COMPUTE_PGM_RSRC2:SCRATCH_EN: 0
; COMPUTE_PGM_RSRC2:USER_SGPR: 6
; COMPUTE_PGM_RSRC2:TRAP_HANDLER: 0
; COMPUTE_PGM_RSRC2:TGID_X_EN: 1
; COMPUTE_PGM_RSRC2:TGID_Y_EN: 1
; COMPUTE_PGM_RSRC2:TGID_Z_EN: 0
; COMPUTE_PGM_RSRC2:TIDIG_COMP_CNT: 0
; COMPUTE_PGM_RSRC3_GFX90A:ACCUM_OFFSET: 3
; COMPUTE_PGM_RSRC3_GFX90A:TG_SPLIT: 0
	.section	.text._ZN9rocsolver6v33100L38stedc_mergePrepare_DeflateApply_kernelIfEEviiPT_lS3_Pi,"axG",@progbits,_ZN9rocsolver6v33100L38stedc_mergePrepare_DeflateApply_kernelIfEEviiPT_lS3_Pi,comdat
	.globl	_ZN9rocsolver6v33100L38stedc_mergePrepare_DeflateApply_kernelIfEEviiPT_lS3_Pi ; -- Begin function _ZN9rocsolver6v33100L38stedc_mergePrepare_DeflateApply_kernelIfEEviiPT_lS3_Pi
	.p2align	8
	.type	_ZN9rocsolver6v33100L38stedc_mergePrepare_DeflateApply_kernelIfEEviiPT_lS3_Pi,@function
_ZN9rocsolver6v33100L38stedc_mergePrepare_DeflateApply_kernelIfEEviiPT_lS3_Pi: ; @_ZN9rocsolver6v33100L38stedc_mergePrepare_DeflateApply_kernelIfEEviiPT_lS3_Pi
; %bb.0:
	s_load_dword s8, s[4:5], 0x4
	s_load_dwordx4 s[0:3], s[4:5], 0x18
	s_load_dword s18, s[4:5], 0x34
                                        ; implicit-def: $sgpr20
	s_waitcnt lgkmcnt(0)
	s_mul_i32 s19, s7, s8
	s_mul_i32 s4, s19, 13
	s_ashr_i32 s5, s4, 31
	s_lshl_b64 s[10:11], s[4:5], 2
	s_add_u32 s7, s2, s10
	s_addc_u32 s9, s3, s11
	s_lshl_b32 s4, s8, 3
	s_ashr_i32 s5, s4, 31
	s_lshl_b64 s[12:13], s[4:5], 2
	s_add_u32 s16, s7, s12
	s_addc_u32 s21, s9, s13
	s_ashr_i32 s9, s8, 31
	s_lshl_b64 s[14:15], s[8:9], 3
	s_add_u32 s17, s16, s14
	s_addc_u32 s22, s21, s15
	s_and_b32 s23, s18, 0xffff
	s_mul_i32 s18, s6, s23
	v_add_u32_e32 v2, s18, v0
	v_cmp_le_i32_e32 vcc, s8, v2
	v_ashrrev_i32_e32 v3, 31, v2
	s_and_saveexec_b64 s[4:5], vcc
	s_xor_b64 s[4:5], exec, s[4:5]
; %bb.1:
	s_mov_b32 s20, 0
; %bb.2:
	s_or_saveexec_b64 s[6:7], s[4:5]
	s_lshl_b64 s[4:5], s[8:9], 2
	v_mov_b32_e32 v6, s20
	s_xor_b64 exec, exec, s[6:7]
	s_cbranch_execz .LBB32_4
; %bb.3:
	s_sub_u32 s9, s17, s4
	s_subb_u32 s20, s22, s5
	v_lshlrev_b64 v[4:5], 2, v[2:3]
	v_mov_b32_e32 v1, s20
	v_add_co_u32_e32 v4, vcc, s9, v4
	v_addc_co_u32_e32 v5, vcc, v1, v5, vcc
	global_load_dword v6, v[4:5], off
.LBB32_4:
	s_or_b64 exec, exec, s[6:7]
	s_mul_i32 s6, s19, 10
	s_ashr_i32 s7, s6, 31
	s_lshl_b64 s[6:7], s[6:7], 2
	s_add_u32 s19, s0, s6
	s_addc_u32 s20, s1, s7
	s_lshl_b32 s6, s23, 2
	s_add_u32 s0, s14, s10
	s_addc_u32 s1, s15, s11
	s_add_u32 s0, s0, s12
	s_addc_u32 s1, s1, s13
	s_add_u32 s0, s2, s0
	v_lshlrev_b64 v[2:3], 2, v[2:3]
	s_addc_u32 s1, s3, s1
	v_lshlrev_b32_e32 v1, 2, v0
	v_mov_b32_e32 v4, s1
	v_add_co_u32_e32 v2, vcc, s0, v2
	s_mov_b32 s2, 0
	v_addc_co_u32_e32 v3, vcc, v4, v3, vcc
	s_mov_b64 s[0:1], 0
	v_mov_b32_e32 v7, s2
	s_movk_i32 s7, 0xfff
	v_mov_b32_e32 v8, v1
	v_mov_b32_e32 v9, v0
	s_branch .LBB32_6
.LBB32_5:                               ;   in Loop: Header=BB32_6 Depth=1
	s_or_b64 exec, exec, s[2:3]
	v_add_u32_e32 v9, s23, v9
	v_cmp_lt_u32_e32 vcc, s7, v9
	s_or_b64 s[0:1], vcc, s[0:1]
	v_add_co_u32_e32 v2, vcc, s6, v2
	s_waitcnt vmcnt(0)
	ds_write2st64_b32 v8, v5, v4 offset1:64
	v_add_u32_e32 v8, s6, v8
	v_addc_co_u32_e32 v3, vcc, v3, v7, vcc
	s_andn2_b64 exec, exec, s[0:1]
	s_cbranch_execz .LBB32_8
.LBB32_6:                               ; =>This Inner Loop Header: Depth=1
	v_add_u32_e32 v4, s18, v9
	v_cmp_gt_i32_e32 vcc, s8, v4
	v_mov_b32_e32 v4, 0
	v_mov_b32_e32 v5, 0
	s_and_saveexec_b64 s[2:3], vcc
	s_cbranch_execz .LBB32_5
; %bb.7:                                ;   in Loop: Header=BB32_6 Depth=1
	global_load_dword v4, v[2:3], off
	v_mov_b32_e32 v12, s20
	s_waitcnt vmcnt(0)
	v_ashrrev_i32_e32 v5, 31, v4
	v_lshlrev_b64 v[10:11], 2, v[4:5]
	v_add_co_u32_e32 v10, vcc, s19, v10
	v_addc_co_u32_e32 v11, vcc, v12, v11, vcc
	global_load_dword v5, v[10:11], off
	s_branch .LBB32_5
.LBB32_8:
	s_or_b64 exec, exec, s[0:1]
	v_cmp_ne_u32_e32 vcc, 0, v6
	s_waitcnt lgkmcnt(0)
	s_barrier
	s_and_saveexec_b64 s[0:1], vcc
	s_cbranch_execz .LBB32_24
; %bb.9:
	v_lshlrev_b32_e32 v5, 2, v0
	ds_read_b32 v4, v5
	v_cmp_lt_i32_e32 vcc, 0, v6
	s_and_saveexec_b64 s[2:3], vcc
	s_cbranch_execz .LBB32_23
; %bb.10:
	s_lshl_b32 s0, s8, 1
	s_ashr_i32 s1, s0, 31
	s_lshl_b64 s[0:1], s[0:1], 2
	s_add_u32 s12, s19, s0
	s_addc_u32 s6, s20, s1
	s_add_u32 s13, s12, s4
	s_addc_u32 s7, s6, s5
	s_mov_b64 s[0:1], src_shared_base
	v_add_u32_e32 v7, 0x4004, v1
	v_add_u32_e32 v8, 1, v0
	s_mov_b64 s[4:5], 0
	s_movk_i32 s14, 0x1000
	v_mov_b32_e32 v9, s22
	v_mov_b32_e32 v10, s1
	;; [unrolled: 1-line block ×3, first 2 shown]
	s_mov_b32 s15, 0xf800000
	v_mov_b32_e32 v12, 0x260
	v_mov_b32_e32 v13, s21
	;; [unrolled: 1-line block ×5, first 2 shown]
	s_branch .LBB32_13
.LBB32_11:                              ;   in Loop: Header=BB32_13 Depth=1
	s_or_b64 exec, exec, s[0:1]
.LBB32_12:                              ;   in Loop: Header=BB32_13 Depth=1
	s_or_b64 exec, exec, s[6:7]
	v_add_co_u32_e32 v20, vcc, s16, v0
	v_addc_co_u32_e32 v21, vcc, v13, v1, vcc
	global_store_dword v[20:21], v14, off
	global_store_dword v[2:3], v14, off
	v_add_co_u32_e32 v2, vcc, s12, v0
	v_addc_co_u32_e32 v3, vcc, v15, v1, vcc
	v_add_co_u32_e32 v0, vcc, s13, v0
	v_addc_co_u32_e32 v1, vcc, v16, v1, vcc
	v_add_u32_e32 v6, -1, v6
	v_cmp_eq_u32_e32 vcc, 0, v6
	v_add_u32_e32 v7, 4, v7
	s_or_b64 s[4:5], vcc, s[4:5]
	v_add_u32_e32 v8, 1, v8
	global_store_dword v[2:3], v19, off
	global_store_dword v[0:1], v18, off
	s_andn2_b64 exec, exec, s[4:5]
	s_cbranch_execz .LBB32_22
.LBB32_13:                              ; =>This Inner Loop Header: Depth=1
	v_add_u32_e32 v0, s18, v8
	v_ashrrev_i32_e32 v1, 31, v0
	v_lshlrev_b64 v[0:1], 2, v[0:1]
	v_add_co_u32_e32 v0, vcc, s17, v0
	v_addc_co_u32_e32 v1, vcc, v9, v1, vcc
	v_cmp_gt_i32_e32 vcc, s14, v8
	v_cndmask_b32_e32 v1, v1, v10, vcc
	v_cndmask_b32_e32 v0, v0, v7, vcc
	flat_load_dword v0, v[0:1]
	v_add_u32_e32 v17, 0xffffc000, v7
	s_waitcnt vmcnt(0) lgkmcnt(0)
	v_ashrrev_i32_e32 v1, 31, v0
	v_lshlrev_b64 v[0:1], 2, v[0:1]
	v_add_co_u32_e64 v2, s[0:1], s19, v0
	v_addc_co_u32_e64 v3, s[0:1], v11, v1, s[0:1]
	v_cndmask_b32_e32 v19, v3, v10, vcc
	v_cndmask_b32_e32 v18, v2, v17, vcc
	flat_load_dword v17, v[18:19]
	v_mov_b32_e32 v18, 0
	v_mov_b32_e32 v19, 1.0
	s_waitcnt vmcnt(0) lgkmcnt(0)
	v_cmp_neq_f32_e32 vcc, 0, v17
	s_and_saveexec_b64 s[6:7], vcc
	s_cbranch_execz .LBB32_12
; %bb.14:                               ;   in Loop: Header=BB32_13 Depth=1
	v_cmp_neq_f32_e32 vcc, 0, v4
                                        ; implicit-def: $vgpr19
                                        ; implicit-def: $vgpr18
	s_and_saveexec_b64 s[0:1], vcc
	s_xor_b64 s[8:9], exec, s[0:1]
	s_cbranch_execz .LBB32_20
; %bb.15:                               ;   in Loop: Header=BB32_13 Depth=1
	v_cmp_ngt_f32_e64 s[0:1], |v17|, |v4|
                                        ; implicit-def: $vgpr19
                                        ; implicit-def: $vgpr18
	s_and_saveexec_b64 s[10:11], s[0:1]
	s_xor_b64 s[10:11], exec, s[10:11]
	s_cbranch_execz .LBB32_17
; %bb.16:                               ;   in Loop: Header=BB32_13 Depth=1
	v_div_scale_f32 v18, s[0:1], v4, v4, -v17
	v_rcp_f32_e32 v19, v18
	v_div_scale_f32 v20, vcc, -v17, v4, -v17
	v_fma_f32 v21, -v18, v19, 1.0
	v_fmac_f32_e32 v19, v21, v19
	v_mul_f32_e32 v21, v20, v19
	v_fma_f32 v22, -v18, v21, v20
	v_fmac_f32_e32 v21, v22, v19
	v_fma_f32 v18, -v18, v21, v20
	v_div_fmas_f32 v18, v18, v19, v21
	v_div_fixup_f32 v18, v18, v4, -v17
	v_fma_f32 v19, v18, v18, 1.0
	v_mul_f32_e32 v20, 0x4f800000, v19
	v_cmp_gt_f32_e32 vcc, s15, v19
	v_cndmask_b32_e32 v19, v19, v20, vcc
	v_sqrt_f32_e32 v20, v19
	v_add_u32_e32 v21, -1, v20
	v_fma_f32 v22, -v21, v20, v19
	v_cmp_ge_f32_e64 s[0:1], 0, v22
	v_add_u32_e32 v22, 1, v20
	v_cndmask_b32_e64 v21, v20, v21, s[0:1]
	v_fma_f32 v20, -v22, v20, v19
	v_cmp_lt_f32_e64 s[0:1], 0, v20
	v_cndmask_b32_e64 v20, v21, v22, s[0:1]
	v_mul_f32_e32 v21, 0x37800000, v20
	v_cndmask_b32_e32 v20, v20, v21, vcc
	v_cmp_class_f32_e32 vcc, v19, v12
	v_cndmask_b32_e32 v19, v20, v19, vcc
	v_div_scale_f32 v20, s[0:1], v19, v19, 1.0
	v_rcp_f32_e32 v21, v20
	v_fma_f32 v22, -v20, v21, 1.0
	v_fmac_f32_e32 v21, v22, v21
	v_div_scale_f32 v22, vcc, 1.0, v19, 1.0
	v_mul_f32_e32 v23, v22, v21
	v_fma_f32 v24, -v20, v23, v22
	v_fmac_f32_e32 v23, v24, v21
	v_fma_f32 v20, -v20, v23, v22
	v_div_fmas_f32 v20, v20, v21, v23
	v_div_fixup_f32 v19, v20, v19, 1.0
	v_mul_f32_e32 v18, v18, v19
.LBB32_17:                              ;   in Loop: Header=BB32_13 Depth=1
	s_andn2_saveexec_b64 s[10:11], s[10:11]
	s_cbranch_execz .LBB32_19
; %bb.18:                               ;   in Loop: Header=BB32_13 Depth=1
	v_div_scale_f32 v18, s[0:1], v17, v17, -v4
	v_rcp_f32_e32 v19, v18
	v_div_scale_f32 v20, vcc, -v4, v17, -v4
	v_fma_f32 v21, -v18, v19, 1.0
	v_fmac_f32_e32 v19, v21, v19
	v_mul_f32_e32 v21, v20, v19
	v_fma_f32 v22, -v18, v21, v20
	v_fmac_f32_e32 v21, v22, v19
	v_fma_f32 v18, -v18, v21, v20
	v_div_fmas_f32 v18, v18, v19, v21
	v_div_fixup_f32 v19, v18, v17, -v4
	v_fma_f32 v18, v19, v19, 1.0
	v_mul_f32_e32 v20, 0x4f800000, v18
	v_cmp_gt_f32_e32 vcc, s15, v18
	v_cndmask_b32_e32 v18, v18, v20, vcc
	v_sqrt_f32_e32 v20, v18
	v_add_u32_e32 v21, -1, v20
	v_fma_f32 v22, -v21, v20, v18
	v_cmp_ge_f32_e64 s[0:1], 0, v22
	v_add_u32_e32 v22, 1, v20
	v_cndmask_b32_e64 v21, v20, v21, s[0:1]
	v_fma_f32 v20, -v22, v20, v18
	v_cmp_lt_f32_e64 s[0:1], 0, v20
	v_cndmask_b32_e64 v20, v21, v22, s[0:1]
	v_mul_f32_e32 v21, 0x37800000, v20
	v_cndmask_b32_e32 v20, v20, v21, vcc
	v_cmp_class_f32_e32 vcc, v18, v12
	v_cndmask_b32_e32 v18, v20, v18, vcc
	v_div_scale_f32 v20, s[0:1], v18, v18, 1.0
	v_rcp_f32_e32 v21, v20
	v_fma_f32 v22, -v20, v21, 1.0
	v_fmac_f32_e32 v21, v22, v21
	v_div_scale_f32 v22, vcc, 1.0, v18, 1.0
	v_mul_f32_e32 v23, v22, v21
	v_fma_f32 v24, -v20, v23, v22
	v_fmac_f32_e32 v23, v24, v21
	v_fma_f32 v20, -v20, v23, v22
	v_div_fmas_f32 v20, v20, v21, v23
	v_div_fixup_f32 v18, v20, v18, 1.0
	v_mul_f32_e32 v19, v19, v18
.LBB32_19:                              ;   in Loop: Header=BB32_13 Depth=1
	s_or_b64 exec, exec, s[10:11]
	v_mul_f32_e32 v17, v17, v18
	v_fma_f32 v4, v4, v19, -v17
                                        ; implicit-def: $vgpr17
.LBB32_20:                              ;   in Loop: Header=BB32_13 Depth=1
	s_andn2_saveexec_b64 s[0:1], s[8:9]
	s_cbranch_execz .LBB32_11
; %bb.21:                               ;   in Loop: Header=BB32_13 Depth=1
	v_xor_b32_e32 v4, 0x80000000, v17
	v_mov_b32_e32 v19, 0
	v_mov_b32_e32 v18, 1.0
	s_branch .LBB32_11
.LBB32_22:
	s_or_b64 exec, exec, s[4:5]
.LBB32_23:
	s_or_b64 exec, exec, s[2:3]
	ds_read_b32 v0, v5 offset:16384
	v_mov_b32_e32 v2, s20
	s_waitcnt lgkmcnt(0)
	v_ashrrev_i32_e32 v1, 31, v0
	v_lshlrev_b64 v[0:1], 2, v[0:1]
	v_add_co_u32_e32 v0, vcc, s19, v0
	v_addc_co_u32_e32 v1, vcc, v2, v1, vcc
	global_store_dword v[0:1], v4, off
.LBB32_24:
	s_endpgm
	.section	.rodata,"a",@progbits
	.p2align	6, 0x0
	.amdhsa_kernel _ZN9rocsolver6v33100L38stedc_mergePrepare_DeflateApply_kernelIfEEviiPT_lS3_Pi
		.amdhsa_group_segment_fixed_size 32768
		.amdhsa_private_segment_fixed_size 0
		.amdhsa_kernarg_size 296
		.amdhsa_user_sgpr_count 6
		.amdhsa_user_sgpr_private_segment_buffer 1
		.amdhsa_user_sgpr_dispatch_ptr 0
		.amdhsa_user_sgpr_queue_ptr 0
		.amdhsa_user_sgpr_kernarg_segment_ptr 1
		.amdhsa_user_sgpr_dispatch_id 0
		.amdhsa_user_sgpr_flat_scratch_init 0
		.amdhsa_user_sgpr_kernarg_preload_length 0
		.amdhsa_user_sgpr_kernarg_preload_offset 0
		.amdhsa_user_sgpr_private_segment_size 0
		.amdhsa_uses_dynamic_stack 0
		.amdhsa_system_sgpr_private_segment_wavefront_offset 0
		.amdhsa_system_sgpr_workgroup_id_x 1
		.amdhsa_system_sgpr_workgroup_id_y 1
		.amdhsa_system_sgpr_workgroup_id_z 0
		.amdhsa_system_sgpr_workgroup_info 0
		.amdhsa_system_vgpr_workitem_id 0
		.amdhsa_next_free_vgpr 25
		.amdhsa_next_free_sgpr 24
		.amdhsa_accum_offset 28
		.amdhsa_reserve_vcc 1
		.amdhsa_reserve_flat_scratch 0
		.amdhsa_float_round_mode_32 0
		.amdhsa_float_round_mode_16_64 0
		.amdhsa_float_denorm_mode_32 3
		.amdhsa_float_denorm_mode_16_64 3
		.amdhsa_dx10_clamp 1
		.amdhsa_ieee_mode 1
		.amdhsa_fp16_overflow 0
		.amdhsa_tg_split 0
		.amdhsa_exception_fp_ieee_invalid_op 0
		.amdhsa_exception_fp_denorm_src 0
		.amdhsa_exception_fp_ieee_div_zero 0
		.amdhsa_exception_fp_ieee_overflow 0
		.amdhsa_exception_fp_ieee_underflow 0
		.amdhsa_exception_fp_ieee_inexact 0
		.amdhsa_exception_int_div_zero 0
	.end_amdhsa_kernel
	.section	.text._ZN9rocsolver6v33100L38stedc_mergePrepare_DeflateApply_kernelIfEEviiPT_lS3_Pi,"axG",@progbits,_ZN9rocsolver6v33100L38stedc_mergePrepare_DeflateApply_kernelIfEEviiPT_lS3_Pi,comdat
.Lfunc_end32:
	.size	_ZN9rocsolver6v33100L38stedc_mergePrepare_DeflateApply_kernelIfEEviiPT_lS3_Pi, .Lfunc_end32-_ZN9rocsolver6v33100L38stedc_mergePrepare_DeflateApply_kernelIfEEviiPT_lS3_Pi
                                        ; -- End function
	.section	.AMDGPU.csdata,"",@progbits
; Kernel info:
; codeLenInByte = 1416
; NumSgprs: 28
; NumVgprs: 25
; NumAgprs: 0
; TotalNumVgprs: 25
; ScratchSize: 0
; MemoryBound: 0
; FloatMode: 240
; IeeeMode: 1
; LDSByteSize: 32768 bytes/workgroup (compile time only)
; SGPRBlocks: 3
; VGPRBlocks: 3
; NumSGPRsForWavesPerEU: 28
; NumVGPRsForWavesPerEU: 25
; AccumOffset: 28
; Occupancy: 4
; WaveLimiterHint : 1
; COMPUTE_PGM_RSRC2:SCRATCH_EN: 0
; COMPUTE_PGM_RSRC2:USER_SGPR: 6
; COMPUTE_PGM_RSRC2:TRAP_HANDLER: 0
; COMPUTE_PGM_RSRC2:TGID_X_EN: 1
; COMPUTE_PGM_RSRC2:TGID_Y_EN: 1
; COMPUTE_PGM_RSRC2:TGID_Z_EN: 0
; COMPUTE_PGM_RSRC2:TIDIG_COMP_CNT: 0
; COMPUTE_PGM_RSRC3_GFX90A:ACCUM_OFFSET: 6
; COMPUTE_PGM_RSRC3_GFX90A:TG_SPLIT: 0
	.section	.text._ZN9rocsolver6v33100L24stedc_mergeRotate_kernelIfEEviiPT_iilS3_Pi,"axG",@progbits,_ZN9rocsolver6v33100L24stedc_mergeRotate_kernelIfEEviiPT_iilS3_Pi,comdat
	.globl	_ZN9rocsolver6v33100L24stedc_mergeRotate_kernelIfEEviiPT_iilS3_Pi ; -- Begin function _ZN9rocsolver6v33100L24stedc_mergeRotate_kernelIfEEviiPT_iilS3_Pi
	.p2align	8
	.type	_ZN9rocsolver6v33100L24stedc_mergeRotate_kernelIfEEviiPT_iilS3_Pi,@function
_ZN9rocsolver6v33100L24stedc_mergeRotate_kernelIfEEviiPT_iilS3_Pi: ; @_ZN9rocsolver6v33100L24stedc_mergeRotate_kernelIfEEviiPT_iilS3_Pi
; %bb.0:
	s_load_dword s34, s[4:5], 0x4
	s_load_dwordx2 s[2:3], s[4:5], 0x28
	s_load_dword s1, s[4:5], 0x3c
	s_mov_b32 s0, s6
	s_waitcnt lgkmcnt(0)
	s_mul_i32 s6, s7, s34
	s_mul_i32 s8, s6, 13
	s_ashr_i32 s9, s8, 31
	s_ashr_i32 s35, s34, 31
	s_lshl_b64 s[8:9], s[8:9], 2
	s_add_u32 s6, s2, s8
	s_mul_i32 s8, s34, 10
	s_addc_u32 s10, s3, s9
	s_ashr_i32 s9, s8, 31
	s_lshl_b64 s[2:3], s[8:9], 2
	s_add_u32 s6, s6, s2
	s_addc_u32 s9, s10, s3
	s_lshl_b64 s[2:3], s[34:35], 2
	s_sub_u32 s10, s6, s2
	s_subb_u32 s11, s9, s3
	s_and_b32 s33, s1, 0xffff
	s_lshl_b32 s35, s33, 4
	v_cvt_f32_u32_e32 v1, s35
	s_ashr_i32 s1, s0, 31
	s_lshl_b64 s[0:1], s[0:1], 2
	s_add_u32 s10, s10, s0
	v_rcp_iflag_f32_e32 v1, v1
	s_addc_u32 s11, s11, s1
	s_load_dword s46, s[10:11], 0x0
	v_mul_f32_e32 v1, 0x4f7ffffe, v1
	v_cvt_u32_f32_e32 v1, v1
	s_waitcnt lgkmcnt(0)
	s_cmp_eq_u32 s46, 0
	v_readfirstlane_b32 s10, v1
	s_cbranch_scc1 .LBB33_136
; %bb.1:
	s_sub_i32 s13, 0, s35
	s_mul_i32 s13, s13, s10
	s_add_i32 s11, s34, -1
	s_mul_hi_u32 s13, s10, s13
	s_ashr_i32 s12, s11, 31
	s_abs_i32 s11, s11
	s_add_i32 s10, s10, s13
	s_mul_hi_u32 s10, s11, s10
	s_mul_i32 s13, s10, s35
	s_sub_i32 s11, s11, s13
	s_add_i32 s13, s10, 1
	s_sub_i32 s14, s11, s35
	s_cmp_ge_u32 s11, s35
	s_cselect_b32 s10, s13, s10
	s_cselect_b32 s11, s14, s11
	s_add_i32 s13, s10, 1
	s_cmp_ge_u32 s11, s35
	s_cselect_b32 s10, s13, s10
	s_xor_b32 s10, s10, s12
	s_sub_i32 s47, s10, s12
	s_cmp_lt_i32 s47, 0
	s_cbranch_scc1 .LBB33_136
; %bb.2:
	s_load_dwordx8 s[36:43], s[4:5], 0x8
	s_ashr_i32 s10, s7, 31
	s_mov_b32 s55, 0
	v_mov_b32_e32 v1, 0
                                        ; implicit-def: $vgpr18_vgpr19_vgpr20_vgpr21_vgpr22_vgpr23_vgpr24_vgpr25_vgpr26_vgpr27_vgpr28_vgpr29_vgpr30_vgpr31_vgpr32_vgpr33
                                        ; implicit-def: $vgpr2_vgpr3_vgpr4_vgpr5_vgpr6_vgpr7_vgpr8_vgpr9_vgpr10_vgpr11_vgpr12_vgpr13_vgpr14_vgpr15_vgpr16_vgpr17
	s_waitcnt lgkmcnt(0)
	s_mul_i32 s11, s7, s41
	s_mul_hi_u32 s12, s7, s40
	s_add_i32 s11, s12, s11
	s_mul_i32 s10, s10, s40
	s_add_i32 s11, s11, s10
	s_mul_i32 s10, s7, s40
	s_ashr_i32 s5, s38, 31
	s_lshl_b64 s[10:11], s[10:11], 2
	s_mov_b32 s4, s38
	s_add_u32 s10, s36, s10
	s_addc_u32 s11, s37, s11
	s_lshl_b64 s[4:5], s[4:5], 2
	s_add_u32 s38, s10, s4
	s_addc_u32 s48, s11, s5
	s_add_u32 s0, s6, s0
	s_addc_u32 s1, s9, s1
	s_load_dword s5, s[0:1], 0x0
	s_mul_i32 s4, s8, s7
	s_waitcnt lgkmcnt(0)
	s_mul_i32 s6, s5, s39
	s_ashr_i32 s7, s6, 31
	s_lshl_b64 s[6:7], s[6:7], 2
	s_add_u32 s49, s38, s6
	s_addc_u32 s50, s48, s7
	s_ashr_i32 s5, s4, 31
	s_lshl_b64 s[4:5], s[4:5], 2
	s_add_u32 s6, s42, s4
	s_addc_u32 s7, s43, s5
	s_lshl_b32 s4, s34, 1
	s_ashr_i32 s5, s4, 31
	s_lshl_b64 s[4:5], s[4:5], 2
	s_add_u32 s51, s6, s4
	s_addc_u32 s52, s7, s5
	s_add_u32 s53, s51, s2
	s_addc_u32 s54, s52, s3
	s_cmp_gt_i32 s46, 0
	s_cselect_b64 s[36:37], -1, 0
	s_add_u32 s40, s0, 4
	s_addc_u32 s41, s1, 0
	s_branch .LBB33_4
.LBB33_3:                               ;   in Loop: Header=BB33_4 Depth=1
	s_or_b64 exec, exec, s[0:1]
	s_add_i32 s0, s55, 1
	s_cmp_lg_u32 s55, s47
	s_mov_b32 s55, s0
	s_cbranch_scc0 .LBB33_136
.LBB33_4:                               ; =>This Loop Header: Depth=1
                                        ;     Child Loop BB33_39 Depth 2
	s_mul_i32 s0, s55, s35
	v_add_u32_e32 v50, s0, v0
	v_cmp_gt_i32_e64 s[0:1], s34, v50
	v_ashrrev_i32_e32 v51, 31, v50
	s_and_saveexec_b64 s[2:3], s[0:1]
	s_cbranch_execz .LBB33_6
; %bb.5:                                ;   in Loop: Header=BB33_4 Depth=1
	v_lshlrev_b64 v[34:35], 2, v[50:51]
	s_waitcnt vmcnt(0)
	v_mov_b32_e32 v2, s50
	v_add_co_u32_e32 v34, vcc, s49, v34
	v_addc_co_u32_e32 v35, vcc, v2, v35, vcc
	global_load_dword v2, v[34:35], off
.LBB33_6:                               ;   in Loop: Header=BB33_4 Depth=1
	s_or_b64 exec, exec, s[2:3]
	v_add_u32_e32 v52, s33, v50
	v_cmp_gt_i32_e64 s[2:3], s34, v52
	v_ashrrev_i32_e32 v53, 31, v52
	s_and_saveexec_b64 s[4:5], s[2:3]
	s_cbranch_execz .LBB33_8
; %bb.7:                                ;   in Loop: Header=BB33_4 Depth=1
	v_lshlrev_b64 v[34:35], 2, v[52:53]
	s_waitcnt vmcnt(0)
	v_mov_b32_e32 v3, s50
	v_add_co_u32_e32 v34, vcc, s49, v34
	v_addc_co_u32_e32 v35, vcc, v3, v35, vcc
	global_load_dword v3, v[34:35], off
.LBB33_8:                               ;   in Loop: Header=BB33_4 Depth=1
	s_or_b64 exec, exec, s[4:5]
	v_add_u32_e32 v54, s33, v52
	v_cmp_gt_i32_e64 s[4:5], s34, v54
	v_ashrrev_i32_e32 v55, 31, v54
	s_and_saveexec_b64 s[6:7], s[4:5]
	s_cbranch_execz .LBB33_10
; %bb.9:                                ;   in Loop: Header=BB33_4 Depth=1
	v_lshlrev_b64 v[34:35], 2, v[54:55]
	s_waitcnt vmcnt(0)
	v_mov_b32_e32 v4, s50
	v_add_co_u32_e32 v34, vcc, s49, v34
	v_addc_co_u32_e32 v35, vcc, v4, v35, vcc
	global_load_dword v4, v[34:35], off
.LBB33_10:                              ;   in Loop: Header=BB33_4 Depth=1
	s_or_b64 exec, exec, s[6:7]
	v_add_u32_e32 v56, s33, v54
	v_cmp_gt_i32_e64 s[6:7], s34, v56
	v_ashrrev_i32_e32 v57, 31, v56
	s_and_saveexec_b64 s[8:9], s[6:7]
	s_cbranch_execz .LBB33_12
; %bb.11:                               ;   in Loop: Header=BB33_4 Depth=1
	v_lshlrev_b64 v[34:35], 2, v[56:57]
	s_waitcnt vmcnt(0)
	v_mov_b32_e32 v5, s50
	v_add_co_u32_e32 v34, vcc, s49, v34
	v_addc_co_u32_e32 v35, vcc, v5, v35, vcc
	global_load_dword v5, v[34:35], off
.LBB33_12:                              ;   in Loop: Header=BB33_4 Depth=1
	s_or_b64 exec, exec, s[8:9]
	v_add_u32_e32 v58, s33, v56
	v_cmp_gt_i32_e64 s[8:9], s34, v58
	v_ashrrev_i32_e32 v59, 31, v58
	s_and_saveexec_b64 s[10:11], s[8:9]
	s_cbranch_execz .LBB33_14
; %bb.13:                               ;   in Loop: Header=BB33_4 Depth=1
	v_lshlrev_b64 v[34:35], 2, v[58:59]
	s_waitcnt vmcnt(0)
	v_mov_b32_e32 v6, s50
	v_add_co_u32_e32 v34, vcc, s49, v34
	v_addc_co_u32_e32 v35, vcc, v6, v35, vcc
	global_load_dword v6, v[34:35], off
.LBB33_14:                              ;   in Loop: Header=BB33_4 Depth=1
	;; [unrolled: 14-line block ×13, first 2 shown]
	s_or_b64 exec, exec, s[42:43]
	s_and_b64 vcc, exec, s[36:37]
	s_cbranch_vccz .LBB33_104
; %bb.37:                               ;   in Loop: Header=BB33_4 Depth=1
	v_lshlrev_b64 v[82:83], 2, v[50:51]
	v_lshlrev_b64 v[84:85], 2, v[52:53]
	v_lshlrev_b64 v[86:87], 2, v[54:55]
	v_lshlrev_b64 v[88:89], 2, v[56:57]
	v_lshlrev_b64 v[90:91], 2, v[58:59]
	v_lshlrev_b64 v[92:93], 2, v[60:61]
	v_lshlrev_b64 v[94:95], 2, v[62:63]
	v_lshlrev_b64 v[96:97], 2, v[64:65]
	v_lshlrev_b64 v[98:99], 2, v[66:67]
	v_lshlrev_b64 v[100:101], 2, v[68:69]
	v_lshlrev_b64 v[102:103], 2, v[70:71]
	v_lshlrev_b64 v[104:105], 2, v[72:73]
	v_lshlrev_b64 v[106:107], 2, v[74:75]
	v_lshlrev_b64 v[108:109], 2, v[76:77]
	s_mov_b32 s56, s46
	s_mov_b64 s[42:43], s[40:41]
	v_lshlrev_b64 v[110:111], 2, v[78:79]
	v_lshlrev_b64 v[112:113], 2, v[80:81]
	s_branch .LBB33_39
.LBB33_38:                              ;   in Loop: Header=BB33_39 Depth=2
	s_or_b64 exec, exec, s[44:45]
	v_mul_f32_e32 v18, v115, v18
	v_fma_f32 v2, v114, v2, -v18
	v_mul_f32_e32 v18, v115, v19
	v_fma_f32 v3, v114, v3, -v18
	v_mul_f32_e32 v18, v115, v20
	v_fma_f32 v4, v114, v4, -v18
	v_mul_f32_e32 v18, v115, v21
	v_fma_f32 v5, v114, v5, -v18
	v_mul_f32_e32 v18, v115, v22
	v_fma_f32 v6, v114, v6, -v18
	v_mul_f32_e32 v18, v115, v23
	v_fma_f32 v7, v114, v7, -v18
	v_mul_f32_e32 v18, v115, v24
	v_fma_f32 v8, v114, v8, -v18
	v_mul_f32_e32 v18, v115, v25
	v_fma_f32 v9, v114, v9, -v18
	v_mul_f32_e32 v18, v115, v26
	v_fma_f32 v10, v114, v10, -v18
	v_mul_f32_e32 v18, v115, v27
	v_fma_f32 v11, v114, v11, -v18
	v_mul_f32_e32 v18, v115, v28
	v_fma_f32 v12, v114, v12, -v18
	v_mul_f32_e32 v18, v115, v29
	v_fma_f32 v13, v114, v13, -v18
	v_mul_f32_e32 v18, v115, v30
	v_fma_f32 v14, v114, v14, -v18
	v_mul_f32_e32 v18, v115, v31
	v_fma_f32 v15, v114, v15, -v18
	v_mul_f32_e32 v18, v115, v32
	v_fma_f32 v16, v114, v16, -v18
	v_mul_f32_e32 v18, v115, v33
	s_add_u32 s42, s42, 4
	v_fma_f32 v17, v114, v17, -v18
	s_addc_u32 s43, s43, 0
	s_add_i32 s56, s56, -1
	v_pk_mov_b32 v[18:19], v[34:35], v[34:35] op_sel:[0,1]
	s_cmp_eq_u32 s56, 0
	v_pk_mov_b32 v[20:21], v[36:37], v[36:37] op_sel:[0,1]
	v_pk_mov_b32 v[22:23], v[38:39], v[38:39] op_sel:[0,1]
	;; [unrolled: 1-line block ×7, first 2 shown]
	s_barrier
	s_cbranch_scc1 .LBB33_103
.LBB33_39:                              ;   Parent Loop BB33_4 Depth=1
                                        ; =>  This Inner Loop Header: Depth=2
	global_load_dword v34, v1, s[42:43]
	v_mov_b32_e32 v39, s52
	v_mov_b32_e32 v40, s54
	s_waitcnt vmcnt(0)
	v_ashrrev_i32_e32 v35, 31, v34
	v_lshlrev_b64 v[36:37], 2, v[34:35]
	v_add_co_u32_e32 v38, vcc, s51, v36
	v_addc_co_u32_e32 v39, vcc, v39, v37, vcc
	v_add_co_u32_e32 v36, vcc, s53, v36
	v_addc_co_u32_e32 v37, vcc, v40, v37, vcc
	global_load_dword v114, v[38:39], off
	global_load_dword v115, v[36:37], off
	v_readfirstlane_b32 s44, v34
	s_mul_i32 s44, s44, s39
	s_ashr_i32 s45, s44, 31
	s_lshl_b64 s[44:45], s[44:45], 2
	s_add_u32 s57, s38, s44
	s_addc_u32 s58, s48, s45
	s_and_saveexec_b64 s[44:45], s[0:1]
	s_cbranch_execnz .LBB33_88
; %bb.40:                               ;   in Loop: Header=BB33_39 Depth=2
	s_or_b64 exec, exec, s[44:45]
	s_and_saveexec_b64 s[44:45], s[2:3]
	s_cbranch_execnz .LBB33_89
.LBB33_41:                              ;   in Loop: Header=BB33_39 Depth=2
	s_or_b64 exec, exec, s[44:45]
	s_and_saveexec_b64 s[44:45], s[4:5]
	s_cbranch_execnz .LBB33_90
.LBB33_42:                              ;   in Loop: Header=BB33_39 Depth=2
	s_or_b64 exec, exec, s[44:45]
	s_and_saveexec_b64 s[44:45], s[6:7]
	s_cbranch_execnz .LBB33_91
.LBB33_43:                              ;   in Loop: Header=BB33_39 Depth=2
	s_or_b64 exec, exec, s[44:45]
	s_and_saveexec_b64 s[44:45], s[8:9]
	s_cbranch_execnz .LBB33_92
.LBB33_44:                              ;   in Loop: Header=BB33_39 Depth=2
	s_or_b64 exec, exec, s[44:45]
	s_and_saveexec_b64 s[44:45], s[10:11]
	s_cbranch_execnz .LBB33_93
.LBB33_45:                              ;   in Loop: Header=BB33_39 Depth=2
	s_or_b64 exec, exec, s[44:45]
	s_and_saveexec_b64 s[44:45], s[12:13]
	s_cbranch_execnz .LBB33_94
.LBB33_46:                              ;   in Loop: Header=BB33_39 Depth=2
	s_or_b64 exec, exec, s[44:45]
	s_and_saveexec_b64 s[44:45], s[14:15]
	s_cbranch_execnz .LBB33_95
.LBB33_47:                              ;   in Loop: Header=BB33_39 Depth=2
	s_or_b64 exec, exec, s[44:45]
	s_and_saveexec_b64 s[44:45], s[16:17]
	s_cbranch_execnz .LBB33_96
.LBB33_48:                              ;   in Loop: Header=BB33_39 Depth=2
	s_or_b64 exec, exec, s[44:45]
	s_and_saveexec_b64 s[44:45], s[18:19]
	s_cbranch_execnz .LBB33_97
.LBB33_49:                              ;   in Loop: Header=BB33_39 Depth=2
	s_or_b64 exec, exec, s[44:45]
	s_and_saveexec_b64 s[44:45], s[20:21]
	s_cbranch_execnz .LBB33_98
.LBB33_50:                              ;   in Loop: Header=BB33_39 Depth=2
	s_or_b64 exec, exec, s[44:45]
	s_and_saveexec_b64 s[44:45], s[22:23]
	s_cbranch_execnz .LBB33_99
.LBB33_51:                              ;   in Loop: Header=BB33_39 Depth=2
	s_or_b64 exec, exec, s[44:45]
	s_and_saveexec_b64 s[44:45], s[24:25]
	s_cbranch_execnz .LBB33_100
.LBB33_52:                              ;   in Loop: Header=BB33_39 Depth=2
	s_or_b64 exec, exec, s[44:45]
	s_and_saveexec_b64 s[44:45], s[26:27]
	s_cbranch_execnz .LBB33_101
.LBB33_53:                              ;   in Loop: Header=BB33_39 Depth=2
	s_or_b64 exec, exec, s[44:45]
	s_and_saveexec_b64 s[44:45], s[28:29]
	s_cbranch_execnz .LBB33_102
.LBB33_54:                              ;   in Loop: Header=BB33_39 Depth=2
	s_or_b64 exec, exec, s[44:45]
	s_and_saveexec_b64 s[44:45], s[30:31]
	s_cbranch_execz .LBB33_56
.LBB33_55:                              ;   in Loop: Header=BB33_39 Depth=2
	v_mov_b32_e32 v33, s58
	v_add_co_u32_e32 v34, vcc, s57, v112
	v_addc_co_u32_e32 v35, vcc, v33, v113, vcc
	global_load_dword v33, v[34:35], off
.LBB33_56:                              ;   in Loop: Header=BB33_39 Depth=2
	s_or_b64 exec, exec, s[44:45]
	s_waitcnt vmcnt(0)
	v_mul_f32_e32 v34, v114, v18
	v_fmac_f32_e32 v34, v115, v2
	s_and_saveexec_b64 s[44:45], s[0:1]
	s_cbranch_execz .LBB33_58
; %bb.57:                               ;   in Loop: Header=BB33_39 Depth=2
	v_mov_b32_e32 v35, s58
	v_add_co_u32_e32 v36, vcc, s57, v82
	v_addc_co_u32_e32 v37, vcc, v35, v83, vcc
	global_store_dword v[36:37], v34, off
.LBB33_58:                              ;   in Loop: Header=BB33_39 Depth=2
	s_or_b64 exec, exec, s[44:45]
	v_mul_f32_e32 v35, v114, v19
	v_fmac_f32_e32 v35, v115, v3
	s_and_saveexec_b64 s[44:45], s[2:3]
	s_cbranch_execz .LBB33_60
; %bb.59:                               ;   in Loop: Header=BB33_39 Depth=2
	v_mov_b32_e32 v37, s58
	v_add_co_u32_e32 v36, vcc, s57, v84
	v_addc_co_u32_e32 v37, vcc, v37, v85, vcc
	global_store_dword v[36:37], v35, off
.LBB33_60:                              ;   in Loop: Header=BB33_39 Depth=2
	s_or_b64 exec, exec, s[44:45]
	;; [unrolled: 11-line block ×15, first 2 shown]
	v_mul_f32_e32 v49, v114, v33
	v_fmac_f32_e32 v49, v115, v17
	s_and_saveexec_b64 s[44:45], s[30:31]
	s_cbranch_execz .LBB33_38
; %bb.87:                               ;   in Loop: Header=BB33_39 Depth=2
	v_mov_b32_e32 v117, s58
	v_add_co_u32_e32 v116, vcc, s57, v112
	v_addc_co_u32_e32 v117, vcc, v117, v113, vcc
	global_store_dword v[116:117], v49, off
	s_branch .LBB33_38
.LBB33_88:                              ;   in Loop: Header=BB33_39 Depth=2
	v_mov_b32_e32 v18, s58
	v_add_co_u32_e32 v34, vcc, s57, v82
	v_addc_co_u32_e32 v35, vcc, v18, v83, vcc
	global_load_dword v18, v[34:35], off
	s_or_b64 exec, exec, s[44:45]
	s_and_saveexec_b64 s[44:45], s[2:3]
	s_cbranch_execz .LBB33_41
.LBB33_89:                              ;   in Loop: Header=BB33_39 Depth=2
	v_mov_b32_e32 v19, s58
	v_add_co_u32_e32 v34, vcc, s57, v84
	v_addc_co_u32_e32 v35, vcc, v19, v85, vcc
	global_load_dword v19, v[34:35], off
	s_or_b64 exec, exec, s[44:45]
	s_and_saveexec_b64 s[44:45], s[4:5]
	s_cbranch_execz .LBB33_42
.LBB33_90:                              ;   in Loop: Header=BB33_39 Depth=2
	v_mov_b32_e32 v20, s58
	v_add_co_u32_e32 v34, vcc, s57, v86
	v_addc_co_u32_e32 v35, vcc, v20, v87, vcc
	global_load_dword v20, v[34:35], off
	s_or_b64 exec, exec, s[44:45]
	s_and_saveexec_b64 s[44:45], s[6:7]
	s_cbranch_execz .LBB33_43
.LBB33_91:                              ;   in Loop: Header=BB33_39 Depth=2
	v_mov_b32_e32 v21, s58
	v_add_co_u32_e32 v34, vcc, s57, v88
	v_addc_co_u32_e32 v35, vcc, v21, v89, vcc
	global_load_dword v21, v[34:35], off
	s_or_b64 exec, exec, s[44:45]
	s_and_saveexec_b64 s[44:45], s[8:9]
	s_cbranch_execz .LBB33_44
.LBB33_92:                              ;   in Loop: Header=BB33_39 Depth=2
	v_mov_b32_e32 v22, s58
	v_add_co_u32_e32 v34, vcc, s57, v90
	v_addc_co_u32_e32 v35, vcc, v22, v91, vcc
	global_load_dword v22, v[34:35], off
	s_or_b64 exec, exec, s[44:45]
	s_and_saveexec_b64 s[44:45], s[10:11]
	s_cbranch_execz .LBB33_45
.LBB33_93:                              ;   in Loop: Header=BB33_39 Depth=2
	v_mov_b32_e32 v23, s58
	v_add_co_u32_e32 v34, vcc, s57, v92
	v_addc_co_u32_e32 v35, vcc, v23, v93, vcc
	global_load_dword v23, v[34:35], off
	s_or_b64 exec, exec, s[44:45]
	s_and_saveexec_b64 s[44:45], s[12:13]
	s_cbranch_execz .LBB33_46
.LBB33_94:                              ;   in Loop: Header=BB33_39 Depth=2
	v_mov_b32_e32 v24, s58
	v_add_co_u32_e32 v34, vcc, s57, v94
	v_addc_co_u32_e32 v35, vcc, v24, v95, vcc
	global_load_dword v24, v[34:35], off
	s_or_b64 exec, exec, s[44:45]
	s_and_saveexec_b64 s[44:45], s[14:15]
	s_cbranch_execz .LBB33_47
.LBB33_95:                              ;   in Loop: Header=BB33_39 Depth=2
	v_mov_b32_e32 v25, s58
	v_add_co_u32_e32 v34, vcc, s57, v96
	v_addc_co_u32_e32 v35, vcc, v25, v97, vcc
	global_load_dword v25, v[34:35], off
	s_or_b64 exec, exec, s[44:45]
	s_and_saveexec_b64 s[44:45], s[16:17]
	s_cbranch_execz .LBB33_48
.LBB33_96:                              ;   in Loop: Header=BB33_39 Depth=2
	v_mov_b32_e32 v26, s58
	v_add_co_u32_e32 v34, vcc, s57, v98
	v_addc_co_u32_e32 v35, vcc, v26, v99, vcc
	global_load_dword v26, v[34:35], off
	s_or_b64 exec, exec, s[44:45]
	s_and_saveexec_b64 s[44:45], s[18:19]
	s_cbranch_execz .LBB33_49
.LBB33_97:                              ;   in Loop: Header=BB33_39 Depth=2
	v_mov_b32_e32 v27, s58
	v_add_co_u32_e32 v34, vcc, s57, v100
	v_addc_co_u32_e32 v35, vcc, v27, v101, vcc
	global_load_dword v27, v[34:35], off
	s_or_b64 exec, exec, s[44:45]
	s_and_saveexec_b64 s[44:45], s[20:21]
	s_cbranch_execz .LBB33_50
.LBB33_98:                              ;   in Loop: Header=BB33_39 Depth=2
	v_mov_b32_e32 v28, s58
	v_add_co_u32_e32 v34, vcc, s57, v102
	v_addc_co_u32_e32 v35, vcc, v28, v103, vcc
	global_load_dword v28, v[34:35], off
	s_or_b64 exec, exec, s[44:45]
	s_and_saveexec_b64 s[44:45], s[22:23]
	s_cbranch_execz .LBB33_51
.LBB33_99:                              ;   in Loop: Header=BB33_39 Depth=2
	v_mov_b32_e32 v29, s58
	v_add_co_u32_e32 v34, vcc, s57, v104
	v_addc_co_u32_e32 v35, vcc, v29, v105, vcc
	global_load_dword v29, v[34:35], off
	s_or_b64 exec, exec, s[44:45]
	s_and_saveexec_b64 s[44:45], s[24:25]
	s_cbranch_execz .LBB33_52
.LBB33_100:                             ;   in Loop: Header=BB33_39 Depth=2
	v_mov_b32_e32 v30, s58
	v_add_co_u32_e32 v34, vcc, s57, v106
	v_addc_co_u32_e32 v35, vcc, v30, v107, vcc
	global_load_dword v30, v[34:35], off
	s_or_b64 exec, exec, s[44:45]
	s_and_saveexec_b64 s[44:45], s[26:27]
	s_cbranch_execz .LBB33_53
.LBB33_101:                             ;   in Loop: Header=BB33_39 Depth=2
	v_mov_b32_e32 v31, s58
	v_add_co_u32_e32 v34, vcc, s57, v108
	v_addc_co_u32_e32 v35, vcc, v31, v109, vcc
	global_load_dword v31, v[34:35], off
	s_or_b64 exec, exec, s[44:45]
	s_and_saveexec_b64 s[44:45], s[28:29]
	s_cbranch_execz .LBB33_54
.LBB33_102:                             ;   in Loop: Header=BB33_39 Depth=2
	v_mov_b32_e32 v32, s58
	v_add_co_u32_e32 v34, vcc, s57, v110
	v_addc_co_u32_e32 v35, vcc, v32, v111, vcc
	global_load_dword v32, v[34:35], off
	s_or_b64 exec, exec, s[44:45]
	s_and_saveexec_b64 s[44:45], s[30:31]
	s_cbranch_execnz .LBB33_55
	s_branch .LBB33_56
.LBB33_103:                             ;   in Loop: Header=BB33_4 Depth=1
	v_pk_mov_b32 v[18:19], v[34:35], v[34:35] op_sel:[0,1]
	v_pk_mov_b32 v[20:21], v[36:37], v[36:37] op_sel:[0,1]
	v_pk_mov_b32 v[22:23], v[38:39], v[38:39] op_sel:[0,1]
	v_pk_mov_b32 v[24:25], v[40:41], v[40:41] op_sel:[0,1]
	v_pk_mov_b32 v[26:27], v[42:43], v[42:43] op_sel:[0,1]
	v_pk_mov_b32 v[28:29], v[44:45], v[44:45] op_sel:[0,1]
	v_pk_mov_b32 v[30:31], v[46:47], v[46:47] op_sel:[0,1]
	v_pk_mov_b32 v[32:33], v[48:49], v[48:49] op_sel:[0,1]
.LBB33_104:                             ;   in Loop: Header=BB33_4 Depth=1
	s_and_saveexec_b64 s[42:43], s[0:1]
	s_cbranch_execnz .LBB33_120
; %bb.105:                              ;   in Loop: Header=BB33_4 Depth=1
	s_or_b64 exec, exec, s[42:43]
	s_and_saveexec_b64 s[0:1], s[2:3]
	s_cbranch_execnz .LBB33_121
.LBB33_106:                             ;   in Loop: Header=BB33_4 Depth=1
	s_or_b64 exec, exec, s[0:1]
	s_and_saveexec_b64 s[0:1], s[4:5]
	s_cbranch_execnz .LBB33_122
.LBB33_107:                             ;   in Loop: Header=BB33_4 Depth=1
	s_or_b64 exec, exec, s[0:1]
	s_and_saveexec_b64 s[0:1], s[6:7]
	s_cbranch_execnz .LBB33_123
.LBB33_108:                             ;   in Loop: Header=BB33_4 Depth=1
	s_or_b64 exec, exec, s[0:1]
	s_and_saveexec_b64 s[0:1], s[8:9]
	s_cbranch_execnz .LBB33_124
.LBB33_109:                             ;   in Loop: Header=BB33_4 Depth=1
	s_or_b64 exec, exec, s[0:1]
	s_and_saveexec_b64 s[0:1], s[10:11]
	s_cbranch_execnz .LBB33_125
.LBB33_110:                             ;   in Loop: Header=BB33_4 Depth=1
	s_or_b64 exec, exec, s[0:1]
	s_and_saveexec_b64 s[0:1], s[12:13]
	s_cbranch_execnz .LBB33_126
.LBB33_111:                             ;   in Loop: Header=BB33_4 Depth=1
	s_or_b64 exec, exec, s[0:1]
	s_and_saveexec_b64 s[0:1], s[14:15]
	s_cbranch_execnz .LBB33_127
.LBB33_112:                             ;   in Loop: Header=BB33_4 Depth=1
	s_or_b64 exec, exec, s[0:1]
	s_and_saveexec_b64 s[0:1], s[16:17]
	s_cbranch_execnz .LBB33_128
.LBB33_113:                             ;   in Loop: Header=BB33_4 Depth=1
	s_or_b64 exec, exec, s[0:1]
	s_and_saveexec_b64 s[0:1], s[18:19]
	s_cbranch_execnz .LBB33_129
.LBB33_114:                             ;   in Loop: Header=BB33_4 Depth=1
	s_or_b64 exec, exec, s[0:1]
	s_and_saveexec_b64 s[0:1], s[20:21]
	s_cbranch_execnz .LBB33_130
.LBB33_115:                             ;   in Loop: Header=BB33_4 Depth=1
	s_or_b64 exec, exec, s[0:1]
	s_and_saveexec_b64 s[0:1], s[22:23]
	s_cbranch_execnz .LBB33_131
.LBB33_116:                             ;   in Loop: Header=BB33_4 Depth=1
	s_or_b64 exec, exec, s[0:1]
	s_and_saveexec_b64 s[0:1], s[24:25]
	s_cbranch_execnz .LBB33_132
.LBB33_117:                             ;   in Loop: Header=BB33_4 Depth=1
	s_or_b64 exec, exec, s[0:1]
	s_and_saveexec_b64 s[0:1], s[26:27]
	s_cbranch_execnz .LBB33_133
.LBB33_118:                             ;   in Loop: Header=BB33_4 Depth=1
	s_or_b64 exec, exec, s[0:1]
	s_and_saveexec_b64 s[0:1], s[28:29]
	s_cbranch_execnz .LBB33_134
.LBB33_119:                             ;   in Loop: Header=BB33_4 Depth=1
	s_or_b64 exec, exec, s[0:1]
	s_and_saveexec_b64 s[0:1], s[30:31]
	s_cbranch_execz .LBB33_3
	s_branch .LBB33_135
.LBB33_120:                             ;   in Loop: Header=BB33_4 Depth=1
	v_lshlrev_b64 v[34:35], 2, v[50:51]
	v_mov_b32_e32 v36, s50
	v_add_co_u32_e32 v34, vcc, s49, v34
	v_addc_co_u32_e32 v35, vcc, v36, v35, vcc
	s_waitcnt vmcnt(0)
	global_store_dword v[34:35], v2, off
	s_or_b64 exec, exec, s[42:43]
	s_and_saveexec_b64 s[0:1], s[2:3]
	s_cbranch_execz .LBB33_106
.LBB33_121:                             ;   in Loop: Header=BB33_4 Depth=1
	v_lshlrev_b64 v[34:35], 2, v[52:53]
	v_mov_b32_e32 v36, s50
	v_add_co_u32_e32 v34, vcc, s49, v34
	v_addc_co_u32_e32 v35, vcc, v36, v35, vcc
	s_waitcnt vmcnt(0)
	global_store_dword v[34:35], v3, off
	s_or_b64 exec, exec, s[0:1]
	s_and_saveexec_b64 s[0:1], s[4:5]
	s_cbranch_execz .LBB33_107
.LBB33_122:                             ;   in Loop: Header=BB33_4 Depth=1
	v_lshlrev_b64 v[34:35], 2, v[54:55]
	v_mov_b32_e32 v36, s50
	v_add_co_u32_e32 v34, vcc, s49, v34
	v_addc_co_u32_e32 v35, vcc, v36, v35, vcc
	s_waitcnt vmcnt(0)
	global_store_dword v[34:35], v4, off
	s_or_b64 exec, exec, s[0:1]
	s_and_saveexec_b64 s[0:1], s[6:7]
	s_cbranch_execz .LBB33_108
.LBB33_123:                             ;   in Loop: Header=BB33_4 Depth=1
	v_lshlrev_b64 v[34:35], 2, v[56:57]
	v_mov_b32_e32 v36, s50
	v_add_co_u32_e32 v34, vcc, s49, v34
	v_addc_co_u32_e32 v35, vcc, v36, v35, vcc
	s_waitcnt vmcnt(0)
	global_store_dword v[34:35], v5, off
	s_or_b64 exec, exec, s[0:1]
	s_and_saveexec_b64 s[0:1], s[8:9]
	s_cbranch_execz .LBB33_109
.LBB33_124:                             ;   in Loop: Header=BB33_4 Depth=1
	v_lshlrev_b64 v[34:35], 2, v[58:59]
	v_mov_b32_e32 v36, s50
	v_add_co_u32_e32 v34, vcc, s49, v34
	v_addc_co_u32_e32 v35, vcc, v36, v35, vcc
	s_waitcnt vmcnt(0)
	global_store_dword v[34:35], v6, off
	s_or_b64 exec, exec, s[0:1]
	s_and_saveexec_b64 s[0:1], s[10:11]
	s_cbranch_execz .LBB33_110
.LBB33_125:                             ;   in Loop: Header=BB33_4 Depth=1
	v_lshlrev_b64 v[34:35], 2, v[60:61]
	v_mov_b32_e32 v36, s50
	v_add_co_u32_e32 v34, vcc, s49, v34
	v_addc_co_u32_e32 v35, vcc, v36, v35, vcc
	s_waitcnt vmcnt(0)
	global_store_dword v[34:35], v7, off
	s_or_b64 exec, exec, s[0:1]
	s_and_saveexec_b64 s[0:1], s[12:13]
	s_cbranch_execz .LBB33_111
.LBB33_126:                             ;   in Loop: Header=BB33_4 Depth=1
	v_lshlrev_b64 v[34:35], 2, v[62:63]
	v_mov_b32_e32 v36, s50
	v_add_co_u32_e32 v34, vcc, s49, v34
	v_addc_co_u32_e32 v35, vcc, v36, v35, vcc
	s_waitcnt vmcnt(0)
	global_store_dword v[34:35], v8, off
	s_or_b64 exec, exec, s[0:1]
	s_and_saveexec_b64 s[0:1], s[14:15]
	s_cbranch_execz .LBB33_112
.LBB33_127:                             ;   in Loop: Header=BB33_4 Depth=1
	v_lshlrev_b64 v[34:35], 2, v[64:65]
	v_mov_b32_e32 v36, s50
	v_add_co_u32_e32 v34, vcc, s49, v34
	v_addc_co_u32_e32 v35, vcc, v36, v35, vcc
	s_waitcnt vmcnt(0)
	global_store_dword v[34:35], v9, off
	s_or_b64 exec, exec, s[0:1]
	s_and_saveexec_b64 s[0:1], s[16:17]
	s_cbranch_execz .LBB33_113
.LBB33_128:                             ;   in Loop: Header=BB33_4 Depth=1
	v_lshlrev_b64 v[34:35], 2, v[66:67]
	v_mov_b32_e32 v36, s50
	v_add_co_u32_e32 v34, vcc, s49, v34
	v_addc_co_u32_e32 v35, vcc, v36, v35, vcc
	s_waitcnt vmcnt(0)
	global_store_dword v[34:35], v10, off
	s_or_b64 exec, exec, s[0:1]
	s_and_saveexec_b64 s[0:1], s[18:19]
	s_cbranch_execz .LBB33_114
.LBB33_129:                             ;   in Loop: Header=BB33_4 Depth=1
	v_lshlrev_b64 v[34:35], 2, v[68:69]
	v_mov_b32_e32 v36, s50
	v_add_co_u32_e32 v34, vcc, s49, v34
	v_addc_co_u32_e32 v35, vcc, v36, v35, vcc
	s_waitcnt vmcnt(0)
	global_store_dword v[34:35], v11, off
	s_or_b64 exec, exec, s[0:1]
	s_and_saveexec_b64 s[0:1], s[20:21]
	s_cbranch_execz .LBB33_115
.LBB33_130:                             ;   in Loop: Header=BB33_4 Depth=1
	v_lshlrev_b64 v[34:35], 2, v[70:71]
	v_mov_b32_e32 v36, s50
	v_add_co_u32_e32 v34, vcc, s49, v34
	v_addc_co_u32_e32 v35, vcc, v36, v35, vcc
	s_waitcnt vmcnt(0)
	global_store_dword v[34:35], v12, off
	s_or_b64 exec, exec, s[0:1]
	s_and_saveexec_b64 s[0:1], s[22:23]
	s_cbranch_execz .LBB33_116
.LBB33_131:                             ;   in Loop: Header=BB33_4 Depth=1
	v_lshlrev_b64 v[34:35], 2, v[72:73]
	v_mov_b32_e32 v36, s50
	v_add_co_u32_e32 v34, vcc, s49, v34
	v_addc_co_u32_e32 v35, vcc, v36, v35, vcc
	s_waitcnt vmcnt(0)
	global_store_dword v[34:35], v13, off
	s_or_b64 exec, exec, s[0:1]
	s_and_saveexec_b64 s[0:1], s[24:25]
	s_cbranch_execz .LBB33_117
.LBB33_132:                             ;   in Loop: Header=BB33_4 Depth=1
	v_lshlrev_b64 v[34:35], 2, v[74:75]
	v_mov_b32_e32 v36, s50
	v_add_co_u32_e32 v34, vcc, s49, v34
	v_addc_co_u32_e32 v35, vcc, v36, v35, vcc
	s_waitcnt vmcnt(0)
	global_store_dword v[34:35], v14, off
	s_or_b64 exec, exec, s[0:1]
	s_and_saveexec_b64 s[0:1], s[26:27]
	s_cbranch_execz .LBB33_118
.LBB33_133:                             ;   in Loop: Header=BB33_4 Depth=1
	v_lshlrev_b64 v[34:35], 2, v[76:77]
	v_mov_b32_e32 v36, s50
	v_add_co_u32_e32 v34, vcc, s49, v34
	v_addc_co_u32_e32 v35, vcc, v36, v35, vcc
	s_waitcnt vmcnt(0)
	global_store_dword v[34:35], v15, off
	s_or_b64 exec, exec, s[0:1]
	s_and_saveexec_b64 s[0:1], s[28:29]
	s_cbranch_execz .LBB33_119
.LBB33_134:                             ;   in Loop: Header=BB33_4 Depth=1
	v_lshlrev_b64 v[34:35], 2, v[78:79]
	v_mov_b32_e32 v36, s50
	v_add_co_u32_e32 v34, vcc, s49, v34
	v_addc_co_u32_e32 v35, vcc, v36, v35, vcc
	s_waitcnt vmcnt(0)
	global_store_dword v[34:35], v16, off
	s_or_b64 exec, exec, s[0:1]
	s_and_saveexec_b64 s[0:1], s[30:31]
	s_cbranch_execz .LBB33_3
.LBB33_135:                             ;   in Loop: Header=BB33_4 Depth=1
	v_lshlrev_b64 v[34:35], 2, v[80:81]
	v_mov_b32_e32 v36, s50
	v_add_co_u32_e32 v34, vcc, s49, v34
	v_addc_co_u32_e32 v35, vcc, v36, v35, vcc
	s_waitcnt vmcnt(0)
	global_store_dword v[34:35], v17, off
	s_branch .LBB33_3
.LBB33_136:
	s_endpgm
	.section	.rodata,"a",@progbits
	.p2align	6, 0x0
	.amdhsa_kernel _ZN9rocsolver6v33100L24stedc_mergeRotate_kernelIfEEviiPT_iilS3_Pi
		.amdhsa_group_segment_fixed_size 0
		.amdhsa_private_segment_fixed_size 0
		.amdhsa_kernarg_size 304
		.amdhsa_user_sgpr_count 6
		.amdhsa_user_sgpr_private_segment_buffer 1
		.amdhsa_user_sgpr_dispatch_ptr 0
		.amdhsa_user_sgpr_queue_ptr 0
		.amdhsa_user_sgpr_kernarg_segment_ptr 1
		.amdhsa_user_sgpr_dispatch_id 0
		.amdhsa_user_sgpr_flat_scratch_init 0
		.amdhsa_user_sgpr_kernarg_preload_length 0
		.amdhsa_user_sgpr_kernarg_preload_offset 0
		.amdhsa_user_sgpr_private_segment_size 0
		.amdhsa_uses_dynamic_stack 0
		.amdhsa_system_sgpr_private_segment_wavefront_offset 0
		.amdhsa_system_sgpr_workgroup_id_x 1
		.amdhsa_system_sgpr_workgroup_id_y 1
		.amdhsa_system_sgpr_workgroup_id_z 0
		.amdhsa_system_sgpr_workgroup_info 0
		.amdhsa_system_vgpr_workitem_id 0
		.amdhsa_next_free_vgpr 118
		.amdhsa_next_free_sgpr 59
		.amdhsa_accum_offset 120
		.amdhsa_reserve_vcc 1
		.amdhsa_reserve_flat_scratch 0
		.amdhsa_float_round_mode_32 0
		.amdhsa_float_round_mode_16_64 0
		.amdhsa_float_denorm_mode_32 3
		.amdhsa_float_denorm_mode_16_64 3
		.amdhsa_dx10_clamp 1
		.amdhsa_ieee_mode 1
		.amdhsa_fp16_overflow 0
		.amdhsa_tg_split 0
		.amdhsa_exception_fp_ieee_invalid_op 0
		.amdhsa_exception_fp_denorm_src 0
		.amdhsa_exception_fp_ieee_div_zero 0
		.amdhsa_exception_fp_ieee_overflow 0
		.amdhsa_exception_fp_ieee_underflow 0
		.amdhsa_exception_fp_ieee_inexact 0
		.amdhsa_exception_int_div_zero 0
	.end_amdhsa_kernel
	.section	.text._ZN9rocsolver6v33100L24stedc_mergeRotate_kernelIfEEviiPT_iilS3_Pi,"axG",@progbits,_ZN9rocsolver6v33100L24stedc_mergeRotate_kernelIfEEviiPT_iilS3_Pi,comdat
.Lfunc_end33:
	.size	_ZN9rocsolver6v33100L24stedc_mergeRotate_kernelIfEEviiPT_iilS3_Pi, .Lfunc_end33-_ZN9rocsolver6v33100L24stedc_mergeRotate_kernelIfEEviiPT_iilS3_Pi
                                        ; -- End function
	.section	.AMDGPU.csdata,"",@progbits
; Kernel info:
; codeLenInByte = 4240
; NumSgprs: 63
; NumVgprs: 118
; NumAgprs: 0
; TotalNumVgprs: 118
; ScratchSize: 0
; MemoryBound: 0
; FloatMode: 240
; IeeeMode: 1
; LDSByteSize: 0 bytes/workgroup (compile time only)
; SGPRBlocks: 7
; VGPRBlocks: 14
; NumSGPRsForWavesPerEU: 63
; NumVGPRsForWavesPerEU: 118
; AccumOffset: 120
; Occupancy: 4
; WaveLimiterHint : 1
; COMPUTE_PGM_RSRC2:SCRATCH_EN: 0
; COMPUTE_PGM_RSRC2:USER_SGPR: 6
; COMPUTE_PGM_RSRC2:TRAP_HANDLER: 0
; COMPUTE_PGM_RSRC2:TGID_X_EN: 1
; COMPUTE_PGM_RSRC2:TGID_Y_EN: 1
; COMPUTE_PGM_RSRC2:TGID_Z_EN: 0
; COMPUTE_PGM_RSRC2:TIDIG_COMP_CNT: 0
; COMPUTE_PGM_RSRC3_GFX90A:ACCUM_OFFSET: 29
; COMPUTE_PGM_RSRC3_GFX90A:TG_SPLIT: 0
	.section	.text._ZN9rocsolver6v33100L31stedc_mergeValues_SortDZ_kernelIfEEviiPT_lS3_Pi,"axG",@progbits,_ZN9rocsolver6v33100L31stedc_mergeValues_SortDZ_kernelIfEEviiPT_lS3_Pi,comdat
	.globl	_ZN9rocsolver6v33100L31stedc_mergeValues_SortDZ_kernelIfEEviiPT_lS3_Pi ; -- Begin function _ZN9rocsolver6v33100L31stedc_mergeValues_SortDZ_kernelIfEEviiPT_lS3_Pi
	.p2align	8
	.type	_ZN9rocsolver6v33100L31stedc_mergeValues_SortDZ_kernelIfEEviiPT_lS3_Pi,@function
_ZN9rocsolver6v33100L31stedc_mergeValues_SortDZ_kernelIfEEviiPT_lS3_Pi: ; @_ZN9rocsolver6v33100L31stedc_mergeValues_SortDZ_kernelIfEEviiPT_lS3_Pi
; %bb.0:
	s_load_dword s18, s[4:5], 0x4
	s_load_dwordx8 s[8:15], s[4:5], 0x8
	s_load_dword s16, s[4:5], 0x34
	s_ashr_i32 s0, s7, 31
	v_mov_b32_e32 v2, 0
	s_waitcnt lgkmcnt(0)
	s_ashr_i32 s19, s18, 31
	s_mul_i32 s1, s7, s11
	s_mul_hi_u32 s2, s7, s10
	s_add_i32 s1, s2, s1
	s_mul_i32 s0, s0, s10
	s_add_i32 s1, s1, s0
	s_mul_i32 s0, s7, s10
	s_lshl_b64 s[0:1], s[0:1], 2
	s_mul_i32 s2, s18, s7
	s_add_u32 s43, s8, s0
	s_mul_i32 s0, s2, 13
	s_addc_u32 s44, s9, s1
	s_ashr_i32 s1, s0, 31
	s_lshl_b64 s[0:1], s[0:1], 2
	s_add_u32 s3, s14, s0
	s_addc_u32 s4, s15, s1
	s_lshl_b32 s0, s18, 3
	s_ashr_i32 s1, s0, 31
	s_lshl_b64 s[0:1], s[0:1], 2
	s_add_u32 s46, s3, s0
	s_addc_u32 s47, s4, s1
	s_lshl_b64 s[0:1], s[18:19], 3
	s_add_u32 s33, s46, s0
	s_addc_u32 s34, s47, s1
	s_mul_i32 s1, s18, 0xffffffec
	s_mul_hi_i32 s0, s18, 0xffffffec
	s_add_u32 s4, s33, s1
	s_addc_u32 s5, s34, s0
	s_lshl_b64 s[22:23], s[18:19], 2
	s_add_u32 s37, s4, s22
	s_mul_i32 s2, s2, 10
	s_addc_u32 s38, s5, s23
	s_mul_i32 s0, s18, 7
	s_ashr_i32 s3, s2, 31
	s_ashr_i32 s1, s0, 31
	s_lshl_b64 s[2:3], s[2:3], 2
	s_add_u32 s2, s12, s2
	s_addc_u32 s3, s13, s3
	s_lshl_b64 s[0:1], s[0:1], 2
	s_add_u32 s30, s2, s0
	s_addc_u32 s31, s3, s1
	s_add_u32 s35, s30, s22
	s_addc_u32 s36, s31, s23
	;; [unrolled: 2-line block ×3, first 2 shown]
	s_ashr_i32 s7, s6, 31
	s_lshl_b64 s[20:21], s[6:7], 2
	s_add_u32 s0, s39, s20
	s_addc_u32 s1, s40, s21
	s_load_dword s8, s[0:1], 0x0
	s_add_u32 s0, s43, s20
	s_addc_u32 s1, s44, s21
	s_load_dword s7, s[0:1], 0x0
	s_add_u32 s0, s2, s20
	s_addc_u32 s1, s3, s21
	s_add_u32 s2, s4, s20
	s_addc_u32 s3, s5, s21
	;; [unrolled: 2-line block ×3, first 2 shown]
	s_and_b32 s45, s16, 0xffff
	s_lshl_b32 s48, s45, 3
	v_cvt_f32_u32_e32 v3, s48
	s_load_dword s49, s[2:3], 0x0
	s_sub_i32 s2, 0, s48
	s_load_dword s41, s[0:1], 0x0
	s_load_dword s42, s[4:5], 0x0
	v_rcp_iflag_f32_e32 v3, v3
	s_waitcnt lgkmcnt(0)
	v_cmp_lt_f32_e64 s[8:9], s8, 0
	s_add_i32 s0, s49, -1
	s_ashr_i32 s1, s0, 31
	v_mul_f32_e32 v3, 0x4f7ffffe, v3
	v_cvt_u32_f32_e32 v3, v3
	s_abs_i32 s0, s0
	v_cndmask_b32_e64 v19, 1.0, -1.0, s[8:9]
	v_mul_f32_e32 v1, s7, v19
	v_readfirstlane_b32 s3, v3
	s_mul_i32 s2, s2, s3
	s_mul_hi_u32 s2, s3, s2
	s_add_i32 s3, s3, s2
	s_mul_hi_u32 s2, s0, s3
	s_mul_i32 s3, s2, s48
	s_sub_i32 s0, s0, s3
	s_add_i32 s3, s2, 1
	s_sub_i32 s4, s0, s48
	s_cmp_ge_u32 s0, s48
	s_cselect_b32 s2, s3, s2
	s_cselect_b32 s0, s4, s0
	s_add_i32 s3, s2, 1
	s_cmp_ge_u32 s0, s48
	s_cselect_b32 s0, s3, s2
	s_xor_b32 s0, s0, s1
	s_sub_i32 s2, s0, s1
	s_cmp_lt_i32 s2, 0
	s_mov_b64 s[0:1], -1
	v_mov_b32_e32 v18, 0
	s_cbranch_scc1 .LBB34_68
; %bb.1:
	s_add_u32 s0, s46, s20
	s_addc_u32 s1, s47, s21
	s_load_dword s50, s[0:1], 0x0
	s_lshl_b32 s0, s45, 1
	s_add_i32 s52, s42, s0
	s_mul_i32 s0, s45, 3
	s_add_i32 s53, s42, s0
	s_lshl_b32 s0, s45, 2
	s_add_i32 s54, s42, s0
	s_mul_i32 s0, s45, 5
	s_add_i32 s55, s42, s0
	s_mul_i32 s0, s45, 6
	;; [unrolled: 2-line block ×3, first 2 shown]
	s_add_i32 s51, s2, 1
	s_add_i32 s57, s42, s0
	;; [unrolled: 1-line block ×3, first 2 shown]
	v_mov_b32_e32 v20, 0
	v_mov_b32_e32 v21, v0
	;; [unrolled: 1-line block ×5, first 2 shown]
                                        ; implicit-def: $vgpr2_vgpr3_vgpr4_vgpr5_vgpr6_vgpr7_vgpr8_vgpr9
                                        ; implicit-def: $vgpr10_vgpr11_vgpr12_vgpr13_vgpr14_vgpr15_vgpr16_vgpr17
	s_branch .LBB34_4
.LBB34_2:                               ;   in Loop: Header=BB34_4 Depth=1
	s_or_b64 exec, exec, s[8:9]
	v_cmp_u_f32_e32 vcc, v9, v9
	v_cndmask_b32_e64 v24, 0, 1, s[4:5]
	v_addc_co_u32_e32 v20, vcc, 0, v20, vcc
	v_add_u32_e32 v22, v22, v24
	v_cmp_lt_i32_e32 vcc, 0, v17
	v_cndmask_b32_e64 v24, 0, 1, s[0:1]
	v_addc_co_u32_e32 v18, vcc, 0, v18, vcc
	v_add_u32_e32 v23, v23, v24
.LBB34_3:                               ;   in Loop: Header=BB34_4 Depth=1
	s_or_b64 exec, exec, s[2:3]
	s_add_i32 s51, s51, -1
	s_cmp_eq_u32 s51, 0
	v_add_u32_e32 v21, s48, v21
	s_cbranch_scc1 .LBB34_67
.LBB34_4:                               ; =>This Inner Loop Header: Depth=1
	v_cmp_gt_i32_e64 s[14:15], s49, v21
	s_and_saveexec_b64 s[0:1], s[14:15]
	s_cbranch_execz .LBB34_6
; %bb.5:                                ;   in Loop: Header=BB34_4 Depth=1
	v_add_u32_e32 v24, s42, v21
	v_ashrrev_i32_e32 v25, 31, v24
	v_lshlrev_b64 v[24:25], 2, v[24:25]
	v_mov_b32_e32 v2, s44
	v_add_co_u32_e32 v26, vcc, s43, v24
	v_addc_co_u32_e32 v27, vcc, v2, v25, vcc
	s_waitcnt vmcnt(0)
	v_mov_b32_e32 v10, s47
	v_add_co_u32_e32 v24, vcc, s46, v24
	global_load_dword v2, v[26:27], off
	v_addc_co_u32_e32 v25, vcc, v10, v25, vcc
	global_load_dword v10, v[24:25], off
	s_waitcnt vmcnt(1)
	v_mul_f32_e32 v2, v19, v2
.LBB34_6:                               ;   in Loop: Header=BB34_4 Depth=1
	s_or_b64 exec, exec, s[0:1]
	v_add_u32_e32 v24, s45, v21
	v_cmp_gt_i32_e64 s[12:13], s49, v24
	s_and_saveexec_b64 s[0:1], s[12:13]
	s_cbranch_execz .LBB34_8
; %bb.7:                                ;   in Loop: Header=BB34_4 Depth=1
	v_add_u32_e32 v26, s58, v21
	v_ashrrev_i32_e32 v27, 31, v26
	v_lshlrev_b64 v[26:27], 2, v[26:27]
	v_mov_b32_e32 v3, s44
	v_add_co_u32_e32 v28, vcc, s43, v26
	v_addc_co_u32_e32 v29, vcc, v3, v27, vcc
	s_waitcnt vmcnt(0)
	v_mov_b32_e32 v11, s47
	v_add_co_u32_e32 v26, vcc, s46, v26
	global_load_dword v3, v[28:29], off
	v_addc_co_u32_e32 v27, vcc, v11, v27, vcc
	global_load_dword v11, v[26:27], off
	s_waitcnt vmcnt(1)
	v_mul_f32_e32 v3, v19, v3
.LBB34_8:                               ;   in Loop: Header=BB34_4 Depth=1
	s_or_b64 exec, exec, s[0:1]
	v_add_u32_e32 v24, s45, v24
	v_cmp_gt_i32_e64 s[10:11], s49, v24
	s_and_saveexec_b64 s[0:1], s[10:11]
	s_cbranch_execz .LBB34_10
; %bb.9:                                ;   in Loop: Header=BB34_4 Depth=1
	v_add_u32_e32 v26, s52, v21
	v_ashrrev_i32_e32 v27, 31, v26
	v_lshlrev_b64 v[26:27], 2, v[26:27]
	v_mov_b32_e32 v4, s44
	v_add_co_u32_e32 v28, vcc, s43, v26
	v_addc_co_u32_e32 v29, vcc, v4, v27, vcc
	s_waitcnt vmcnt(0)
	v_mov_b32_e32 v12, s47
	v_add_co_u32_e32 v26, vcc, s46, v26
	global_load_dword v4, v[28:29], off
	v_addc_co_u32_e32 v27, vcc, v12, v27, vcc
	global_load_dword v12, v[26:27], off
	s_waitcnt vmcnt(1)
	v_mul_f32_e32 v4, v19, v4
.LBB34_10:                              ;   in Loop: Header=BB34_4 Depth=1
	s_or_b64 exec, exec, s[0:1]
	v_add_u32_e32 v24, s45, v24
	v_cmp_gt_i32_e64 s[8:9], s49, v24
	s_and_saveexec_b64 s[0:1], s[8:9]
	s_cbranch_execz .LBB34_12
; %bb.11:                               ;   in Loop: Header=BB34_4 Depth=1
	v_add_u32_e32 v26, s53, v21
	v_ashrrev_i32_e32 v27, 31, v26
	v_lshlrev_b64 v[26:27], 2, v[26:27]
	v_mov_b32_e32 v5, s44
	v_add_co_u32_e32 v28, vcc, s43, v26
	v_addc_co_u32_e32 v29, vcc, v5, v27, vcc
	s_waitcnt vmcnt(0)
	v_mov_b32_e32 v13, s47
	v_add_co_u32_e32 v26, vcc, s46, v26
	global_load_dword v5, v[28:29], off
	v_addc_co_u32_e32 v27, vcc, v13, v27, vcc
	global_load_dword v13, v[26:27], off
	s_waitcnt vmcnt(1)
	v_mul_f32_e32 v5, v19, v5
.LBB34_12:                              ;   in Loop: Header=BB34_4 Depth=1
	s_or_b64 exec, exec, s[0:1]
	v_add_u32_e32 v24, s45, v24
	v_cmp_gt_i32_e64 s[4:5], s49, v24
	s_and_saveexec_b64 s[0:1], s[4:5]
	s_cbranch_execz .LBB34_14
; %bb.13:                               ;   in Loop: Header=BB34_4 Depth=1
	v_add_u32_e32 v26, s54, v21
	v_ashrrev_i32_e32 v27, 31, v26
	v_lshlrev_b64 v[26:27], 2, v[26:27]
	v_mov_b32_e32 v6, s44
	v_add_co_u32_e32 v28, vcc, s43, v26
	v_addc_co_u32_e32 v29, vcc, v6, v27, vcc
	s_waitcnt vmcnt(0)
	v_mov_b32_e32 v14, s47
	v_add_co_u32_e32 v26, vcc, s46, v26
	global_load_dword v6, v[28:29], off
	v_addc_co_u32_e32 v27, vcc, v14, v27, vcc
	global_load_dword v14, v[26:27], off
	s_waitcnt vmcnt(1)
	v_mul_f32_e32 v6, v19, v6
.LBB34_14:                              ;   in Loop: Header=BB34_4 Depth=1
	;; [unrolled: 21-line block ×4, first 2 shown]
	s_or_b64 exec, exec, s[16:17]
	v_add_u32_e32 v24, s45, v24
	v_cmp_gt_i32_e32 vcc, s49, v24
	s_and_saveexec_b64 s[24:25], vcc
	s_cbranch_execnz .LBB34_27
; %bb.19:                               ;   in Loop: Header=BB34_4 Depth=1
	s_or_b64 exec, exec, s[24:25]
	s_and_saveexec_b64 s[24:25], s[14:15]
	s_cbranch_execnz .LBB34_28
.LBB34_20:                              ;   in Loop: Header=BB34_4 Depth=1
	s_or_b64 exec, exec, s[24:25]
	s_and_saveexec_b64 s[16:17], s[12:13]
	s_cbranch_execnz .LBB34_33
.LBB34_21:                              ;   in Loop: Header=BB34_4 Depth=1
	s_or_b64 exec, exec, s[16:17]
	s_and_saveexec_b64 s[14:15], s[10:11]
	s_cbranch_execnz .LBB34_38
.LBB34_22:                              ;   in Loop: Header=BB34_4 Depth=1
	s_or_b64 exec, exec, s[14:15]
	s_and_saveexec_b64 s[12:13], s[8:9]
	s_cbranch_execnz .LBB34_43
.LBB34_23:                              ;   in Loop: Header=BB34_4 Depth=1
	s_or_b64 exec, exec, s[12:13]
	s_and_saveexec_b64 s[10:11], s[4:5]
	s_cbranch_execnz .LBB34_48
.LBB34_24:                              ;   in Loop: Header=BB34_4 Depth=1
	s_or_b64 exec, exec, s[10:11]
	s_and_saveexec_b64 s[8:9], s[2:3]
	s_cbranch_execnz .LBB34_53
.LBB34_25:                              ;   in Loop: Header=BB34_4 Depth=1
	s_or_b64 exec, exec, s[8:9]
	s_and_saveexec_b64 s[4:5], s[0:1]
	s_cbranch_execnz .LBB34_58
.LBB34_26:                              ;   in Loop: Header=BB34_4 Depth=1
	s_or_b64 exec, exec, s[4:5]
	s_and_saveexec_b64 s[2:3], vcc
	s_cbranch_execz .LBB34_3
	s_branch .LBB34_63
.LBB34_27:                              ;   in Loop: Header=BB34_4 Depth=1
	v_add_u32_e32 v24, s57, v21
	v_ashrrev_i32_e32 v25, 31, v24
	v_lshlrev_b64 v[24:25], 2, v[24:25]
	v_mov_b32_e32 v9, s44
	v_add_co_u32_e64 v26, s[16:17], s43, v24
	v_addc_co_u32_e64 v27, s[16:17], v9, v25, s[16:17]
	s_waitcnt vmcnt(0)
	v_mov_b32_e32 v17, s47
	v_add_co_u32_e64 v24, s[16:17], s46, v24
	global_load_dword v9, v[26:27], off
	v_addc_co_u32_e64 v25, s[16:17], v17, v25, s[16:17]
	global_load_dword v17, v[24:25], off
	s_waitcnt vmcnt(1)
	v_mul_f32_e32 v9, v19, v9
	s_or_b64 exec, exec, s[24:25]
	s_and_saveexec_b64 s[24:25], s[14:15]
	s_cbranch_execz .LBB34_20
.LBB34_28:                              ;   in Loop: Header=BB34_4 Depth=1
	s_waitcnt vmcnt(0) lgkmcnt(0)
	v_cmp_ge_i32_e64 s[14:15], s50, v10
	s_mov_b64 s[26:27], -1
	s_and_saveexec_b64 s[28:29], s[14:15]
; %bb.29:                               ;   in Loop: Header=BB34_4 Depth=1
	v_cmp_eq_u32_e64 s[14:15], s50, v10
	v_cmp_lt_f32_e64 s[16:17], v2, v1
	s_and_b64 s[14:15], s[14:15], s[16:17]
	s_orn2_b64 s[26:27], s[14:15], exec
; %bb.30:                               ;   in Loop: Header=BB34_4 Depth=1
	s_or_b64 exec, exec, s[28:29]
	v_cmp_eq_u32_e64 s[14:15], s50, v10
	v_cmp_eq_f32_e64 s[16:17], v2, v1
	s_and_b64 s[14:15], s[14:15], s[16:17]
	s_mov_b64 s[16:17], 0
	s_and_saveexec_b64 s[28:29], s[14:15]
; %bb.31:                               ;   in Loop: Header=BB34_4 Depth=1
	v_add_u32_e32 v24, s42, v21
	v_cmp_gt_i32_e64 s[14:15], s6, v24
	s_and_b64 s[16:17], s[14:15], exec
; %bb.32:                               ;   in Loop: Header=BB34_4 Depth=1
	s_or_b64 exec, exec, s[28:29]
	v_cmp_u_f32_e64 s[14:15], v2, v2
	v_cndmask_b32_e64 v24, 0, 1, s[26:27]
	v_addc_co_u32_e64 v20, s[14:15], 0, v20, s[14:15]
	v_add_u32_e32 v22, v22, v24
	v_cmp_lt_i32_e64 s[14:15], 0, v10
	v_cndmask_b32_e64 v24, 0, 1, s[16:17]
	v_addc_co_u32_e64 v18, s[14:15], 0, v18, s[14:15]
	v_add_u32_e32 v23, v23, v24
	s_or_b64 exec, exec, s[24:25]
	s_and_saveexec_b64 s[16:17], s[12:13]
	s_cbranch_execz .LBB34_21
.LBB34_33:                              ;   in Loop: Header=BB34_4 Depth=1
	s_waitcnt vmcnt(0) lgkmcnt(0)
	v_cmp_ge_i32_e64 s[12:13], s50, v11
	s_mov_b64 s[24:25], -1
	s_and_saveexec_b64 s[26:27], s[12:13]
; %bb.34:                               ;   in Loop: Header=BB34_4 Depth=1
	v_cmp_eq_u32_e64 s[12:13], s50, v11
	v_cmp_lt_f32_e64 s[14:15], v3, v1
	s_and_b64 s[12:13], s[12:13], s[14:15]
	s_orn2_b64 s[24:25], s[12:13], exec
; %bb.35:                               ;   in Loop: Header=BB34_4 Depth=1
	s_or_b64 exec, exec, s[26:27]
	v_cmp_eq_u32_e64 s[12:13], s50, v11
	v_cmp_eq_f32_e64 s[14:15], v3, v1
	s_and_b64 s[12:13], s[12:13], s[14:15]
	s_mov_b64 s[14:15], 0
	s_and_saveexec_b64 s[26:27], s[12:13]
; %bb.36:                               ;   in Loop: Header=BB34_4 Depth=1
	v_add_u32_e32 v24, s58, v21
	v_cmp_gt_i32_e64 s[12:13], s6, v24
	s_and_b64 s[14:15], s[12:13], exec
; %bb.37:                               ;   in Loop: Header=BB34_4 Depth=1
	s_or_b64 exec, exec, s[26:27]
	v_cmp_u_f32_e64 s[12:13], v3, v3
	v_cndmask_b32_e64 v24, 0, 1, s[24:25]
	v_addc_co_u32_e64 v20, s[12:13], 0, v20, s[12:13]
	v_add_u32_e32 v22, v22, v24
	v_cmp_lt_i32_e64 s[12:13], 0, v11
	v_cndmask_b32_e64 v24, 0, 1, s[14:15]
	v_addc_co_u32_e64 v18, s[12:13], 0, v18, s[12:13]
	v_add_u32_e32 v23, v23, v24
	s_or_b64 exec, exec, s[16:17]
	s_and_saveexec_b64 s[14:15], s[10:11]
	s_cbranch_execz .LBB34_22
.LBB34_38:                              ;   in Loop: Header=BB34_4 Depth=1
	s_waitcnt vmcnt(0) lgkmcnt(0)
	v_cmp_ge_i32_e64 s[10:11], s50, v12
	s_mov_b64 s[16:17], -1
	s_and_saveexec_b64 s[24:25], s[10:11]
; %bb.39:                               ;   in Loop: Header=BB34_4 Depth=1
	v_cmp_eq_u32_e64 s[10:11], s50, v12
	v_cmp_lt_f32_e64 s[12:13], v4, v1
	s_and_b64 s[10:11], s[10:11], s[12:13]
	s_orn2_b64 s[16:17], s[10:11], exec
; %bb.40:                               ;   in Loop: Header=BB34_4 Depth=1
	s_or_b64 exec, exec, s[24:25]
	v_cmp_eq_u32_e64 s[10:11], s50, v12
	v_cmp_eq_f32_e64 s[12:13], v4, v1
	s_and_b64 s[10:11], s[10:11], s[12:13]
	s_mov_b64 s[12:13], 0
	s_and_saveexec_b64 s[24:25], s[10:11]
; %bb.41:                               ;   in Loop: Header=BB34_4 Depth=1
	v_add_u32_e32 v24, s52, v21
	v_cmp_gt_i32_e64 s[10:11], s6, v24
	s_and_b64 s[12:13], s[10:11], exec
; %bb.42:                               ;   in Loop: Header=BB34_4 Depth=1
	s_or_b64 exec, exec, s[24:25]
	v_cmp_u_f32_e64 s[10:11], v4, v4
	v_cndmask_b32_e64 v24, 0, 1, s[16:17]
	v_addc_co_u32_e64 v20, s[10:11], 0, v20, s[10:11]
	v_add_u32_e32 v22, v22, v24
	v_cmp_lt_i32_e64 s[10:11], 0, v12
	v_cndmask_b32_e64 v24, 0, 1, s[12:13]
	v_addc_co_u32_e64 v18, s[10:11], 0, v18, s[10:11]
	v_add_u32_e32 v23, v23, v24
	s_or_b64 exec, exec, s[14:15]
	s_and_saveexec_b64 s[12:13], s[8:9]
	s_cbranch_execz .LBB34_23
.LBB34_43:                              ;   in Loop: Header=BB34_4 Depth=1
	s_waitcnt vmcnt(0) lgkmcnt(0)
	v_cmp_ge_i32_e64 s[8:9], s50, v13
	s_mov_b64 s[14:15], -1
	s_and_saveexec_b64 s[16:17], s[8:9]
; %bb.44:                               ;   in Loop: Header=BB34_4 Depth=1
	v_cmp_eq_u32_e64 s[8:9], s50, v13
	v_cmp_lt_f32_e64 s[10:11], v5, v1
	s_and_b64 s[8:9], s[8:9], s[10:11]
	s_orn2_b64 s[14:15], s[8:9], exec
; %bb.45:                               ;   in Loop: Header=BB34_4 Depth=1
	s_or_b64 exec, exec, s[16:17]
	v_cmp_eq_u32_e64 s[8:9], s50, v13
	v_cmp_eq_f32_e64 s[10:11], v5, v1
	s_and_b64 s[8:9], s[8:9], s[10:11]
	s_mov_b64 s[10:11], 0
	s_and_saveexec_b64 s[16:17], s[8:9]
; %bb.46:                               ;   in Loop: Header=BB34_4 Depth=1
	v_add_u32_e32 v24, s53, v21
	v_cmp_gt_i32_e64 s[8:9], s6, v24
	s_and_b64 s[10:11], s[8:9], exec
; %bb.47:                               ;   in Loop: Header=BB34_4 Depth=1
	s_or_b64 exec, exec, s[16:17]
	v_cmp_u_f32_e64 s[8:9], v5, v5
	v_cndmask_b32_e64 v24, 0, 1, s[14:15]
	v_addc_co_u32_e64 v20, s[8:9], 0, v20, s[8:9]
	v_add_u32_e32 v22, v22, v24
	v_cmp_lt_i32_e64 s[8:9], 0, v13
	v_cndmask_b32_e64 v24, 0, 1, s[10:11]
	v_addc_co_u32_e64 v18, s[8:9], 0, v18, s[8:9]
	v_add_u32_e32 v23, v23, v24
	s_or_b64 exec, exec, s[12:13]
	s_and_saveexec_b64 s[10:11], s[4:5]
	s_cbranch_execz .LBB34_24
.LBB34_48:                              ;   in Loop: Header=BB34_4 Depth=1
	s_waitcnt vmcnt(0) lgkmcnt(0)
	v_cmp_ge_i32_e64 s[4:5], s50, v14
	s_mov_b64 s[12:13], -1
	s_and_saveexec_b64 s[14:15], s[4:5]
; %bb.49:                               ;   in Loop: Header=BB34_4 Depth=1
	v_cmp_eq_u32_e64 s[4:5], s50, v14
	v_cmp_lt_f32_e64 s[8:9], v6, v1
	s_and_b64 s[4:5], s[4:5], s[8:9]
	s_orn2_b64 s[12:13], s[4:5], exec
; %bb.50:                               ;   in Loop: Header=BB34_4 Depth=1
	s_or_b64 exec, exec, s[14:15]
	v_cmp_eq_u32_e64 s[4:5], s50, v14
	v_cmp_eq_f32_e64 s[8:9], v6, v1
	s_and_b64 s[4:5], s[4:5], s[8:9]
	s_mov_b64 s[8:9], 0
	s_and_saveexec_b64 s[14:15], s[4:5]
; %bb.51:                               ;   in Loop: Header=BB34_4 Depth=1
	v_add_u32_e32 v24, s54, v21
	v_cmp_gt_i32_e64 s[4:5], s6, v24
	s_and_b64 s[8:9], s[4:5], exec
; %bb.52:                               ;   in Loop: Header=BB34_4 Depth=1
	s_or_b64 exec, exec, s[14:15]
	v_cmp_u_f32_e64 s[4:5], v6, v6
	v_cndmask_b32_e64 v24, 0, 1, s[12:13]
	v_addc_co_u32_e64 v20, s[4:5], 0, v20, s[4:5]
	v_add_u32_e32 v22, v22, v24
	v_cmp_lt_i32_e64 s[4:5], 0, v14
	v_cndmask_b32_e64 v24, 0, 1, s[8:9]
	v_addc_co_u32_e64 v18, s[4:5], 0, v18, s[4:5]
	v_add_u32_e32 v23, v23, v24
	s_or_b64 exec, exec, s[10:11]
	s_and_saveexec_b64 s[8:9], s[2:3]
	s_cbranch_execz .LBB34_25
.LBB34_53:                              ;   in Loop: Header=BB34_4 Depth=1
	s_waitcnt vmcnt(0) lgkmcnt(0)
	v_cmp_ge_i32_e64 s[2:3], s50, v15
	s_mov_b64 s[10:11], -1
	s_and_saveexec_b64 s[12:13], s[2:3]
; %bb.54:                               ;   in Loop: Header=BB34_4 Depth=1
	v_cmp_eq_u32_e64 s[2:3], s50, v15
	v_cmp_lt_f32_e64 s[4:5], v7, v1
	s_and_b64 s[2:3], s[2:3], s[4:5]
	s_orn2_b64 s[10:11], s[2:3], exec
; %bb.55:                               ;   in Loop: Header=BB34_4 Depth=1
	s_or_b64 exec, exec, s[12:13]
	v_cmp_eq_u32_e64 s[2:3], s50, v15
	v_cmp_eq_f32_e64 s[4:5], v7, v1
	s_and_b64 s[2:3], s[2:3], s[4:5]
	s_mov_b64 s[4:5], 0
	s_and_saveexec_b64 s[12:13], s[2:3]
; %bb.56:                               ;   in Loop: Header=BB34_4 Depth=1
	v_add_u32_e32 v24, s55, v21
	v_cmp_gt_i32_e64 s[2:3], s6, v24
	s_and_b64 s[4:5], s[2:3], exec
; %bb.57:                               ;   in Loop: Header=BB34_4 Depth=1
	s_or_b64 exec, exec, s[12:13]
	v_cmp_u_f32_e64 s[2:3], v7, v7
	v_cndmask_b32_e64 v24, 0, 1, s[10:11]
	v_addc_co_u32_e64 v20, s[2:3], 0, v20, s[2:3]
	v_add_u32_e32 v22, v22, v24
	v_cmp_lt_i32_e64 s[2:3], 0, v15
	v_cndmask_b32_e64 v24, 0, 1, s[4:5]
	v_addc_co_u32_e64 v18, s[2:3], 0, v18, s[2:3]
	v_add_u32_e32 v23, v23, v24
	s_or_b64 exec, exec, s[8:9]
	s_and_saveexec_b64 s[4:5], s[0:1]
	s_cbranch_execz .LBB34_26
.LBB34_58:                              ;   in Loop: Header=BB34_4 Depth=1
	s_waitcnt vmcnt(0) lgkmcnt(0)
	v_cmp_ge_i32_e64 s[0:1], s50, v16
	s_mov_b64 s[8:9], -1
	s_and_saveexec_b64 s[10:11], s[0:1]
; %bb.59:                               ;   in Loop: Header=BB34_4 Depth=1
	v_cmp_eq_u32_e64 s[0:1], s50, v16
	v_cmp_lt_f32_e64 s[2:3], v8, v1
	s_and_b64 s[0:1], s[0:1], s[2:3]
	s_orn2_b64 s[8:9], s[0:1], exec
; %bb.60:                               ;   in Loop: Header=BB34_4 Depth=1
	s_or_b64 exec, exec, s[10:11]
	v_cmp_eq_u32_e64 s[0:1], s50, v16
	v_cmp_eq_f32_e64 s[2:3], v8, v1
	s_and_b64 s[0:1], s[0:1], s[2:3]
	s_mov_b64 s[2:3], 0
	s_and_saveexec_b64 s[10:11], s[0:1]
; %bb.61:                               ;   in Loop: Header=BB34_4 Depth=1
	v_add_u32_e32 v24, s56, v21
	v_cmp_gt_i32_e64 s[0:1], s6, v24
	s_and_b64 s[2:3], s[0:1], exec
; %bb.62:                               ;   in Loop: Header=BB34_4 Depth=1
	s_or_b64 exec, exec, s[10:11]
	v_cmp_u_f32_e64 s[0:1], v8, v8
	v_cndmask_b32_e64 v24, 0, 1, s[8:9]
	v_addc_co_u32_e64 v20, s[0:1], 0, v20, s[0:1]
	v_add_u32_e32 v22, v22, v24
	v_cmp_lt_i32_e64 s[0:1], 0, v16
	v_cndmask_b32_e64 v24, 0, 1, s[2:3]
	v_addc_co_u32_e64 v18, s[0:1], 0, v18, s[0:1]
	v_add_u32_e32 v23, v23, v24
	s_or_b64 exec, exec, s[4:5]
	s_and_saveexec_b64 s[2:3], vcc
	s_cbranch_execz .LBB34_3
.LBB34_63:                              ;   in Loop: Header=BB34_4 Depth=1
	s_waitcnt vmcnt(0) lgkmcnt(0)
	v_cmp_ge_i32_e32 vcc, s50, v17
	s_mov_b64 s[4:5], -1
	s_and_saveexec_b64 s[8:9], vcc
; %bb.64:                               ;   in Loop: Header=BB34_4 Depth=1
	v_cmp_eq_u32_e32 vcc, s50, v17
	v_cmp_lt_f32_e64 s[0:1], v9, v1
	s_and_b64 s[0:1], vcc, s[0:1]
	s_orn2_b64 s[4:5], s[0:1], exec
; %bb.65:                               ;   in Loop: Header=BB34_4 Depth=1
	s_or_b64 exec, exec, s[8:9]
	v_cmp_eq_u32_e32 vcc, s50, v17
	v_cmp_eq_f32_e64 s[0:1], v9, v1
	s_and_b64 s[10:11], vcc, s[0:1]
	s_mov_b64 s[0:1], 0
	s_and_saveexec_b64 s[8:9], s[10:11]
	s_cbranch_execz .LBB34_2
; %bb.66:                               ;   in Loop: Header=BB34_4 Depth=1
	v_add_u32_e32 v24, s57, v21
	v_cmp_gt_i32_e32 vcc, s6, v24
	s_and_b64 s[0:1], vcc, exec
	s_branch .LBB34_2
.LBB34_67:
	v_add_u32_e32 v2, v22, v23
	v_cmp_eq_u32_e64 s[0:1], 0, v20
.LBB34_68:
	v_lshlrev_b32_e32 v3, 2, v0
	s_cmp_lt_u32 s45, 2
	ds_write2st64_b32 v3, v18, v2 offset1:8
	s_waitcnt lgkmcnt(0)
	s_barrier
	s_cbranch_scc1 .LBB34_73
; %bb.69:
	v_or_b32_e32 v4, 0x800, v3
	s_lshr_b32 s4, s45, 1
	v_cmp_gt_u32_e32 vcc, s4, v0
	s_and_saveexec_b64 s[2:3], vcc
	s_cbranch_execz .LBB34_71
.LBB34_70:
	s_lshl_b32 s5, s4, 2
	v_add_u32_e32 v5, s5, v4
	v_add_u32_e32 v6, s5, v3
	ds_read_b32 v5, v5
	ds_read_b32 v6, v6
	s_waitcnt lgkmcnt(1)
	v_add_u32_e32 v2, v5, v2
	s_waitcnt lgkmcnt(0)
	v_add_u32_e32 v18, v6, v18
	ds_write_b32 v4, v2
	ds_write_b32 v3, v18
.LBB34_71:                              ; =>This Inner Loop Header: Depth=1
	s_or_b64 exec, exec, s[2:3]
	s_cmp_gt_u32 s45, 3
	s_waitcnt lgkmcnt(0)
	s_barrier
	s_cbranch_scc0 .LBB34_73
; %bb.72:                               ;   in Loop: Header=BB34_71 Depth=1
	s_mov_b32 s45, s4
	s_lshr_b32 s4, s45, 1
	v_cmp_gt_u32_e32 vcc, s4, v0
	s_and_saveexec_b64 s[2:3], vcc
	s_cbranch_execnz .LBB34_70
	s_branch .LBB34_71
.LBB34_73:
	s_xor_b64 s[0:1], s[0:1], -1
	v_cmp_eq_u32_e32 vcc, 0, v0
	s_and_saveexec_b64 s[2:3], vcc
	s_cbranch_execz .LBB34_75
; %bb.74:
	v_add_u32_e32 v2, s42, v2
	s_add_u32 s8, s37, s22
	v_ashrrev_i32_e32 v3, 31, v2
	s_addc_u32 s9, s38, s23
	v_lshlrev_b64 v[2:3], 2, v[2:3]
	v_mov_b32_e32 v0, s9
	v_add_co_u32_e32 v4, vcc, s8, v2
	v_addc_co_u32_e32 v5, vcc, v0, v3, vcc
	global_store_dword v[4:5], v18, off
	v_mov_b32_e32 v0, s34
	v_add_co_u32_e32 v4, vcc, s33, v2
	v_addc_co_u32_e32 v5, vcc, v0, v3, vcc
	v_mov_b32_e32 v0, s6
	global_store_dword v[4:5], v0, off
	v_mov_b32_e32 v0, s31
	v_add_co_u32_e32 v4, vcc, s30, v2
	s_lshl_b64 s[4:5], s[18:19], 5
	v_addc_co_u32_e32 v5, vcc, v0, v3, vcc
	s_sub_u32 s4, s39, s4
	global_store_dword v[4:5], v1, off
	v_mov_b32_e32 v1, s36
	v_add_co_u32_e32 v0, vcc, s35, v2
	s_subb_u32 s5, s40, s5
	v_addc_co_u32_e32 v1, vcc, v1, v3, vcc
	v_mov_b32_e32 v4, s41
	global_store_dword v[0:1], v4, off
	v_mov_b32_e32 v1, s5
	v_add_co_u32_e32 v0, vcc, s4, v2
	v_addc_co_u32_e32 v1, vcc, v1, v3, vcc
	v_mov_b32_e32 v2, s7
	global_store_dword v[0:1], v2, off
.LBB34_75:
	s_or_b64 exec, exec, s[2:3]
	s_barrier
	s_and_saveexec_b64 s[2:3], s[0:1]
	s_cbranch_execz .LBB34_77
; %bb.76:
	s_add_u32 s0, s30, s20
	s_addc_u32 s1, s31, s21
	v_mov_b32_e32 v0, 0
	v_mov_b32_e32 v1, 0x7fc00000
	global_store_dword v0, v1, s[0:1]
.LBB34_77:
	s_endpgm
	.section	.rodata,"a",@progbits
	.p2align	6, 0x0
	.amdhsa_kernel _ZN9rocsolver6v33100L31stedc_mergeValues_SortDZ_kernelIfEEviiPT_lS3_Pi
		.amdhsa_group_segment_fixed_size 4096
		.amdhsa_private_segment_fixed_size 0
		.amdhsa_kernarg_size 296
		.amdhsa_user_sgpr_count 6
		.amdhsa_user_sgpr_private_segment_buffer 1
		.amdhsa_user_sgpr_dispatch_ptr 0
		.amdhsa_user_sgpr_queue_ptr 0
		.amdhsa_user_sgpr_kernarg_segment_ptr 1
		.amdhsa_user_sgpr_dispatch_id 0
		.amdhsa_user_sgpr_flat_scratch_init 0
		.amdhsa_user_sgpr_kernarg_preload_length 0
		.amdhsa_user_sgpr_kernarg_preload_offset 0
		.amdhsa_user_sgpr_private_segment_size 0
		.amdhsa_uses_dynamic_stack 0
		.amdhsa_system_sgpr_private_segment_wavefront_offset 0
		.amdhsa_system_sgpr_workgroup_id_x 1
		.amdhsa_system_sgpr_workgroup_id_y 1
		.amdhsa_system_sgpr_workgroup_id_z 0
		.amdhsa_system_sgpr_workgroup_info 0
		.amdhsa_system_vgpr_workitem_id 0
		.amdhsa_next_free_vgpr 30
		.amdhsa_next_free_sgpr 59
		.amdhsa_accum_offset 32
		.amdhsa_reserve_vcc 1
		.amdhsa_reserve_flat_scratch 0
		.amdhsa_float_round_mode_32 0
		.amdhsa_float_round_mode_16_64 0
		.amdhsa_float_denorm_mode_32 3
		.amdhsa_float_denorm_mode_16_64 3
		.amdhsa_dx10_clamp 1
		.amdhsa_ieee_mode 1
		.amdhsa_fp16_overflow 0
		.amdhsa_tg_split 0
		.amdhsa_exception_fp_ieee_invalid_op 0
		.amdhsa_exception_fp_denorm_src 0
		.amdhsa_exception_fp_ieee_div_zero 0
		.amdhsa_exception_fp_ieee_overflow 0
		.amdhsa_exception_fp_ieee_underflow 0
		.amdhsa_exception_fp_ieee_inexact 0
		.amdhsa_exception_int_div_zero 0
	.end_amdhsa_kernel
	.section	.text._ZN9rocsolver6v33100L31stedc_mergeValues_SortDZ_kernelIfEEviiPT_lS3_Pi,"axG",@progbits,_ZN9rocsolver6v33100L31stedc_mergeValues_SortDZ_kernelIfEEviiPT_lS3_Pi,comdat
.Lfunc_end34:
	.size	_ZN9rocsolver6v33100L31stedc_mergeValues_SortDZ_kernelIfEEviiPT_lS3_Pi, .Lfunc_end34-_ZN9rocsolver6v33100L31stedc_mergeValues_SortDZ_kernelIfEEviiPT_lS3_Pi
                                        ; -- End function
	.section	.AMDGPU.csdata,"",@progbits
; Kernel info:
; codeLenInByte = 3092
; NumSgprs: 63
; NumVgprs: 30
; NumAgprs: 0
; TotalNumVgprs: 30
; ScratchSize: 0
; MemoryBound: 0
; FloatMode: 240
; IeeeMode: 1
; LDSByteSize: 4096 bytes/workgroup (compile time only)
; SGPRBlocks: 7
; VGPRBlocks: 3
; NumSGPRsForWavesPerEU: 63
; NumVGPRsForWavesPerEU: 30
; AccumOffset: 32
; Occupancy: 8
; WaveLimiterHint : 1
; COMPUTE_PGM_RSRC2:SCRATCH_EN: 0
; COMPUTE_PGM_RSRC2:USER_SGPR: 6
; COMPUTE_PGM_RSRC2:TRAP_HANDLER: 0
; COMPUTE_PGM_RSRC2:TGID_X_EN: 1
; COMPUTE_PGM_RSRC2:TGID_Y_EN: 1
; COMPUTE_PGM_RSRC2:TGID_Z_EN: 0
; COMPUTE_PGM_RSRC2:TIDIG_COMP_CNT: 0
; COMPUTE_PGM_RSRC3_GFX90A:ACCUM_OFFSET: 7
; COMPUTE_PGM_RSRC3_GFX90A:TG_SPLIT: 0
	.section	.text._ZN9rocsolver6v33100L30stedc_mergeValues_copyD_kernelIfEEviiPT_lS3_S3_Pi,"axG",@progbits,_ZN9rocsolver6v33100L30stedc_mergeValues_copyD_kernelIfEEviiPT_lS3_S3_Pi,comdat
	.globl	_ZN9rocsolver6v33100L30stedc_mergeValues_copyD_kernelIfEEviiPT_lS3_S3_Pi ; -- Begin function _ZN9rocsolver6v33100L30stedc_mergeValues_copyD_kernelIfEEviiPT_lS3_S3_Pi
	.p2align	8
	.type	_ZN9rocsolver6v33100L30stedc_mergeValues_copyD_kernelIfEEviiPT_lS3_S3_Pi,@function
_ZN9rocsolver6v33100L30stedc_mergeValues_copyD_kernelIfEEviiPT_lS3_S3_Pi: ; @_ZN9rocsolver6v33100L30stedc_mergeValues_copyD_kernelIfEEviiPT_lS3_S3_Pi
; %bb.0:
	s_load_dword s2, s[4:5], 0x4
	s_load_dwordx8 s[8:15], s[4:5], 0x8
	s_load_dwordx2 s[16:17], s[4:5], 0x28
	s_load_dword s20, s[4:5], 0x3c
	s_mov_b32 s0, s7
	s_waitcnt lgkmcnt(0)
	s_mul_i32 s1, s7, s2
	s_mul_i32 s4, s1, 13
	s_ashr_i32 s5, s4, 31
	s_lshl_b64 s[4:5], s[4:5], 2
	s_add_u32 s3, s16, s4
	s_mul_i32 s4, s2, 7
	s_addc_u32 s7, s17, s5
	s_ashr_i32 s5, s4, 31
	s_lshl_b64 s[4:5], s[4:5], 2
	s_add_u32 s21, s3, s4
	s_mul_i32 s16, s1, 10
	s_addc_u32 s22, s7, s5
	s_ashr_i32 s3, s2, 31
	s_ashr_i32 s17, s16, 31
	s_lshl_b64 s[18:19], s[2:3], 2
	s_lshl_b64 s[16:17], s[16:17], 2
	s_add_u32 s3, s12, s16
	s_addc_u32 s7, s13, s17
	s_add_u32 s3, s3, s4
	s_addc_u32 s16, s7, s5
	s_ashr_i32 s7, s6, 31
	s_lshl_b64 s[4:5], s[6:7], 2
	s_add_u32 s4, s21, s4
	s_addc_u32 s5, s22, s5
	s_sub_u32 s18, s4, s18
	s_subb_u32 s19, s5, s19
	s_load_dword s7, s[4:5], 0x0
	s_load_dword s12, s[18:19], 0x0
	s_and_b32 s13, s20, 0xffff
	s_mul_i32 s4, s6, s13
	v_add_u32_e32 v2, s4, v0
	v_cmp_gt_i32_e32 vcc, s2, v2
	s_and_saveexec_b64 s[4:5], vcc
	s_cbranch_execz .LBB35_2
; %bb.1:
	s_mul_i32 s18, s2, 0xffffffe8
	s_mul_hi_i32 s17, s2, 0xffffffe8
	s_add_u32 s18, s3, s18
	v_ashrrev_i32_e32 v3, 31, v2
	s_addc_u32 s17, s16, s17
	v_lshlrev_b64 v[2:3], 2, v[2:3]
	v_mov_b32_e32 v1, s17
	v_add_co_u32_e32 v4, vcc, s18, v2
	v_addc_co_u32_e32 v5, vcc, v1, v3, vcc
	global_load_dword v1, v[4:5], off
	s_ashr_i32 s17, s0, 31
	s_mul_i32 s11, s0, s11
	s_mul_hi_u32 s18, s0, s10
	s_add_i32 s11, s18, s11
	s_mul_i32 s17, s17, s10
	s_add_i32 s11, s11, s17
	s_mul_i32 s10, s0, s10
	s_lshl_b64 s[10:11], s[10:11], 2
	s_add_u32 s0, s8, s10
	s_addc_u32 s8, s9, s11
	v_mov_b32_e32 v4, s8
	v_add_co_u32_e32 v2, vcc, s0, v2
	v_addc_co_u32_e32 v3, vcc, v4, v3, vcc
	s_waitcnt vmcnt(0)
	global_store_dword v[2:3], v1, off
.LBB35_2:
	s_or_b64 exec, exec, s[4:5]
	s_waitcnt lgkmcnt(0)
	v_cmp_gt_i32_e32 vcc, s7, v0
	s_and_saveexec_b64 s[4:5], vcc
	s_cbranch_execz .LBB35_5
; %bb.3:
	s_mul_i32 s1, s1, s2
	s_lshl_b32 s0, s1, 1
	s_ashr_i32 s1, s0, 31
	s_lshl_b64 s[0:1], s[0:1], 2
	s_add_u32 s4, s14, s0
	s_addc_u32 s5, s15, s1
	s_mul_i32 s0, s2, s2
	s_mov_b32 s1, 0
	s_lshl_b64 s[0:1], s[0:1], 2
	s_add_u32 s4, s4, s0
	s_addc_u32 s5, s5, s1
	s_mul_i32 s2, s6, s2
	s_mov_b64 s[0:1], 0
	v_mov_b32_e32 v1, s16
	v_mov_b32_e32 v2, s5
.LBB35_4:                               ; =>This Inner Loop Header: Depth=1
	v_add_u32_e32 v4, s12, v0
	v_ashrrev_i32_e32 v5, 31, v4
	v_lshlrev_b64 v[4:5], 2, v[4:5]
	v_add_co_u32_e32 v4, vcc, s3, v4
	v_addc_co_u32_e32 v5, vcc, v1, v5, vcc
	global_load_dword v3, v[4:5], off
	v_add_u32_e32 v4, s2, v0
	v_add_u32_e32 v0, s13, v0
	v_ashrrev_i32_e32 v5, 31, v4
	v_cmp_le_i32_e32 vcc, s7, v0
	v_lshlrev_b64 v[4:5], 2, v[4:5]
	s_or_b64 s[0:1], vcc, s[0:1]
	v_add_co_u32_e32 v4, vcc, s4, v4
	v_addc_co_u32_e32 v5, vcc, v2, v5, vcc
	s_waitcnt vmcnt(0)
	global_store_dword v[4:5], v3, off
	s_andn2_b64 exec, exec, s[0:1]
	s_cbranch_execnz .LBB35_4
.LBB35_5:
	s_endpgm
	.section	.rodata,"a",@progbits
	.p2align	6, 0x0
	.amdhsa_kernel _ZN9rocsolver6v33100L30stedc_mergeValues_copyD_kernelIfEEviiPT_lS3_S3_Pi
		.amdhsa_group_segment_fixed_size 0
		.amdhsa_private_segment_fixed_size 0
		.amdhsa_kernarg_size 304
		.amdhsa_user_sgpr_count 6
		.amdhsa_user_sgpr_private_segment_buffer 1
		.amdhsa_user_sgpr_dispatch_ptr 0
		.amdhsa_user_sgpr_queue_ptr 0
		.amdhsa_user_sgpr_kernarg_segment_ptr 1
		.amdhsa_user_sgpr_dispatch_id 0
		.amdhsa_user_sgpr_flat_scratch_init 0
		.amdhsa_user_sgpr_kernarg_preload_length 0
		.amdhsa_user_sgpr_kernarg_preload_offset 0
		.amdhsa_user_sgpr_private_segment_size 0
		.amdhsa_uses_dynamic_stack 0
		.amdhsa_system_sgpr_private_segment_wavefront_offset 0
		.amdhsa_system_sgpr_workgroup_id_x 1
		.amdhsa_system_sgpr_workgroup_id_y 1
		.amdhsa_system_sgpr_workgroup_id_z 0
		.amdhsa_system_sgpr_workgroup_info 0
		.amdhsa_system_vgpr_workitem_id 0
		.amdhsa_next_free_vgpr 6
		.amdhsa_next_free_sgpr 23
		.amdhsa_accum_offset 8
		.amdhsa_reserve_vcc 1
		.amdhsa_reserve_flat_scratch 0
		.amdhsa_float_round_mode_32 0
		.amdhsa_float_round_mode_16_64 0
		.amdhsa_float_denorm_mode_32 3
		.amdhsa_float_denorm_mode_16_64 3
		.amdhsa_dx10_clamp 1
		.amdhsa_ieee_mode 1
		.amdhsa_fp16_overflow 0
		.amdhsa_tg_split 0
		.amdhsa_exception_fp_ieee_invalid_op 0
		.amdhsa_exception_fp_denorm_src 0
		.amdhsa_exception_fp_ieee_div_zero 0
		.amdhsa_exception_fp_ieee_overflow 0
		.amdhsa_exception_fp_ieee_underflow 0
		.amdhsa_exception_fp_ieee_inexact 0
		.amdhsa_exception_int_div_zero 0
	.end_amdhsa_kernel
	.section	.text._ZN9rocsolver6v33100L30stedc_mergeValues_copyD_kernelIfEEviiPT_lS3_S3_Pi,"axG",@progbits,_ZN9rocsolver6v33100L30stedc_mergeValues_copyD_kernelIfEEviiPT_lS3_S3_Pi,comdat
.Lfunc_end35:
	.size	_ZN9rocsolver6v33100L30stedc_mergeValues_copyD_kernelIfEEviiPT_lS3_S3_Pi, .Lfunc_end35-_ZN9rocsolver6v33100L30stedc_mergeValues_copyD_kernelIfEEviiPT_lS3_S3_Pi
                                        ; -- End function
	.section	.AMDGPU.csdata,"",@progbits
; Kernel info:
; codeLenInByte = 480
; NumSgprs: 27
; NumVgprs: 6
; NumAgprs: 0
; TotalNumVgprs: 6
; ScratchSize: 0
; MemoryBound: 0
; FloatMode: 240
; IeeeMode: 1
; LDSByteSize: 0 bytes/workgroup (compile time only)
; SGPRBlocks: 3
; VGPRBlocks: 0
; NumSGPRsForWavesPerEU: 27
; NumVGPRsForWavesPerEU: 6
; AccumOffset: 8
; Occupancy: 8
; WaveLimiterHint : 1
; COMPUTE_PGM_RSRC2:SCRATCH_EN: 0
; COMPUTE_PGM_RSRC2:USER_SGPR: 6
; COMPUTE_PGM_RSRC2:TRAP_HANDLER: 0
; COMPUTE_PGM_RSRC2:TGID_X_EN: 1
; COMPUTE_PGM_RSRC2:TGID_Y_EN: 1
; COMPUTE_PGM_RSRC2:TGID_Z_EN: 0
; COMPUTE_PGM_RSRC2:TIDIG_COMP_CNT: 0
; COMPUTE_PGM_RSRC3_GFX90A:ACCUM_OFFSET: 1
; COMPUTE_PGM_RSRC3_GFX90A:TG_SPLIT: 0
	.section	.text._ZN9rocsolver6v33100L11stedc_copyCIfPfS2_EEviT0_iilT1_iil,"axG",@progbits,_ZN9rocsolver6v33100L11stedc_copyCIfPfS2_EEviT0_iilT1_iil,comdat
	.globl	_ZN9rocsolver6v33100L11stedc_copyCIfPfS2_EEviT0_iilT1_iil ; -- Begin function _ZN9rocsolver6v33100L11stedc_copyCIfPfS2_EEviT0_iilT1_iil
	.p2align	8
	.type	_ZN9rocsolver6v33100L11stedc_copyCIfPfS2_EEviT0_iilT1_iil,@function
_ZN9rocsolver6v33100L11stedc_copyCIfPfS2_EEviT0_iilT1_iil: ; @_ZN9rocsolver6v33100L11stedc_copyCIfPfS2_EEviT0_iilT1_iil
; %bb.0:
	s_load_dword s0, s[4:5], 0x44
	s_load_dword s37, s[4:5], 0x0
	s_waitcnt lgkmcnt(0)
	s_and_b32 s33, s0, 0xffff
	s_lshl_b32 s36, s33, 4
	v_cvt_f32_u32_e32 v1, s36
	s_sub_i32 s2, 0, s36
	s_add_i32 s0, s37, -1
	s_ashr_i32 s1, s0, 31
	v_rcp_iflag_f32_e32 v1, v1
	s_abs_i32 s0, s0
	v_mul_f32_e32 v1, 0x4f7ffffe, v1
	v_cvt_u32_f32_e32 v1, v1
	v_readfirstlane_b32 s3, v1
	s_mul_i32 s2, s2, s3
	s_mul_hi_u32 s2, s3, s2
	s_add_i32 s3, s3, s2
	s_mul_hi_u32 s2, s0, s3
	s_mul_i32 s3, s2, s36
	s_sub_i32 s0, s0, s3
	s_add_i32 s8, s2, 1
	s_sub_i32 s3, s0, s36
	s_cmp_ge_u32 s0, s36
	s_cselect_b32 s2, s8, s2
	s_cselect_b32 s0, s3, s0
	s_add_i32 s3, s2, 1
	s_cmp_ge_u32 s0, s36
	s_cselect_b32 s0, s3, s2
	s_xor_b32 s0, s0, s1
	s_sub_i32 s16, s0, s1
	s_cmp_lt_i32 s16, 0
	s_cbranch_scc1 .LBB36_67
; %bb.1:
	s_load_dwordx8 s[8:15], s[4:5], 0x8
	s_load_dwordx4 s[0:3], s[4:5], 0x28
	s_ashr_i32 s17, s7, 31
	s_mul_i32 s44, s33, 3
	s_mul_i32 s46, s33, 5
	s_waitcnt lgkmcnt(0)
	s_ashr_i32 s5, s10, 31
	s_mov_b32 s4, s10
	s_mul_i32 s10, s7, s13
	s_mul_hi_u32 s13, s7, s12
	s_add_i32 s10, s13, s10
	s_mul_i32 s13, s17, s12
	s_add_i32 s13, s10, s13
	s_mul_i32 s12, s7, s12
	s_lshl_b64 s[12:13], s[12:13], 2
	s_add_u32 s8, s8, s12
	s_addc_u32 s9, s9, s13
	s_lshl_b64 s[4:5], s[4:5], 2
	s_add_u32 s8, s8, s4
	s_addc_u32 s9, s9, s5
	s_ashr_i32 s5, s0, 31
	s_mov_b32 s4, s0
	s_mul_i32 s0, s7, s3
	s_mul_hi_u32 s3, s7, s2
	s_add_i32 s0, s3, s0
	s_mul_i32 s17, s17, s2
	s_add_i32 s3, s0, s17
	s_mul_i32 s2, s7, s2
	s_lshl_b64 s[2:3], s[2:3], 2
	s_add_u32 s0, s14, s2
	s_addc_u32 s7, s15, s3
	s_lshl_b64 s[2:3], s[4:5], 2
	s_add_u32 s4, s0, s2
	s_mul_i32 s2, s6, s11
	s_addc_u32 s5, s7, s3
	s_ashr_i32 s3, s2, 31
	s_lshl_b64 s[2:3], s[2:3], 2
	s_add_u32 s38, s8, s2
	s_mul_i32 s0, s6, s1
	s_addc_u32 s39, s9, s3
	s_ashr_i32 s1, s0, 31
	s_lshl_b64 s[0:1], s[0:1], 2
	s_add_u32 s40, s4, s0
	s_addc_u32 s41, s5, s1
	s_add_i32 s42, s16, 1
	s_lshl_b32 s43, s33, 1
	s_lshl_b32 s45, s33, 2
	s_mul_i32 s47, s33, 6
	s_mul_i32 s48, s33, 7
	s_lshl_b32 s49, s33, 3
	s_mul_i32 s50, s33, 9
	s_mul_i32 s51, s33, 10
	;; [unrolled: 1-line block ×7, first 2 shown]
                                        ; implicit-def: $vgpr2_vgpr3_vgpr4_vgpr5_vgpr6_vgpr7_vgpr8_vgpr9_vgpr10_vgpr11_vgpr12_vgpr13_vgpr14_vgpr15_vgpr16_vgpr17
	s_branch .LBB36_3
.LBB36_2:                               ;   in Loop: Header=BB36_3 Depth=1
	s_or_b64 exec, exec, s[0:1]
	s_add_i32 s42, s42, -1
	s_cmp_eq_u32 s42, 0
	v_add_u32_e32 v0, s36, v0
	s_cbranch_scc1 .LBB36_67
.LBB36_3:                               ; =>This Inner Loop Header: Depth=1
	v_cmp_gt_i32_e32 vcc, s37, v0
	v_ashrrev_i32_e32 v1, 31, v0
	s_and_saveexec_b64 s[2:3], vcc
	s_cbranch_execz .LBB36_5
; %bb.4:                                ;   in Loop: Header=BB36_3 Depth=1
	v_lshlrev_b64 v[18:19], 2, v[0:1]
	s_waitcnt vmcnt(0)
	v_mov_b32_e32 v2, s39
	v_add_co_u32_e64 v18, s[0:1], s38, v18
	v_addc_co_u32_e64 v19, s[0:1], v2, v19, s[0:1]
	global_load_dword v2, v[18:19], off
.LBB36_5:                               ;   in Loop: Header=BB36_3 Depth=1
	s_or_b64 exec, exec, s[2:3]
	v_add_u32_e32 v18, s33, v0
	v_cmp_gt_i32_e64 s[0:1], s37, v18
	v_ashrrev_i32_e32 v19, 31, v18
	s_and_saveexec_b64 s[4:5], s[0:1]
	s_cbranch_execz .LBB36_7
; %bb.6:                                ;   in Loop: Header=BB36_3 Depth=1
	v_lshlrev_b64 v[20:21], 2, v[18:19]
	s_waitcnt vmcnt(0)
	v_mov_b32_e32 v3, s39
	v_add_co_u32_e64 v20, s[2:3], s38, v20
	v_addc_co_u32_e64 v21, s[2:3], v3, v21, s[2:3]
	global_load_dword v3, v[20:21], off
.LBB36_7:                               ;   in Loop: Header=BB36_3 Depth=1
	s_or_b64 exec, exec, s[4:5]
	v_add_u32_e32 v20, s43, v0
	v_add_u32_e32 v23, s33, v18
	v_cmp_gt_i32_e64 s[2:3], s37, v23
	v_ashrrev_i32_e32 v21, 31, v20
	s_and_saveexec_b64 s[6:7], s[2:3]
	s_cbranch_execz .LBB36_9
; %bb.8:                                ;   in Loop: Header=BB36_3 Depth=1
	v_lshlrev_b64 v[24:25], 2, v[20:21]
	s_waitcnt vmcnt(0)
	v_mov_b32_e32 v4, s39
	v_add_co_u32_e64 v24, s[4:5], s38, v24
	v_addc_co_u32_e64 v25, s[4:5], v4, v25, s[4:5]
	global_load_dword v4, v[24:25], off
.LBB36_9:                               ;   in Loop: Header=BB36_3 Depth=1
	s_or_b64 exec, exec, s[6:7]
	v_add_u32_e32 v22, s44, v0
	v_add_u32_e32 v25, s33, v23
	v_cmp_gt_i32_e64 s[4:5], s37, v25
	v_ashrrev_i32_e32 v23, 31, v22
	s_and_saveexec_b64 s[8:9], s[4:5]
	s_cbranch_execz .LBB36_11
; %bb.10:                               ;   in Loop: Header=BB36_3 Depth=1
	v_lshlrev_b64 v[26:27], 2, v[22:23]
	s_waitcnt vmcnt(0)
	v_mov_b32_e32 v5, s39
	v_add_co_u32_e64 v26, s[6:7], s38, v26
	v_addc_co_u32_e64 v27, s[6:7], v5, v27, s[6:7]
	global_load_dword v5, v[26:27], off
.LBB36_11:                              ;   in Loop: Header=BB36_3 Depth=1
	s_or_b64 exec, exec, s[8:9]
	v_add_u32_e32 v24, s45, v0
	v_add_u32_e32 v27, s33, v25
	v_cmp_gt_i32_e64 s[6:7], s37, v27
	v_ashrrev_i32_e32 v25, 31, v24
	s_and_saveexec_b64 s[10:11], s[6:7]
	s_cbranch_execz .LBB36_13
; %bb.12:                               ;   in Loop: Header=BB36_3 Depth=1
	v_lshlrev_b64 v[28:29], 2, v[24:25]
	s_waitcnt vmcnt(0)
	v_mov_b32_e32 v6, s39
	v_add_co_u32_e64 v28, s[8:9], s38, v28
	v_addc_co_u32_e64 v29, s[8:9], v6, v29, s[8:9]
	global_load_dword v6, v[28:29], off
.LBB36_13:                              ;   in Loop: Header=BB36_3 Depth=1
	;; [unrolled: 15-line block ×12, first 2 shown]
	s_or_b64 exec, exec, s[30:31]
	v_add_u32_e32 v46, s56, v0
	v_add_u32_e32 v47, s33, v47
	v_cmp_gt_i32_e64 s[28:29], s37, v47
	v_ashrrev_i32_e32 v47, 31, v46
	s_and_saveexec_b64 s[34:35], s[28:29]
	s_cbranch_execnz .LBB36_50
; %bb.34:                               ;   in Loop: Header=BB36_3 Depth=1
	s_or_b64 exec, exec, s[34:35]
	s_and_saveexec_b64 s[30:31], vcc
	s_cbranch_execnz .LBB36_51
.LBB36_35:                              ;   in Loop: Header=BB36_3 Depth=1
	s_or_b64 exec, exec, s[30:31]
	s_and_saveexec_b64 s[30:31], s[0:1]
	s_cbranch_execnz .LBB36_52
.LBB36_36:                              ;   in Loop: Header=BB36_3 Depth=1
	s_or_b64 exec, exec, s[30:31]
	s_and_saveexec_b64 s[0:1], s[2:3]
	s_cbranch_execnz .LBB36_53
.LBB36_37:                              ;   in Loop: Header=BB36_3 Depth=1
	s_or_b64 exec, exec, s[0:1]
	s_and_saveexec_b64 s[0:1], s[4:5]
	s_cbranch_execnz .LBB36_54
.LBB36_38:                              ;   in Loop: Header=BB36_3 Depth=1
	s_or_b64 exec, exec, s[0:1]
	s_and_saveexec_b64 s[0:1], s[6:7]
	s_cbranch_execnz .LBB36_55
.LBB36_39:                              ;   in Loop: Header=BB36_3 Depth=1
	s_or_b64 exec, exec, s[0:1]
	s_and_saveexec_b64 s[0:1], s[8:9]
	s_cbranch_execnz .LBB36_56
.LBB36_40:                              ;   in Loop: Header=BB36_3 Depth=1
	s_or_b64 exec, exec, s[0:1]
	s_and_saveexec_b64 s[0:1], s[10:11]
	s_cbranch_execnz .LBB36_57
.LBB36_41:                              ;   in Loop: Header=BB36_3 Depth=1
	s_or_b64 exec, exec, s[0:1]
	s_and_saveexec_b64 s[0:1], s[12:13]
	s_cbranch_execnz .LBB36_58
.LBB36_42:                              ;   in Loop: Header=BB36_3 Depth=1
	s_or_b64 exec, exec, s[0:1]
	s_and_saveexec_b64 s[0:1], s[14:15]
	s_cbranch_execnz .LBB36_59
.LBB36_43:                              ;   in Loop: Header=BB36_3 Depth=1
	s_or_b64 exec, exec, s[0:1]
	s_and_saveexec_b64 s[0:1], s[16:17]
	s_cbranch_execnz .LBB36_60
.LBB36_44:                              ;   in Loop: Header=BB36_3 Depth=1
	s_or_b64 exec, exec, s[0:1]
	s_and_saveexec_b64 s[0:1], s[18:19]
	s_cbranch_execnz .LBB36_61
.LBB36_45:                              ;   in Loop: Header=BB36_3 Depth=1
	s_or_b64 exec, exec, s[0:1]
	s_and_saveexec_b64 s[0:1], s[20:21]
	s_cbranch_execnz .LBB36_62
.LBB36_46:                              ;   in Loop: Header=BB36_3 Depth=1
	s_or_b64 exec, exec, s[0:1]
	s_and_saveexec_b64 s[0:1], s[22:23]
	s_cbranch_execnz .LBB36_63
.LBB36_47:                              ;   in Loop: Header=BB36_3 Depth=1
	s_or_b64 exec, exec, s[0:1]
	s_and_saveexec_b64 s[0:1], s[24:25]
	s_cbranch_execnz .LBB36_64
.LBB36_48:                              ;   in Loop: Header=BB36_3 Depth=1
	s_or_b64 exec, exec, s[0:1]
	s_and_saveexec_b64 s[0:1], s[26:27]
	s_cbranch_execnz .LBB36_65
.LBB36_49:                              ;   in Loop: Header=BB36_3 Depth=1
	s_or_b64 exec, exec, s[0:1]
	s_and_saveexec_b64 s[0:1], s[28:29]
	s_cbranch_execz .LBB36_2
	s_branch .LBB36_66
.LBB36_50:                              ;   in Loop: Header=BB36_3 Depth=1
	v_lshlrev_b64 v[48:49], 2, v[46:47]
	s_waitcnt vmcnt(0)
	v_mov_b32_e32 v17, s39
	v_add_co_u32_e64 v48, s[30:31], s38, v48
	v_addc_co_u32_e64 v49, s[30:31], v17, v49, s[30:31]
	global_load_dword v17, v[48:49], off
	s_or_b64 exec, exec, s[34:35]
	s_and_saveexec_b64 s[30:31], vcc
	s_cbranch_execz .LBB36_35
.LBB36_51:                              ;   in Loop: Header=BB36_3 Depth=1
	v_lshlrev_b64 v[48:49], 2, v[0:1]
	v_mov_b32_e32 v1, s41
	v_add_co_u32_e32 v48, vcc, s40, v48
	v_addc_co_u32_e32 v49, vcc, v1, v49, vcc
	s_waitcnt vmcnt(0)
	global_store_dword v[48:49], v2, off
	s_or_b64 exec, exec, s[30:31]
	s_and_saveexec_b64 s[30:31], s[0:1]
	s_cbranch_execz .LBB36_36
.LBB36_52:                              ;   in Loop: Header=BB36_3 Depth=1
	v_lshlrev_b64 v[18:19], 2, v[18:19]
	v_mov_b32_e32 v1, s41
	v_add_co_u32_e32 v18, vcc, s40, v18
	v_addc_co_u32_e32 v19, vcc, v1, v19, vcc
	s_waitcnt vmcnt(0)
	global_store_dword v[18:19], v3, off
	s_or_b64 exec, exec, s[30:31]
	s_and_saveexec_b64 s[0:1], s[2:3]
	s_cbranch_execz .LBB36_37
.LBB36_53:                              ;   in Loop: Header=BB36_3 Depth=1
	v_lshlrev_b64 v[18:19], 2, v[20:21]
	v_mov_b32_e32 v1, s41
	v_add_co_u32_e32 v18, vcc, s40, v18
	v_addc_co_u32_e32 v19, vcc, v1, v19, vcc
	s_waitcnt vmcnt(0)
	global_store_dword v[18:19], v4, off
	s_or_b64 exec, exec, s[0:1]
	s_and_saveexec_b64 s[0:1], s[4:5]
	s_cbranch_execz .LBB36_38
.LBB36_54:                              ;   in Loop: Header=BB36_3 Depth=1
	v_lshlrev_b64 v[18:19], 2, v[22:23]
	v_mov_b32_e32 v1, s41
	v_add_co_u32_e32 v18, vcc, s40, v18
	v_addc_co_u32_e32 v19, vcc, v1, v19, vcc
	s_waitcnt vmcnt(0)
	global_store_dword v[18:19], v5, off
	s_or_b64 exec, exec, s[0:1]
	s_and_saveexec_b64 s[0:1], s[6:7]
	s_cbranch_execz .LBB36_39
.LBB36_55:                              ;   in Loop: Header=BB36_3 Depth=1
	v_lshlrev_b64 v[18:19], 2, v[24:25]
	v_mov_b32_e32 v1, s41
	v_add_co_u32_e32 v18, vcc, s40, v18
	v_addc_co_u32_e32 v19, vcc, v1, v19, vcc
	s_waitcnt vmcnt(0)
	global_store_dword v[18:19], v6, off
	s_or_b64 exec, exec, s[0:1]
	s_and_saveexec_b64 s[0:1], s[8:9]
	s_cbranch_execz .LBB36_40
.LBB36_56:                              ;   in Loop: Header=BB36_3 Depth=1
	v_lshlrev_b64 v[18:19], 2, v[26:27]
	v_mov_b32_e32 v1, s41
	v_add_co_u32_e32 v18, vcc, s40, v18
	v_addc_co_u32_e32 v19, vcc, v1, v19, vcc
	s_waitcnt vmcnt(0)
	global_store_dword v[18:19], v7, off
	s_or_b64 exec, exec, s[0:1]
	s_and_saveexec_b64 s[0:1], s[10:11]
	s_cbranch_execz .LBB36_41
.LBB36_57:                              ;   in Loop: Header=BB36_3 Depth=1
	v_lshlrev_b64 v[18:19], 2, v[28:29]
	v_mov_b32_e32 v1, s41
	v_add_co_u32_e32 v18, vcc, s40, v18
	v_addc_co_u32_e32 v19, vcc, v1, v19, vcc
	s_waitcnt vmcnt(0)
	global_store_dword v[18:19], v8, off
	s_or_b64 exec, exec, s[0:1]
	s_and_saveexec_b64 s[0:1], s[12:13]
	s_cbranch_execz .LBB36_42
.LBB36_58:                              ;   in Loop: Header=BB36_3 Depth=1
	v_lshlrev_b64 v[18:19], 2, v[30:31]
	v_mov_b32_e32 v1, s41
	v_add_co_u32_e32 v18, vcc, s40, v18
	v_addc_co_u32_e32 v19, vcc, v1, v19, vcc
	s_waitcnt vmcnt(0)
	global_store_dword v[18:19], v9, off
	s_or_b64 exec, exec, s[0:1]
	s_and_saveexec_b64 s[0:1], s[14:15]
	s_cbranch_execz .LBB36_43
.LBB36_59:                              ;   in Loop: Header=BB36_3 Depth=1
	v_lshlrev_b64 v[18:19], 2, v[32:33]
	v_mov_b32_e32 v1, s41
	v_add_co_u32_e32 v18, vcc, s40, v18
	v_addc_co_u32_e32 v19, vcc, v1, v19, vcc
	s_waitcnt vmcnt(0)
	global_store_dword v[18:19], v10, off
	s_or_b64 exec, exec, s[0:1]
	s_and_saveexec_b64 s[0:1], s[16:17]
	s_cbranch_execz .LBB36_44
.LBB36_60:                              ;   in Loop: Header=BB36_3 Depth=1
	v_lshlrev_b64 v[18:19], 2, v[34:35]
	v_mov_b32_e32 v1, s41
	v_add_co_u32_e32 v18, vcc, s40, v18
	v_addc_co_u32_e32 v19, vcc, v1, v19, vcc
	s_waitcnt vmcnt(0)
	global_store_dword v[18:19], v11, off
	s_or_b64 exec, exec, s[0:1]
	s_and_saveexec_b64 s[0:1], s[18:19]
	s_cbranch_execz .LBB36_45
.LBB36_61:                              ;   in Loop: Header=BB36_3 Depth=1
	v_lshlrev_b64 v[18:19], 2, v[36:37]
	v_mov_b32_e32 v1, s41
	v_add_co_u32_e32 v18, vcc, s40, v18
	v_addc_co_u32_e32 v19, vcc, v1, v19, vcc
	s_waitcnt vmcnt(0)
	global_store_dword v[18:19], v12, off
	s_or_b64 exec, exec, s[0:1]
	s_and_saveexec_b64 s[0:1], s[20:21]
	s_cbranch_execz .LBB36_46
.LBB36_62:                              ;   in Loop: Header=BB36_3 Depth=1
	v_lshlrev_b64 v[18:19], 2, v[38:39]
	v_mov_b32_e32 v1, s41
	v_add_co_u32_e32 v18, vcc, s40, v18
	v_addc_co_u32_e32 v19, vcc, v1, v19, vcc
	s_waitcnt vmcnt(0)
	global_store_dword v[18:19], v13, off
	s_or_b64 exec, exec, s[0:1]
	s_and_saveexec_b64 s[0:1], s[22:23]
	s_cbranch_execz .LBB36_47
.LBB36_63:                              ;   in Loop: Header=BB36_3 Depth=1
	v_lshlrev_b64 v[18:19], 2, v[40:41]
	v_mov_b32_e32 v1, s41
	v_add_co_u32_e32 v18, vcc, s40, v18
	v_addc_co_u32_e32 v19, vcc, v1, v19, vcc
	s_waitcnt vmcnt(0)
	global_store_dword v[18:19], v14, off
	s_or_b64 exec, exec, s[0:1]
	s_and_saveexec_b64 s[0:1], s[24:25]
	s_cbranch_execz .LBB36_48
.LBB36_64:                              ;   in Loop: Header=BB36_3 Depth=1
	v_lshlrev_b64 v[18:19], 2, v[42:43]
	v_mov_b32_e32 v1, s41
	v_add_co_u32_e32 v18, vcc, s40, v18
	v_addc_co_u32_e32 v19, vcc, v1, v19, vcc
	s_waitcnt vmcnt(0)
	global_store_dword v[18:19], v15, off
	s_or_b64 exec, exec, s[0:1]
	s_and_saveexec_b64 s[0:1], s[26:27]
	s_cbranch_execz .LBB36_49
.LBB36_65:                              ;   in Loop: Header=BB36_3 Depth=1
	v_lshlrev_b64 v[18:19], 2, v[44:45]
	v_mov_b32_e32 v1, s41
	v_add_co_u32_e32 v18, vcc, s40, v18
	v_addc_co_u32_e32 v19, vcc, v1, v19, vcc
	s_waitcnt vmcnt(0)
	global_store_dword v[18:19], v16, off
	s_or_b64 exec, exec, s[0:1]
	s_and_saveexec_b64 s[0:1], s[28:29]
	s_cbranch_execz .LBB36_2
.LBB36_66:                              ;   in Loop: Header=BB36_3 Depth=1
	v_lshlrev_b64 v[18:19], 2, v[46:47]
	v_mov_b32_e32 v1, s41
	v_add_co_u32_e32 v18, vcc, s40, v18
	v_addc_co_u32_e32 v19, vcc, v1, v19, vcc
	s_waitcnt vmcnt(0)
	global_store_dword v[18:19], v17, off
	s_branch .LBB36_2
.LBB36_67:
	s_endpgm
	.section	.rodata,"a",@progbits
	.p2align	6, 0x0
	.amdhsa_kernel _ZN9rocsolver6v33100L11stedc_copyCIfPfS2_EEviT0_iilT1_iil
		.amdhsa_group_segment_fixed_size 0
		.amdhsa_private_segment_fixed_size 0
		.amdhsa_kernarg_size 312
		.amdhsa_user_sgpr_count 6
		.amdhsa_user_sgpr_private_segment_buffer 1
		.amdhsa_user_sgpr_dispatch_ptr 0
		.amdhsa_user_sgpr_queue_ptr 0
		.amdhsa_user_sgpr_kernarg_segment_ptr 1
		.amdhsa_user_sgpr_dispatch_id 0
		.amdhsa_user_sgpr_flat_scratch_init 0
		.amdhsa_user_sgpr_kernarg_preload_length 0
		.amdhsa_user_sgpr_kernarg_preload_offset 0
		.amdhsa_user_sgpr_private_segment_size 0
		.amdhsa_uses_dynamic_stack 0
		.amdhsa_system_sgpr_private_segment_wavefront_offset 0
		.amdhsa_system_sgpr_workgroup_id_x 1
		.amdhsa_system_sgpr_workgroup_id_y 1
		.amdhsa_system_sgpr_workgroup_id_z 0
		.amdhsa_system_sgpr_workgroup_info 0
		.amdhsa_system_vgpr_workitem_id 0
		.amdhsa_next_free_vgpr 50
		.amdhsa_next_free_sgpr 57
		.amdhsa_accum_offset 52
		.amdhsa_reserve_vcc 1
		.amdhsa_reserve_flat_scratch 0
		.amdhsa_float_round_mode_32 0
		.amdhsa_float_round_mode_16_64 0
		.amdhsa_float_denorm_mode_32 3
		.amdhsa_float_denorm_mode_16_64 3
		.amdhsa_dx10_clamp 1
		.amdhsa_ieee_mode 1
		.amdhsa_fp16_overflow 0
		.amdhsa_tg_split 0
		.amdhsa_exception_fp_ieee_invalid_op 0
		.amdhsa_exception_fp_denorm_src 0
		.amdhsa_exception_fp_ieee_div_zero 0
		.amdhsa_exception_fp_ieee_overflow 0
		.amdhsa_exception_fp_ieee_underflow 0
		.amdhsa_exception_fp_ieee_inexact 0
		.amdhsa_exception_int_div_zero 0
	.end_amdhsa_kernel
	.section	.text._ZN9rocsolver6v33100L11stedc_copyCIfPfS2_EEviT0_iilT1_iil,"axG",@progbits,_ZN9rocsolver6v33100L11stedc_copyCIfPfS2_EEviT0_iilT1_iil,comdat
.Lfunc_end36:
	.size	_ZN9rocsolver6v33100L11stedc_copyCIfPfS2_EEviT0_iilT1_iil, .Lfunc_end36-_ZN9rocsolver6v33100L11stedc_copyCIfPfS2_EEviT0_iilT1_iil
                                        ; -- End function
	.section	.AMDGPU.csdata,"",@progbits
; Kernel info:
; codeLenInByte = 2444
; NumSgprs: 61
; NumVgprs: 50
; NumAgprs: 0
; TotalNumVgprs: 50
; ScratchSize: 0
; MemoryBound: 0
; FloatMode: 240
; IeeeMode: 1
; LDSByteSize: 0 bytes/workgroup (compile time only)
; SGPRBlocks: 7
; VGPRBlocks: 6
; NumSGPRsForWavesPerEU: 61
; NumVGPRsForWavesPerEU: 50
; AccumOffset: 52
; Occupancy: 8
; WaveLimiterHint : 0
; COMPUTE_PGM_RSRC2:SCRATCH_EN: 0
; COMPUTE_PGM_RSRC2:USER_SGPR: 6
; COMPUTE_PGM_RSRC2:TRAP_HANDLER: 0
; COMPUTE_PGM_RSRC2:TGID_X_EN: 1
; COMPUTE_PGM_RSRC2:TGID_Y_EN: 1
; COMPUTE_PGM_RSRC2:TGID_Z_EN: 0
; COMPUTE_PGM_RSRC2:TIDIG_COMP_CNT: 0
; COMPUTE_PGM_RSRC3_GFX90A:ACCUM_OFFSET: 12
; COMPUTE_PGM_RSRC3_GFX90A:TG_SPLIT: 0
	.section	.text._ZN9rocsolver6v33100L16stedc_reshuffleCIfPfS2_EEviT0_iilT1_iilPi,"axG",@progbits,_ZN9rocsolver6v33100L16stedc_reshuffleCIfPfS2_EEviT0_iilT1_iilPi,comdat
	.globl	_ZN9rocsolver6v33100L16stedc_reshuffleCIfPfS2_EEviT0_iilT1_iilPi ; -- Begin function _ZN9rocsolver6v33100L16stedc_reshuffleCIfPfS2_EEviT0_iilT1_iilPi
	.p2align	8
	.type	_ZN9rocsolver6v33100L16stedc_reshuffleCIfPfS2_EEviT0_iilT1_iilPi,@function
_ZN9rocsolver6v33100L16stedc_reshuffleCIfPfS2_EEviT0_iilT1_iilPi: ; @_ZN9rocsolver6v33100L16stedc_reshuffleCIfPfS2_EEviT0_iilT1_iilPi
; %bb.0:
	s_load_dword s0, s[4:5], 0x4c
	s_load_dword s37, s[4:5], 0x0
	s_waitcnt lgkmcnt(0)
	s_and_b32 s33, s0, 0xffff
	s_lshl_b32 s36, s33, 4
	v_cvt_f32_u32_e32 v1, s36
	s_sub_i32 s2, 0, s36
	s_add_i32 s0, s37, -1
	s_ashr_i32 s1, s0, 31
	v_rcp_iflag_f32_e32 v1, v1
	s_abs_i32 s0, s0
	v_mul_f32_e32 v1, 0x4f7ffffe, v1
	v_cvt_u32_f32_e32 v1, v1
	v_readfirstlane_b32 s3, v1
	s_mul_i32 s2, s2, s3
	s_mul_hi_u32 s2, s3, s2
	s_add_i32 s3, s3, s2
	s_mul_hi_u32 s2, s0, s3
	s_mul_i32 s3, s2, s36
	s_sub_i32 s0, s0, s3
	s_add_i32 s8, s2, 1
	s_sub_i32 s3, s0, s36
	s_cmp_ge_u32 s0, s36
	s_cselect_b32 s2, s8, s2
	s_cselect_b32 s0, s3, s0
	s_add_i32 s3, s2, 1
	s_cmp_ge_u32 s0, s36
	s_cselect_b32 s0, s3, s2
	s_xor_b32 s0, s0, s1
	s_sub_i32 s16, s0, s1
	s_cmp_lt_i32 s16, 0
	s_cbranch_scc1 .LBB37_67
; %bb.1:
	s_load_dwordx8 s[8:15], s[4:5], 0x8
	s_load_dwordx2 s[18:19], s[4:5], 0x28
	s_load_dwordx4 s[0:3], s[4:5], 0x30
	s_mul_i32 s4, s7, s37
	s_mul_i32 s4, s4, 13
	s_ashr_i32 s5, s4, 31
	s_lshl_b64 s[4:5], s[4:5], 2
	s_waitcnt lgkmcnt(0)
	s_add_u32 s4, s2, s4
	s_mul_i32 s2, s37, 10
	s_addc_u32 s5, s3, s5
	s_ashr_i32 s3, s2, 31
	s_lshl_b64 s[2:3], s[2:3], 2
	s_add_u32 s4, s4, s2
	s_addc_u32 s5, s5, s3
	s_mov_b32 s17, s7
	s_ashr_i32 s7, s6, 31
	s_lshl_b64 s[2:3], s[6:7], 2
	s_add_u32 s2, s4, s2
	s_addc_u32 s3, s5, s3
	s_load_dword s7, s[2:3], 0x0
	s_ashr_i32 s3, s10, 31
	s_mov_b32 s2, s10
	s_ashr_i32 s10, s17, 31
	s_mul_i32 s4, s17, s13
	s_mul_hi_u32 s5, s17, s12
	s_add_i32 s4, s5, s4
	s_mul_i32 s5, s10, s12
	s_add_i32 s5, s4, s5
	s_mul_i32 s4, s17, s12
	s_lshl_b64 s[4:5], s[4:5], 2
	s_add_u32 s4, s8, s4
	s_addc_u32 s5, s9, s5
	s_lshl_b64 s[2:3], s[2:3], 2
	s_add_u32 s4, s4, s2
	s_mul_i32 s1, s17, s1
	s_mul_hi_u32 s8, s17, s0
	s_addc_u32 s5, s5, s3
	s_add_i32 s1, s8, s1
	s_mul_i32 s10, s10, s0
	s_add_i32 s1, s1, s10
	s_mul_i32 s0, s17, s0
	s_ashr_i32 s3, s18, 31
	s_lshl_b64 s[0:1], s[0:1], 2
	s_mov_b32 s2, s18
	s_add_u32 s8, s14, s0
	s_addc_u32 s9, s15, s1
	s_lshl_b64 s[0:1], s[2:3], 2
	s_add_u32 s2, s8, s0
	s_waitcnt lgkmcnt(0)
	s_mul_i32 s0, s7, s11
	s_addc_u32 s3, s9, s1
	s_ashr_i32 s1, s0, 31
	s_lshl_b64 s[0:1], s[0:1], 2
	s_add_u32 s38, s4, s0
	s_mul_i32 s0, s6, s19
	s_addc_u32 s39, s5, s1
	s_ashr_i32 s1, s0, 31
	s_lshl_b64 s[0:1], s[0:1], 2
	s_add_u32 s40, s2, s0
	s_addc_u32 s41, s3, s1
	s_add_i32 s42, s16, 1
	s_lshl_b32 s43, s33, 1
	s_mul_i32 s44, s33, 3
	s_lshl_b32 s45, s33, 2
	s_mul_i32 s46, s33, 5
	s_mul_i32 s47, s33, 6
	;; [unrolled: 1-line block ×3, first 2 shown]
	s_lshl_b32 s49, s33, 3
	s_mul_i32 s50, s33, 9
	s_mul_i32 s51, s33, 10
	;; [unrolled: 1-line block ×7, first 2 shown]
                                        ; implicit-def: $vgpr2_vgpr3_vgpr4_vgpr5_vgpr6_vgpr7_vgpr8_vgpr9_vgpr10_vgpr11_vgpr12_vgpr13_vgpr14_vgpr15_vgpr16_vgpr17
	s_branch .LBB37_3
.LBB37_2:                               ;   in Loop: Header=BB37_3 Depth=1
	s_or_b64 exec, exec, s[0:1]
	s_add_i32 s42, s42, -1
	s_cmp_eq_u32 s42, 0
	v_add_u32_e32 v0, s36, v0
	s_cbranch_scc1 .LBB37_67
.LBB37_3:                               ; =>This Inner Loop Header: Depth=1
	v_cmp_gt_i32_e32 vcc, s37, v0
	v_ashrrev_i32_e32 v1, 31, v0
	s_and_saveexec_b64 s[2:3], vcc
	s_cbranch_execz .LBB37_5
; %bb.4:                                ;   in Loop: Header=BB37_3 Depth=1
	v_lshlrev_b64 v[18:19], 2, v[0:1]
	s_waitcnt vmcnt(0)
	v_mov_b32_e32 v2, s39
	v_add_co_u32_e64 v18, s[0:1], s38, v18
	v_addc_co_u32_e64 v19, s[0:1], v2, v19, s[0:1]
	global_load_dword v2, v[18:19], off
.LBB37_5:                               ;   in Loop: Header=BB37_3 Depth=1
	s_or_b64 exec, exec, s[2:3]
	v_add_u32_e32 v18, s33, v0
	v_cmp_gt_i32_e64 s[0:1], s37, v18
	v_ashrrev_i32_e32 v19, 31, v18
	s_and_saveexec_b64 s[4:5], s[0:1]
	s_cbranch_execz .LBB37_7
; %bb.6:                                ;   in Loop: Header=BB37_3 Depth=1
	v_lshlrev_b64 v[20:21], 2, v[18:19]
	s_waitcnt vmcnt(0)
	v_mov_b32_e32 v3, s39
	v_add_co_u32_e64 v20, s[2:3], s38, v20
	v_addc_co_u32_e64 v21, s[2:3], v3, v21, s[2:3]
	global_load_dword v3, v[20:21], off
.LBB37_7:                               ;   in Loop: Header=BB37_3 Depth=1
	s_or_b64 exec, exec, s[4:5]
	v_add_u32_e32 v20, s43, v0
	v_add_u32_e32 v23, s33, v18
	v_cmp_gt_i32_e64 s[2:3], s37, v23
	v_ashrrev_i32_e32 v21, 31, v20
	s_and_saveexec_b64 s[6:7], s[2:3]
	s_cbranch_execz .LBB37_9
; %bb.8:                                ;   in Loop: Header=BB37_3 Depth=1
	v_lshlrev_b64 v[24:25], 2, v[20:21]
	s_waitcnt vmcnt(0)
	v_mov_b32_e32 v4, s39
	v_add_co_u32_e64 v24, s[4:5], s38, v24
	v_addc_co_u32_e64 v25, s[4:5], v4, v25, s[4:5]
	global_load_dword v4, v[24:25], off
.LBB37_9:                               ;   in Loop: Header=BB37_3 Depth=1
	s_or_b64 exec, exec, s[6:7]
	v_add_u32_e32 v22, s44, v0
	v_add_u32_e32 v25, s33, v23
	v_cmp_gt_i32_e64 s[4:5], s37, v25
	v_ashrrev_i32_e32 v23, 31, v22
	s_and_saveexec_b64 s[8:9], s[4:5]
	s_cbranch_execz .LBB37_11
; %bb.10:                               ;   in Loop: Header=BB37_3 Depth=1
	v_lshlrev_b64 v[26:27], 2, v[22:23]
	s_waitcnt vmcnt(0)
	v_mov_b32_e32 v5, s39
	v_add_co_u32_e64 v26, s[6:7], s38, v26
	v_addc_co_u32_e64 v27, s[6:7], v5, v27, s[6:7]
	global_load_dword v5, v[26:27], off
.LBB37_11:                              ;   in Loop: Header=BB37_3 Depth=1
	s_or_b64 exec, exec, s[8:9]
	v_add_u32_e32 v24, s45, v0
	v_add_u32_e32 v27, s33, v25
	v_cmp_gt_i32_e64 s[6:7], s37, v27
	v_ashrrev_i32_e32 v25, 31, v24
	s_and_saveexec_b64 s[10:11], s[6:7]
	s_cbranch_execz .LBB37_13
; %bb.12:                               ;   in Loop: Header=BB37_3 Depth=1
	v_lshlrev_b64 v[28:29], 2, v[24:25]
	s_waitcnt vmcnt(0)
	v_mov_b32_e32 v6, s39
	v_add_co_u32_e64 v28, s[8:9], s38, v28
	v_addc_co_u32_e64 v29, s[8:9], v6, v29, s[8:9]
	global_load_dword v6, v[28:29], off
.LBB37_13:                              ;   in Loop: Header=BB37_3 Depth=1
	;; [unrolled: 15-line block ×12, first 2 shown]
	s_or_b64 exec, exec, s[30:31]
	v_add_u32_e32 v46, s56, v0
	v_add_u32_e32 v47, s33, v47
	v_cmp_gt_i32_e64 s[28:29], s37, v47
	v_ashrrev_i32_e32 v47, 31, v46
	s_and_saveexec_b64 s[34:35], s[28:29]
	s_cbranch_execnz .LBB37_50
; %bb.34:                               ;   in Loop: Header=BB37_3 Depth=1
	s_or_b64 exec, exec, s[34:35]
	s_and_saveexec_b64 s[30:31], vcc
	s_cbranch_execnz .LBB37_51
.LBB37_35:                              ;   in Loop: Header=BB37_3 Depth=1
	s_or_b64 exec, exec, s[30:31]
	s_and_saveexec_b64 s[30:31], s[0:1]
	s_cbranch_execnz .LBB37_52
.LBB37_36:                              ;   in Loop: Header=BB37_3 Depth=1
	s_or_b64 exec, exec, s[30:31]
	s_and_saveexec_b64 s[0:1], s[2:3]
	s_cbranch_execnz .LBB37_53
.LBB37_37:                              ;   in Loop: Header=BB37_3 Depth=1
	s_or_b64 exec, exec, s[0:1]
	s_and_saveexec_b64 s[0:1], s[4:5]
	s_cbranch_execnz .LBB37_54
.LBB37_38:                              ;   in Loop: Header=BB37_3 Depth=1
	s_or_b64 exec, exec, s[0:1]
	s_and_saveexec_b64 s[0:1], s[6:7]
	s_cbranch_execnz .LBB37_55
.LBB37_39:                              ;   in Loop: Header=BB37_3 Depth=1
	s_or_b64 exec, exec, s[0:1]
	s_and_saveexec_b64 s[0:1], s[8:9]
	s_cbranch_execnz .LBB37_56
.LBB37_40:                              ;   in Loop: Header=BB37_3 Depth=1
	s_or_b64 exec, exec, s[0:1]
	s_and_saveexec_b64 s[0:1], s[10:11]
	s_cbranch_execnz .LBB37_57
.LBB37_41:                              ;   in Loop: Header=BB37_3 Depth=1
	s_or_b64 exec, exec, s[0:1]
	s_and_saveexec_b64 s[0:1], s[12:13]
	s_cbranch_execnz .LBB37_58
.LBB37_42:                              ;   in Loop: Header=BB37_3 Depth=1
	s_or_b64 exec, exec, s[0:1]
	s_and_saveexec_b64 s[0:1], s[14:15]
	s_cbranch_execnz .LBB37_59
.LBB37_43:                              ;   in Loop: Header=BB37_3 Depth=1
	s_or_b64 exec, exec, s[0:1]
	s_and_saveexec_b64 s[0:1], s[16:17]
	s_cbranch_execnz .LBB37_60
.LBB37_44:                              ;   in Loop: Header=BB37_3 Depth=1
	s_or_b64 exec, exec, s[0:1]
	s_and_saveexec_b64 s[0:1], s[18:19]
	s_cbranch_execnz .LBB37_61
.LBB37_45:                              ;   in Loop: Header=BB37_3 Depth=1
	s_or_b64 exec, exec, s[0:1]
	s_and_saveexec_b64 s[0:1], s[20:21]
	s_cbranch_execnz .LBB37_62
.LBB37_46:                              ;   in Loop: Header=BB37_3 Depth=1
	s_or_b64 exec, exec, s[0:1]
	s_and_saveexec_b64 s[0:1], s[22:23]
	s_cbranch_execnz .LBB37_63
.LBB37_47:                              ;   in Loop: Header=BB37_3 Depth=1
	s_or_b64 exec, exec, s[0:1]
	s_and_saveexec_b64 s[0:1], s[24:25]
	s_cbranch_execnz .LBB37_64
.LBB37_48:                              ;   in Loop: Header=BB37_3 Depth=1
	s_or_b64 exec, exec, s[0:1]
	s_and_saveexec_b64 s[0:1], s[26:27]
	s_cbranch_execnz .LBB37_65
.LBB37_49:                              ;   in Loop: Header=BB37_3 Depth=1
	s_or_b64 exec, exec, s[0:1]
	s_and_saveexec_b64 s[0:1], s[28:29]
	s_cbranch_execz .LBB37_2
	s_branch .LBB37_66
.LBB37_50:                              ;   in Loop: Header=BB37_3 Depth=1
	v_lshlrev_b64 v[48:49], 2, v[46:47]
	s_waitcnt vmcnt(0)
	v_mov_b32_e32 v17, s39
	v_add_co_u32_e64 v48, s[30:31], s38, v48
	v_addc_co_u32_e64 v49, s[30:31], v17, v49, s[30:31]
	global_load_dword v17, v[48:49], off
	s_or_b64 exec, exec, s[34:35]
	s_and_saveexec_b64 s[30:31], vcc
	s_cbranch_execz .LBB37_35
.LBB37_51:                              ;   in Loop: Header=BB37_3 Depth=1
	v_lshlrev_b64 v[48:49], 2, v[0:1]
	v_mov_b32_e32 v1, s41
	v_add_co_u32_e32 v48, vcc, s40, v48
	v_addc_co_u32_e32 v49, vcc, v1, v49, vcc
	s_waitcnt vmcnt(0)
	global_store_dword v[48:49], v2, off
	s_or_b64 exec, exec, s[30:31]
	s_and_saveexec_b64 s[30:31], s[0:1]
	s_cbranch_execz .LBB37_36
.LBB37_52:                              ;   in Loop: Header=BB37_3 Depth=1
	v_lshlrev_b64 v[18:19], 2, v[18:19]
	v_mov_b32_e32 v1, s41
	v_add_co_u32_e32 v18, vcc, s40, v18
	v_addc_co_u32_e32 v19, vcc, v1, v19, vcc
	s_waitcnt vmcnt(0)
	global_store_dword v[18:19], v3, off
	s_or_b64 exec, exec, s[30:31]
	s_and_saveexec_b64 s[0:1], s[2:3]
	s_cbranch_execz .LBB37_37
.LBB37_53:                              ;   in Loop: Header=BB37_3 Depth=1
	v_lshlrev_b64 v[18:19], 2, v[20:21]
	v_mov_b32_e32 v1, s41
	v_add_co_u32_e32 v18, vcc, s40, v18
	v_addc_co_u32_e32 v19, vcc, v1, v19, vcc
	s_waitcnt vmcnt(0)
	global_store_dword v[18:19], v4, off
	s_or_b64 exec, exec, s[0:1]
	s_and_saveexec_b64 s[0:1], s[4:5]
	s_cbranch_execz .LBB37_38
.LBB37_54:                              ;   in Loop: Header=BB37_3 Depth=1
	v_lshlrev_b64 v[18:19], 2, v[22:23]
	v_mov_b32_e32 v1, s41
	v_add_co_u32_e32 v18, vcc, s40, v18
	v_addc_co_u32_e32 v19, vcc, v1, v19, vcc
	s_waitcnt vmcnt(0)
	global_store_dword v[18:19], v5, off
	s_or_b64 exec, exec, s[0:1]
	s_and_saveexec_b64 s[0:1], s[6:7]
	s_cbranch_execz .LBB37_39
.LBB37_55:                              ;   in Loop: Header=BB37_3 Depth=1
	v_lshlrev_b64 v[18:19], 2, v[24:25]
	v_mov_b32_e32 v1, s41
	v_add_co_u32_e32 v18, vcc, s40, v18
	v_addc_co_u32_e32 v19, vcc, v1, v19, vcc
	s_waitcnt vmcnt(0)
	global_store_dword v[18:19], v6, off
	s_or_b64 exec, exec, s[0:1]
	s_and_saveexec_b64 s[0:1], s[8:9]
	s_cbranch_execz .LBB37_40
.LBB37_56:                              ;   in Loop: Header=BB37_3 Depth=1
	v_lshlrev_b64 v[18:19], 2, v[26:27]
	v_mov_b32_e32 v1, s41
	v_add_co_u32_e32 v18, vcc, s40, v18
	v_addc_co_u32_e32 v19, vcc, v1, v19, vcc
	s_waitcnt vmcnt(0)
	global_store_dword v[18:19], v7, off
	s_or_b64 exec, exec, s[0:1]
	s_and_saveexec_b64 s[0:1], s[10:11]
	s_cbranch_execz .LBB37_41
.LBB37_57:                              ;   in Loop: Header=BB37_3 Depth=1
	v_lshlrev_b64 v[18:19], 2, v[28:29]
	v_mov_b32_e32 v1, s41
	v_add_co_u32_e32 v18, vcc, s40, v18
	v_addc_co_u32_e32 v19, vcc, v1, v19, vcc
	s_waitcnt vmcnt(0)
	global_store_dword v[18:19], v8, off
	s_or_b64 exec, exec, s[0:1]
	s_and_saveexec_b64 s[0:1], s[12:13]
	s_cbranch_execz .LBB37_42
.LBB37_58:                              ;   in Loop: Header=BB37_3 Depth=1
	v_lshlrev_b64 v[18:19], 2, v[30:31]
	v_mov_b32_e32 v1, s41
	v_add_co_u32_e32 v18, vcc, s40, v18
	v_addc_co_u32_e32 v19, vcc, v1, v19, vcc
	s_waitcnt vmcnt(0)
	global_store_dword v[18:19], v9, off
	s_or_b64 exec, exec, s[0:1]
	s_and_saveexec_b64 s[0:1], s[14:15]
	s_cbranch_execz .LBB37_43
.LBB37_59:                              ;   in Loop: Header=BB37_3 Depth=1
	v_lshlrev_b64 v[18:19], 2, v[32:33]
	v_mov_b32_e32 v1, s41
	v_add_co_u32_e32 v18, vcc, s40, v18
	v_addc_co_u32_e32 v19, vcc, v1, v19, vcc
	s_waitcnt vmcnt(0)
	global_store_dword v[18:19], v10, off
	s_or_b64 exec, exec, s[0:1]
	s_and_saveexec_b64 s[0:1], s[16:17]
	s_cbranch_execz .LBB37_44
.LBB37_60:                              ;   in Loop: Header=BB37_3 Depth=1
	v_lshlrev_b64 v[18:19], 2, v[34:35]
	v_mov_b32_e32 v1, s41
	v_add_co_u32_e32 v18, vcc, s40, v18
	v_addc_co_u32_e32 v19, vcc, v1, v19, vcc
	s_waitcnt vmcnt(0)
	global_store_dword v[18:19], v11, off
	s_or_b64 exec, exec, s[0:1]
	s_and_saveexec_b64 s[0:1], s[18:19]
	s_cbranch_execz .LBB37_45
.LBB37_61:                              ;   in Loop: Header=BB37_3 Depth=1
	v_lshlrev_b64 v[18:19], 2, v[36:37]
	v_mov_b32_e32 v1, s41
	v_add_co_u32_e32 v18, vcc, s40, v18
	v_addc_co_u32_e32 v19, vcc, v1, v19, vcc
	s_waitcnt vmcnt(0)
	global_store_dword v[18:19], v12, off
	s_or_b64 exec, exec, s[0:1]
	s_and_saveexec_b64 s[0:1], s[20:21]
	s_cbranch_execz .LBB37_46
.LBB37_62:                              ;   in Loop: Header=BB37_3 Depth=1
	v_lshlrev_b64 v[18:19], 2, v[38:39]
	v_mov_b32_e32 v1, s41
	v_add_co_u32_e32 v18, vcc, s40, v18
	v_addc_co_u32_e32 v19, vcc, v1, v19, vcc
	s_waitcnt vmcnt(0)
	global_store_dword v[18:19], v13, off
	s_or_b64 exec, exec, s[0:1]
	s_and_saveexec_b64 s[0:1], s[22:23]
	s_cbranch_execz .LBB37_47
.LBB37_63:                              ;   in Loop: Header=BB37_3 Depth=1
	v_lshlrev_b64 v[18:19], 2, v[40:41]
	v_mov_b32_e32 v1, s41
	v_add_co_u32_e32 v18, vcc, s40, v18
	v_addc_co_u32_e32 v19, vcc, v1, v19, vcc
	s_waitcnt vmcnt(0)
	global_store_dword v[18:19], v14, off
	s_or_b64 exec, exec, s[0:1]
	s_and_saveexec_b64 s[0:1], s[24:25]
	s_cbranch_execz .LBB37_48
.LBB37_64:                              ;   in Loop: Header=BB37_3 Depth=1
	v_lshlrev_b64 v[18:19], 2, v[42:43]
	v_mov_b32_e32 v1, s41
	v_add_co_u32_e32 v18, vcc, s40, v18
	v_addc_co_u32_e32 v19, vcc, v1, v19, vcc
	s_waitcnt vmcnt(0)
	global_store_dword v[18:19], v15, off
	s_or_b64 exec, exec, s[0:1]
	s_and_saveexec_b64 s[0:1], s[26:27]
	s_cbranch_execz .LBB37_49
.LBB37_65:                              ;   in Loop: Header=BB37_3 Depth=1
	v_lshlrev_b64 v[18:19], 2, v[44:45]
	v_mov_b32_e32 v1, s41
	v_add_co_u32_e32 v18, vcc, s40, v18
	v_addc_co_u32_e32 v19, vcc, v1, v19, vcc
	s_waitcnt vmcnt(0)
	global_store_dword v[18:19], v16, off
	s_or_b64 exec, exec, s[0:1]
	s_and_saveexec_b64 s[0:1], s[28:29]
	s_cbranch_execz .LBB37_2
.LBB37_66:                              ;   in Loop: Header=BB37_3 Depth=1
	v_lshlrev_b64 v[18:19], 2, v[46:47]
	v_mov_b32_e32 v1, s41
	v_add_co_u32_e32 v18, vcc, s40, v18
	v_addc_co_u32_e32 v19, vcc, v1, v19, vcc
	s_waitcnt vmcnt(0)
	global_store_dword v[18:19], v17, off
	s_branch .LBB37_2
.LBB37_67:
	s_endpgm
	.section	.rodata,"a",@progbits
	.p2align	6, 0x0
	.amdhsa_kernel _ZN9rocsolver6v33100L16stedc_reshuffleCIfPfS2_EEviT0_iilT1_iilPi
		.amdhsa_group_segment_fixed_size 0
		.amdhsa_private_segment_fixed_size 0
		.amdhsa_kernarg_size 320
		.amdhsa_user_sgpr_count 6
		.amdhsa_user_sgpr_private_segment_buffer 1
		.amdhsa_user_sgpr_dispatch_ptr 0
		.amdhsa_user_sgpr_queue_ptr 0
		.amdhsa_user_sgpr_kernarg_segment_ptr 1
		.amdhsa_user_sgpr_dispatch_id 0
		.amdhsa_user_sgpr_flat_scratch_init 0
		.amdhsa_user_sgpr_kernarg_preload_length 0
		.amdhsa_user_sgpr_kernarg_preload_offset 0
		.amdhsa_user_sgpr_private_segment_size 0
		.amdhsa_uses_dynamic_stack 0
		.amdhsa_system_sgpr_private_segment_wavefront_offset 0
		.amdhsa_system_sgpr_workgroup_id_x 1
		.amdhsa_system_sgpr_workgroup_id_y 1
		.amdhsa_system_sgpr_workgroup_id_z 0
		.amdhsa_system_sgpr_workgroup_info 0
		.amdhsa_system_vgpr_workitem_id 0
		.amdhsa_next_free_vgpr 50
		.amdhsa_next_free_sgpr 57
		.amdhsa_accum_offset 52
		.amdhsa_reserve_vcc 1
		.amdhsa_reserve_flat_scratch 0
		.amdhsa_float_round_mode_32 0
		.amdhsa_float_round_mode_16_64 0
		.amdhsa_float_denorm_mode_32 3
		.amdhsa_float_denorm_mode_16_64 3
		.amdhsa_dx10_clamp 1
		.amdhsa_ieee_mode 1
		.amdhsa_fp16_overflow 0
		.amdhsa_tg_split 0
		.amdhsa_exception_fp_ieee_invalid_op 0
		.amdhsa_exception_fp_denorm_src 0
		.amdhsa_exception_fp_ieee_div_zero 0
		.amdhsa_exception_fp_ieee_overflow 0
		.amdhsa_exception_fp_ieee_underflow 0
		.amdhsa_exception_fp_ieee_inexact 0
		.amdhsa_exception_int_div_zero 0
	.end_amdhsa_kernel
	.section	.text._ZN9rocsolver6v33100L16stedc_reshuffleCIfPfS2_EEviT0_iilT1_iilPi,"axG",@progbits,_ZN9rocsolver6v33100L16stedc_reshuffleCIfPfS2_EEviT0_iilT1_iilPi,comdat
.Lfunc_end37:
	.size	_ZN9rocsolver6v33100L16stedc_reshuffleCIfPfS2_EEviT0_iilT1_iilPi, .Lfunc_end37-_ZN9rocsolver6v33100L16stedc_reshuffleCIfPfS2_EEviT0_iilT1_iilPi
                                        ; -- End function
	.section	.AMDGPU.csdata,"",@progbits
; Kernel info:
; codeLenInByte = 2528
; NumSgprs: 61
; NumVgprs: 50
; NumAgprs: 0
; TotalNumVgprs: 50
; ScratchSize: 0
; MemoryBound: 0
; FloatMode: 240
; IeeeMode: 1
; LDSByteSize: 0 bytes/workgroup (compile time only)
; SGPRBlocks: 7
; VGPRBlocks: 6
; NumSGPRsForWavesPerEU: 61
; NumVGPRsForWavesPerEU: 50
; AccumOffset: 52
; Occupancy: 8
; WaveLimiterHint : 1
; COMPUTE_PGM_RSRC2:SCRATCH_EN: 0
; COMPUTE_PGM_RSRC2:USER_SGPR: 6
; COMPUTE_PGM_RSRC2:TRAP_HANDLER: 0
; COMPUTE_PGM_RSRC2:TGID_X_EN: 1
; COMPUTE_PGM_RSRC2:TGID_Y_EN: 1
; COMPUTE_PGM_RSRC2:TGID_Z_EN: 0
; COMPUTE_PGM_RSRC2:TIDIG_COMP_CNT: 0
; COMPUTE_PGM_RSRC3_GFX90A:ACCUM_OFFSET: 12
; COMPUTE_PGM_RSRC3_GFX90A:TG_SPLIT: 0
	.section	.text._ZN9rocsolver6v33100L30stedc_mergeValues_Solve_kernelIfEEviiPT_lS3_lS3_S3_PiS2_S2_S2_,"axG",@progbits,_ZN9rocsolver6v33100L30stedc_mergeValues_Solve_kernelIfEEviiPT_lS3_lS3_S3_PiS2_S2_S2_,comdat
	.globl	_ZN9rocsolver6v33100L30stedc_mergeValues_Solve_kernelIfEEviiPT_lS3_lS3_S3_PiS2_S2_S2_ ; -- Begin function _ZN9rocsolver6v33100L30stedc_mergeValues_Solve_kernelIfEEviiPT_lS3_lS3_S3_PiS2_S2_S2_
	.p2align	8
	.type	_ZN9rocsolver6v33100L30stedc_mergeValues_Solve_kernelIfEEviiPT_lS3_lS3_S3_PiS2_S2_S2_,@function
_ZN9rocsolver6v33100L30stedc_mergeValues_Solve_kernelIfEEviiPT_lS3_lS3_S3_PiS2_S2_S2_: ; @_ZN9rocsolver6v33100L30stedc_mergeValues_Solve_kernelIfEEviiPT_lS3_lS3_S3_PiS2_S2_S2_
; %bb.0:
	s_load_dword s1, s[4:5], 0x5c
	s_load_dword s0, s[4:5], 0x4
	s_waitcnt lgkmcnt(0)
	s_and_b32 s1, s1, 0xffff
	s_mul_i32 s6, s6, s1
	v_add_u32_e32 v16, s6, v0
	v_cmp_gt_i32_e32 vcc, s0, v16
	s_and_saveexec_b64 s[2:3], vcc
	s_cbranch_execz .LBB38_205
; %bb.1:
	s_load_dwordx2 s[8:9], s[4:5], 0x38
	s_mul_i32 s2, s7, s0
	s_mul_i32 s6, s2, 13
	s_ashr_i32 s7, s6, 31
	s_ashr_i32 s1, s0, 31
	s_lshl_b64 s[6:7], s[6:7], 2
	s_waitcnt lgkmcnt(0)
	s_add_u32 s3, s8, s6
	s_mul_i32 s6, s0, 6
	s_addc_u32 s8, s9, s7
	s_ashr_i32 s7, s6, 31
	s_lshl_b64 s[6:7], s[6:7], 2
	s_add_u32 s3, s3, s6
	v_ashrrev_i32_e32 v17, 31, v16
	s_addc_u32 s8, s8, s7
	s_lshl_b64 s[6:7], s[0:1], 2
	v_lshlrev_b64 v[0:1], 2, v[16:17]
	s_add_u32 s6, s3, s6
	v_mov_b32_e32 v3, s8
	v_add_co_u32_e32 v2, vcc, s3, v0
	s_addc_u32 s7, s8, s7
	v_addc_co_u32_e32 v3, vcc, v3, v1, vcc
	v_mov_b32_e32 v5, s7
	v_add_co_u32_e32 v4, vcc, s6, v0
	v_addc_co_u32_e32 v5, vcc, v5, v1, vcc
	global_load_dword v18, v[2:3], off
	global_load_dword v24, v[4:5], off
	s_waitcnt vmcnt(1)
	v_sub_u32_e32 v22, v16, v18
	s_waitcnt vmcnt(0)
	v_cmp_lt_i32_e32 vcc, v22, v24
	s_and_b64 exec, exec, vcc
	s_cbranch_execz .LBB38_205
; %bb.2:
	s_load_dwordx4 s[12:15], s[4:5], 0x28
	s_load_dword s39, s[4:5], 0x40
	s_mul_i32 s6, s2, 10
	s_ashr_i32 s7, s6, 31
	s_lshl_b64 s[22:23], s[6:7], 2
	s_waitcnt lgkmcnt(0)
	s_add_u32 s3, s12, s22
	s_addc_u32 s6, s13, s23
	s_lshl_b32 s4, s0, 3
	s_ashr_i32 s5, s4, 31
	s_lshl_b64 s[24:25], s[4:5], 2
	s_add_u32 s7, s3, s24
	s_addc_u32 s6, s6, s25
	s_mul_i32 s4, s0, 0xffffffe4
	s_mul_hi_i32 s3, s0, 0xffffffe4
	s_add_u32 s33, s7, s4
	s_addc_u32 s38, s6, s3
	s_lshl_b64 s[4:5], s[0:1], 5
	s_add_u32 s1, s33, s4
	s_mul_i32 s2, s2, s0
	s_addc_u32 s3, s38, s5
	s_lshl_b32 s2, s2, 1
	v_mov_b32_e32 v3, s3
	s_ashr_i32 s3, s2, 31
	v_add_co_u32_e32 v2, vcc, s1, v0
	s_lshl_b64 s[18:19], s[2:3], 2
	v_addc_co_u32_e32 v3, vcc, v3, v1, vcc
	s_add_u32 s1, s14, s18
	s_mul_i32 s2, s0, s0
	s_mov_b32 s3, 0
	global_load_dword v36, v[2:3], off
	s_addc_u32 s4, s15, s19
	s_lshl_b64 s[16:17], s[2:3], 2
	v_mul_lo_u32 v2, v16, s0
	s_add_u32 s1, s1, s16
	v_ashrrev_i32_e32 v3, 31, v2
	s_addc_u32 s2, s4, s17
	v_lshlrev_b64 v[20:21], 2, v[2:3]
	v_mov_b32_e32 v3, s2
	v_add_co_u32_e32 v2, vcc, s1, v20
	v_ashrrev_i32_e32 v23, 31, v22
	v_addc_co_u32_e32 v3, vcc, v3, v21, vcc
	v_lshlrev_b64 v[14:15], 2, v[22:23]
	v_add_co_u32_e32 v4, vcc, v2, v14
	v_addc_co_u32_e32 v5, vcc, v3, v15, vcc
	global_load_dword v10, v[4:5], off
	v_ashrrev_i32_e32 v19, 31, v18
	v_lshlrev_b64 v[26:27], 2, v[18:19]
	v_add_u32_e32 v8, -1, v24
	v_mov_b32_e32 v7, s6
	v_add_co_u32_e64 v6, s[0:1], s7, v26
	v_cmp_ne_u32_e32 vcc, v22, v8
	v_addc_co_u32_e64 v7, s[0:1], v7, v27, s[0:1]
                                        ; implicit-def: $vgpr35
	s_and_saveexec_b64 s[0:1], vcc
	s_xor_b64 s[20:21], exec, s[0:1]
	s_cbranch_execz .LBB38_128
; %bb.3:
	global_load_dword v32, v[4:5], off offset:4
	v_cmp_lt_i32_e32 vcc, 0, v22
	v_mov_b32_e32 v11, 0
	s_waitcnt vmcnt(0)
	v_add_f32_e32 v9, v10, v32
	v_mul_f32_e32 v23, 0.5, v9
	s_and_saveexec_b64 s[0:1], vcc
	s_cbranch_execz .LBB38_7
; %bb.4:
	s_mov_b64 s[2:3], 0
	v_mov_b32_e32 v11, 0
	v_pk_mov_b32 v[12:13], v[6:7], v[6:7] op_sel:[0,1]
	v_pk_mov_b32 v[16:17], v[2:3], v[2:3] op_sel:[0,1]
	v_mov_b32_e32 v9, v22
.LBB38_5:                               ; =>This Inner Loop Header: Depth=1
	global_load_dword v18, v[16:17], off
	global_load_dword v19, v[12:13], off
	v_add_co_u32_e32 v16, vcc, 4, v16
	v_addc_co_u32_e32 v17, vcc, 0, v17, vcc
	v_add_co_u32_e32 v12, vcc, 4, v12
	v_add_u32_e32 v9, -1, v9
	v_addc_co_u32_e32 v13, vcc, 0, v13, vcc
	v_cmp_eq_u32_e32 vcc, 0, v9
	s_or_b64 s[2:3], vcc, s[2:3]
	s_waitcnt vmcnt(1)
	v_sub_f32_e32 v18, v18, v23
	s_waitcnt vmcnt(0)
	v_div_scale_f32 v25, s[4:5], v18, v18, v19
	v_rcp_f32_e32 v28, v25
	v_div_scale_f32 v29, vcc, v19, v18, v19
	v_fma_f32 v30, -v25, v28, 1.0
	v_fmac_f32_e32 v28, v30, v28
	v_mul_f32_e32 v30, v29, v28
	v_fma_f32 v31, -v25, v30, v29
	v_fmac_f32_e32 v30, v31, v28
	v_fma_f32 v25, -v25, v30, v29
	v_div_fmas_f32 v25, v25, v28, v30
	v_div_fixup_f32 v18, v25, v18, v19
	v_fmac_f32_e32 v11, v19, v18
	s_andn2_b64 exec, exec, s[2:3]
	s_cbranch_execnz .LBB38_5
; %bb.6:
	s_or_b64 exec, exec, s[2:3]
.LBB38_7:
	s_or_b64 exec, exec, s[0:1]
	v_add_u32_e32 v12, 1, v22
	v_cmp_gt_i32_e32 vcc, v8, v12
	v_mov_b32_e32 v13, 0
	v_ashrrev_i32_e32 v9, 31, v8
	s_and_saveexec_b64 s[0:1], vcc
	s_cbranch_execz .LBB38_11
; %bb.8:
	v_mov_b32_e32 v13, s19
	v_add_co_u32_e32 v16, vcc, s18, v20
	v_addc_co_u32_e32 v13, vcc, v13, v21, vcc
	v_lshlrev_b64 v[18:19], 2, v[8:9]
	v_add_co_u32_e32 v16, vcc, v16, v18
	s_add_u32 s2, s14, s16
	v_addc_co_u32_e32 v13, vcc, v13, v19, vcc
	s_addc_u32 s3, s15, s17
	v_mov_b32_e32 v17, s3
	v_add_co_u32_e32 v16, vcc, s2, v16
	s_add_u32 s2, s24, s22
	v_addc_co_u32_e32 v17, vcc, v17, v13, vcc
	s_addc_u32 s3, s25, s23
	v_mov_b32_e32 v13, s3
	v_add_co_u32_e32 v25, vcc, s2, v26
	v_addc_co_u32_e32 v13, vcc, v13, v27, vcc
	v_add_co_u32_e32 v18, vcc, v25, v18
	v_addc_co_u32_e32 v13, vcc, v13, v19, vcc
	v_mov_b32_e32 v19, s13
	v_add_co_u32_e32 v18, vcc, s12, v18
	v_addc_co_u32_e32 v19, vcc, v19, v13, vcc
	s_mov_b64 s[2:3], 0
	v_mov_b32_e32 v13, 0
	v_mov_b32_e32 v25, v8
.LBB38_9:                               ; =>This Inner Loop Header: Depth=1
	global_load_dword v28, v[16:17], off
	global_load_dword v29, v[18:19], off
	v_add_co_u32_e32 v16, vcc, -4, v16
	v_addc_co_u32_e32 v17, vcc, -1, v17, vcc
	v_add_co_u32_e32 v18, vcc, -4, v18
	v_add_u32_e32 v25, -1, v25
	v_addc_co_u32_e32 v19, vcc, -1, v19, vcc
	v_cmp_le_i32_e32 vcc, v25, v12
	s_or_b64 s[2:3], vcc, s[2:3]
	s_waitcnt vmcnt(1)
	v_sub_f32_e32 v28, v28, v23
	s_waitcnt vmcnt(0)
	v_div_scale_f32 v30, s[4:5], v28, v28, v29
	v_rcp_f32_e32 v31, v30
	v_div_scale_f32 v33, vcc, v29, v28, v29
	v_fma_f32 v34, -v30, v31, 1.0
	v_fmac_f32_e32 v31, v34, v31
	v_mul_f32_e32 v34, v33, v31
	v_fma_f32 v35, -v30, v34, v33
	v_fmac_f32_e32 v34, v35, v31
	v_fma_f32 v30, -v30, v34, v33
	v_div_fmas_f32 v30, v30, v31, v34
	v_div_fixup_f32 v28, v30, v28, v29
	v_fmac_f32_e32 v13, v29, v28
	s_andn2_b64 exec, exec, s[2:3]
	s_cbranch_execnz .LBB38_9
; %bb.10:
	s_or_b64 exec, exec, s[2:3]
.LBB38_11:
	s_or_b64 exec, exec, s[0:1]
	v_add_co_u32_e32 v14, vcc, v6, v14
	v_addc_co_u32_e32 v15, vcc, v7, v15, vcc
	global_load_dwordx2 v[18:19], v[14:15], off
	v_and_b32_e32 v17, 0x7fffffff, v36
	v_div_scale_f32 v23, s[0:1], v17, v17, 1.0
	v_rcp_f32_e32 v25, v23
	v_div_scale_f32 v17, vcc, 1.0, v17, 1.0
	v_sub_f32_e32 v16, v32, v10
	v_fma_f32 v28, -v23, v25, 1.0
	v_fmac_f32_e32 v25, v28, v25
	v_mul_f32_e32 v28, v17, v25
	v_fma_f32 v29, -v23, v28, v17
	v_fmac_f32_e32 v28, v29, v25
	v_fma_f32 v17, -v23, v28, v17
	v_div_fmas_f32 v17, v17, v25, v28
	v_div_fixup_f32 v17, v17, |v36|, 1.0
	v_add_f32_e32 v11, v17, v11
                                        ; implicit-def: $vgpr35
                                        ; implicit-def: $sgpr4
                                        ; implicit-def: $vgpr33
	s_waitcnt vmcnt(0)
	v_pk_mul_f32 v[28:29], v[18:19], v[18:19]
	v_sub_f32_e32 v18, v29, v28
	v_add_f32_e32 v18, v18, v18
	v_div_scale_f32 v23, s[0:1], v16, v16, v18
	v_rcp_f32_e32 v25, v23
	v_add_f32_e32 v19, v11, v13
	v_div_scale_f32 v11, vcc, v18, v16, v18
	v_fma_f32 v13, -v23, v25, 1.0
	v_fmac_f32_e32 v25, v13, v25
	v_mul_f32_e32 v13, v11, v25
	v_fma_f32 v30, -v23, v13, v11
	v_fmac_f32_e32 v13, v30, v25
	v_fma_f32 v11, -v23, v13, v11
	v_div_fmas_f32 v11, v11, v25, v13
	v_div_fixup_f32 v11, v11, v16, v18
	v_add_f32_e32 v11, v19, v11
	v_cmp_lt_f32_e64 s[0:1], 0, v11
	v_cmp_nlt_f32_e64 s[2:3], 0, v11
	v_mul_f32_e32 v13, v16, v19
                                        ; implicit-def: $vgpr11
	s_and_saveexec_b64 s[6:7], s[2:3]
	s_xor_b64 s[6:7], exec, s[6:7]
	s_cbranch_execz .LBB38_17
; %bb.12:
	v_sub_f32_e32 v11, v13, v28
	v_mul_f32_e32 v18, v16, v29
	v_sub_f32_e32 v13, v11, v29
	v_mul_f32_e32 v11, 4.0, v18
	v_mul_f32_e32 v11, v19, v11
	v_fmac_f32_e32 v11, v13, v13
	s_mov_b32 s4, 0xf800000
	s_mov_b32 s5, 0x4f800000
	v_mul_f32_e64 v22, |v11|, s5
	v_cmp_lt_f32_e64 vcc, |v11|, s4
	v_cndmask_b32_e64 v11, |v11|, v22, vcc
	v_sqrt_f32_e32 v22, v11
	v_add_u32_e32 v23, -1, v22
	v_fma_f32 v25, -v23, v22, v11
	v_cmp_ge_f32_e64 s[4:5], 0, v25
	v_add_u32_e32 v25, 1, v22
	v_cndmask_b32_e64 v23, v22, v23, s[4:5]
	v_fma_f32 v22, -v25, v22, v11
	v_cmp_lt_f32_e64 s[4:5], 0, v22
	v_cndmask_b32_e64 v22, v23, v25, s[4:5]
	v_mul_f32_e32 v23, 0x37800000, v22
	v_cndmask_b32_e32 v22, v22, v23, vcc
	v_mov_b32_e32 v23, 0x260
	v_cmp_class_f32_e32 vcc, v11, v23
	v_cndmask_b32_e32 v22, v22, v11, vcc
	v_cmp_ngt_f32_e32 vcc, 0, v13
                                        ; implicit-def: $vgpr11
	s_and_saveexec_b64 s[4:5], vcc
	s_xor_b64 s[4:5], exec, s[4:5]
	s_cbranch_execz .LBB38_14
; %bb.13:
	v_add_f32_e32 v11, v13, v22
	v_add_f32_e32 v13, v19, v19
	v_div_scale_f32 v18, s[8:9], v13, v13, -v11
	v_rcp_f32_e32 v19, v18
	v_fma_f32 v22, -v18, v19, 1.0
	v_fmac_f32_e32 v19, v22, v19
	v_div_scale_f32 v22, vcc, -v11, v13, -v11
	v_mul_f32_e32 v23, v22, v19
	v_fma_f32 v25, -v18, v23, v22
	v_fmac_f32_e32 v23, v25, v19
	v_fma_f32 v18, -v18, v23, v22
	v_div_fmas_f32 v18, v18, v19, v23
	v_div_fixup_f32 v11, v18, v13, -v11
                                        ; implicit-def: $vgpr18
                                        ; implicit-def: $vgpr13
                                        ; implicit-def: $vgpr22
.LBB38_14:
	s_andn2_saveexec_b64 s[4:5], s[4:5]
	s_cbranch_execz .LBB38_16
; %bb.15:
	v_add_f32_e32 v11, v18, v18
	v_sub_f32_e32 v13, v13, v22
	v_div_scale_f32 v18, s[8:9], v13, v13, v11
	v_rcp_f32_e32 v19, v18
	v_fma_f32 v22, -v18, v19, 1.0
	v_fmac_f32_e32 v19, v22, v19
	v_div_scale_f32 v22, vcc, v11, v13, v11
	v_mul_f32_e32 v23, v22, v19
	v_fma_f32 v25, -v18, v23, v22
	v_fmac_f32_e32 v23, v25, v19
	v_fma_f32 v18, -v18, v23, v22
	v_div_fmas_f32 v18, v18, v19, v23
	v_div_fixup_f32 v11, v18, v13, v11
.LBB38_16:
	s_or_b64 exec, exec, s[4:5]
	v_mul_f32_e32 v33, -0.5, v16
	v_add_f32_e32 v35, v32, v11
	s_mov_b32 s4, 0
                                        ; implicit-def: $vgpr13
                                        ; implicit-def: $vgpr28_vgpr29
                                        ; implicit-def: $vgpr19
                                        ; implicit-def: $vgpr22
.LBB38_17:
	s_or_saveexec_b64 s[6:7], s[6:7]
	v_mov_b32_e32 v34, s4
	v_mov_b32_e32 v18, v32
	s_xor_b64 exec, exec, s[6:7]
	s_cbranch_execz .LBB38_23
; %bb.18:
	v_add_f32_e32 v11, v13, v28
	v_pk_mul_f32 v[12:13], v[16:17], v[28:29]
	v_add_f32_e32 v13, v11, v29
	v_mul_f32_e32 v11, v13, v13
	v_mul_f32_e32 v18, -4.0, v12
	v_fmac_f32_e32 v11, v19, v18
	s_mov_b32 s4, 0xf800000
	s_mov_b32 s5, 0x4f800000
	v_mul_f32_e64 v18, |v11|, s5
	v_cmp_lt_f32_e64 vcc, |v11|, s4
	v_cndmask_b32_e64 v11, |v11|, v18, vcc
	v_sqrt_f32_e32 v18, v11
	v_add_u32_e32 v23, -1, v18
	v_fma_f32 v25, -v23, v18, v11
	v_cmp_ge_f32_e64 s[4:5], 0, v25
	v_add_u32_e32 v25, 1, v18
	v_cndmask_b32_e64 v23, v18, v23, s[4:5]
	v_fma_f32 v18, -v25, v18, v11
	v_cmp_lt_f32_e64 s[4:5], 0, v18
	v_cndmask_b32_e64 v18, v23, v25, s[4:5]
	v_mul_f32_e32 v23, 0x37800000, v18
	v_cndmask_b32_e32 v18, v18, v23, vcc
	v_mov_b32_e32 v23, 0x260
	v_cmp_class_f32_e32 vcc, v11, v23
	v_cndmask_b32_e32 v18, v18, v11, vcc
	v_cmp_nlt_f32_e32 vcc, 0, v13
                                        ; implicit-def: $vgpr11
	s_and_saveexec_b64 s[4:5], vcc
	s_xor_b64 s[4:5], exec, s[4:5]
	s_cbranch_execz .LBB38_20
; %bb.19:
	v_sub_f32_e32 v11, v13, v18
	v_add_f32_e32 v12, v19, v19
	v_div_scale_f32 v13, s[8:9], v12, v12, v11
	v_rcp_f32_e32 v18, v13
	v_fma_f32 v19, -v13, v18, 1.0
	v_fmac_f32_e32 v18, v19, v18
	v_div_scale_f32 v19, vcc, v11, v12, v11
	v_mul_f32_e32 v23, v19, v18
	v_fma_f32 v25, -v13, v23, v19
	v_fmac_f32_e32 v23, v25, v18
	v_fma_f32 v13, -v13, v23, v19
	v_div_fmas_f32 v13, v13, v18, v23
	v_div_fixup_f32 v11, v13, v12, v11
                                        ; implicit-def: $vgpr12_vgpr13
                                        ; implicit-def: $vgpr13
                                        ; implicit-def: $vgpr18
.LBB38_20:
	s_andn2_saveexec_b64 s[4:5], s[4:5]
	s_cbranch_execz .LBB38_22
; %bb.21:
	v_add_f32_e32 v11, v12, v12
	v_add_f32_e32 v12, v13, v18
	v_div_scale_f32 v13, s[8:9], v12, v12, v11
	v_rcp_f32_e32 v18, v13
	v_fma_f32 v19, -v13, v18, 1.0
	v_fmac_f32_e32 v18, v19, v18
	v_div_scale_f32 v19, vcc, v11, v12, v11
	v_mul_f32_e32 v23, v19, v18
	v_fma_f32 v25, -v13, v23, v19
	v_fmac_f32_e32 v23, v25, v18
	v_fma_f32 v13, -v13, v23, v19
	v_div_fmas_f32 v13, v13, v18, v23
	v_div_fixup_f32 v11, v13, v12, v11
.LBB38_22:
	s_or_b64 exec, exec, s[4:5]
	v_mul_f32_e32 v34, 0.5, v16
	v_add_f32_e32 v35, v10, v11
	v_mov_b32_e32 v33, 0
	v_mov_b32_e32 v12, v22
	;; [unrolled: 1-line block ×3, first 2 shown]
.LBB38_23:
	s_or_b64 exec, exec, s[6:7]
	v_cmp_lt_i32_e32 vcc, -1, v12
	s_and_saveexec_b64 s[4:5], vcc
	s_cbranch_execz .LBB38_31
; %bb.24:
	v_add_u32_e32 v13, 1, v12
	v_cmp_ne_u32_e32 vcc, 0, v12
	s_mov_b64 s[8:9], -1
	v_mov_b32_e32 v22, 0
	s_and_saveexec_b64 s[6:7], vcc
	s_cbranch_execz .LBB38_28
; %bb.25:
	v_and_b32_e32 v22, -2, v13
	v_mov_b32_e32 v19, v18
	s_mov_b64 s[8:9], 0
	v_mov_b32_e32 v23, v22
	v_pk_mov_b32 v[28:29], v[2:3], v[2:3] op_sel:[0,1]
.LBB38_26:                              ; =>This Inner Loop Header: Depth=1
	global_load_dwordx2 v[30:31], v[28:29], off
	v_add_u32_e32 v23, -2, v23
	v_cmp_eq_u32_e32 vcc, 0, v23
	s_or_b64 s[8:9], vcc, s[8:9]
	s_waitcnt vmcnt(0)
	v_pk_add_f32 v[30:31], v[30:31], v[18:19] neg_lo:[0,1] neg_hi:[0,1]
	global_store_dwordx2 v[28:29], v[30:31], off
	v_add_co_u32_e32 v28, vcc, 8, v28
	v_addc_co_u32_e32 v29, vcc, 0, v29, vcc
	s_andn2_b64 exec, exec, s[8:9]
	s_cbranch_execnz .LBB38_26
; %bb.27:
	s_or_b64 exec, exec, s[8:9]
	v_cmp_ne_u32_e32 vcc, v13, v22
	s_orn2_b64 s[8:9], vcc, exec
.LBB38_28:
	s_or_b64 exec, exec, s[6:7]
	s_and_b64 exec, exec, s[8:9]
	s_cbranch_execz .LBB38_31
; %bb.29:
	v_mov_b32_e32 v19, s19
	v_add_co_u32_e32 v25, vcc, s18, v20
	v_mov_b32_e32 v23, 0
	v_sub_u32_e32 v13, v13, v22
	v_addc_co_u32_e32 v19, vcc, v19, v21, vcc
	v_lshlrev_b64 v[22:23], 2, v[22:23]
	v_add_co_u32_e32 v22, vcc, v25, v22
	s_add_u32 s6, s14, s16
	v_addc_co_u32_e32 v19, vcc, v19, v23, vcc
	s_addc_u32 s7, s15, s17
	v_mov_b32_e32 v23, s7
	v_add_co_u32_e32 v22, vcc, s6, v22
	v_addc_co_u32_e32 v23, vcc, v23, v19, vcc
	s_mov_b64 s[6:7], 0
.LBB38_30:                              ; =>This Inner Loop Header: Depth=1
	global_load_dword v19, v[22:23], off
	v_add_u32_e32 v13, -1, v13
	v_cmp_eq_u32_e32 vcc, 0, v13
	s_or_b64 s[6:7], vcc, s[6:7]
	s_waitcnt vmcnt(0)
	v_sub_f32_e32 v19, v19, v18
	global_store_dword v[22:23], v19, off
	v_add_co_u32_e32 v22, vcc, 4, v22
	v_addc_co_u32_e32 v23, vcc, 0, v23, vcc
	s_andn2_b64 exec, exec, s[6:7]
	s_cbranch_execnz .LBB38_30
.LBB38_31:
	s_or_b64 exec, exec, s[4:5]
	v_cmp_le_i32_e64 s[8:9], v8, v12
	v_cmp_gt_i32_e64 s[4:5], v8, v12
	s_and_saveexec_b64 s[6:7], s[4:5]
	s_cbranch_execz .LBB38_39
; %bb.32:
	v_xad_u32 v13, v12, -1, v24
	v_cmp_lt_u32_e32 vcc, 1, v13
	s_mov_b64 s[26:27], -1
	v_mov_b32_e32 v22, v8
	s_and_saveexec_b64 s[10:11], vcc
	s_cbranch_execz .LBB38_36
; %bb.33:
	v_and_b32_e32 v24, -2, v13
	v_add_co_u32_e32 v25, vcc, -4, v2
	v_mov_b32_e32 v19, v18
	v_addc_co_u32_e32 v28, vcc, -1, v3, vcc
	s_mov_b64 s[26:27], 0
	v_mov_b32_e32 v22, v8
	v_mov_b32_e32 v29, v24
.LBB38_34:                              ; =>This Inner Loop Header: Depth=1
	v_ashrrev_i32_e32 v23, 31, v22
	v_lshlrev_b64 v[30:31], 2, v[22:23]
	v_add_co_u32_e32 v30, vcc, v25, v30
	v_addc_co_u32_e32 v31, vcc, v28, v31, vcc
	global_load_dwordx2 v[38:39], v[30:31], off
	v_add_u32_e32 v29, -2, v29
	v_cmp_eq_u32_e32 vcc, 0, v29
	s_or_b64 s[26:27], vcc, s[26:27]
	v_add_u32_e32 v22, -2, v22
	s_waitcnt vmcnt(0)
	v_pk_add_f32 v[38:39], v[38:39], v[18:19] neg_lo:[0,1] neg_hi:[0,1]
	global_store_dwordx2 v[30:31], v[38:39], off
	s_andn2_b64 exec, exec, s[26:27]
	s_cbranch_execnz .LBB38_34
; %bb.35:
	s_or_b64 exec, exec, s[26:27]
	v_cmp_ne_u32_e32 vcc, v13, v24
	v_sub_u32_e32 v22, v8, v24
	s_orn2_b64 s[26:27], vcc, exec
.LBB38_36:
	s_or_b64 exec, exec, s[10:11]
	s_and_b64 exec, exec, s[26:27]
	s_cbranch_execz .LBB38_39
; %bb.37:
	v_ashrrev_i32_e32 v23, 31, v22
	v_lshlrev_b64 v[24:25], 2, v[22:23]
	v_mov_b32_e32 v13, s19
	v_add_co_u32_e32 v19, vcc, s18, v24
	v_addc_co_u32_e32 v13, vcc, v25, v13, vcc
	v_add_co_u32_e32 v19, vcc, v19, v20
	s_add_u32 s10, s14, s16
	v_addc_co_u32_e32 v13, vcc, v13, v21, vcc
	s_addc_u32 s11, s15, s17
	v_mov_b32_e32 v23, s11
	v_add_co_u32_e32 v24, vcc, s10, v19
	v_addc_co_u32_e32 v25, vcc, v23, v13, vcc
	s_mov_b64 s[10:11], 0
.LBB38_38:                              ; =>This Inner Loop Header: Depth=1
	global_load_dword v13, v[24:25], off
	v_add_u32_e32 v22, -1, v22
	v_cmp_le_i32_e32 vcc, v22, v12
	s_or_b64 s[10:11], vcc, s[10:11]
	s_waitcnt vmcnt(0)
	v_sub_f32_e32 v13, v13, v18
	global_store_dword v[24:25], v13, off
	v_add_co_u32_e32 v24, vcc, -4, v24
	v_addc_co_u32_e32 v25, vcc, -1, v25, vcc
	s_andn2_b64 exec, exec, s[10:11]
	s_cbranch_execnz .LBB38_38
.LBB38_39:
	s_or_b64 exec, exec, s[6:7]
	v_ashrrev_i32_e32 v13, 31, v12
	v_lshlrev_b64 v[24:25], 2, v[12:13]
	v_add_co_u32_e32 v22, vcc, v2, v24
	v_addc_co_u32_e32 v23, vcc, v3, v25, vcc
	global_load_dword v13, v[22:23], off
	v_cmp_lt_i32_e64 s[6:7], 0, v12
	v_mov_b32_e32 v19, 0
	v_mov_b32_e32 v37, 0
	s_waitcnt vmcnt(0)
	v_sub_f32_e32 v13, v13, v11
	global_store_dword v[22:23], v13, off
	v_mov_b32_e32 v13, 0
	s_and_saveexec_b64 s[10:11], s[6:7]
	s_cbranch_execz .LBB38_43
; %bb.40:
	s_mov_b64 s[26:27], 0
	v_mov_b32_e32 v19, 0
	v_pk_mov_b32 v[28:29], v[6:7], v[6:7] op_sel:[0,1]
	v_pk_mov_b32 v[30:31], v[2:3], v[2:3] op_sel:[0,1]
	v_mov_b32_e32 v38, v12
	v_mov_b32_e32 v37, 0
	;; [unrolled: 1-line block ×3, first 2 shown]
.LBB38_41:                              ; =>This Inner Loop Header: Depth=1
	global_load_dword v39, v[30:31], off
	v_add_u32_e32 v38, -1, v38
	v_cmp_eq_u32_e32 vcc, 0, v38
	s_or_b64 s[26:27], vcc, s[26:27]
	s_waitcnt vmcnt(0)
	v_sub_f32_e32 v39, v39, v11
	global_store_dword v[30:31], v39, off
	global_load_dword v40, v[28:29], off
	v_add_co_u32_e32 v30, vcc, 4, v30
	v_addc_co_u32_e32 v31, vcc, 0, v31, vcc
	v_add_co_u32_e32 v28, vcc, 4, v28
	v_addc_co_u32_e32 v29, vcc, 0, v29, vcc
	s_waitcnt vmcnt(0)
	v_div_scale_f32 v41, s[28:29], v39, v39, v40
	v_rcp_f32_e32 v42, v41
	v_div_scale_f32 v43, vcc, v40, v39, v40
	v_fma_f32 v44, -v41, v42, 1.0
	v_fmac_f32_e32 v42, v44, v42
	v_mul_f32_e32 v44, v43, v42
	v_fma_f32 v45, -v41, v44, v43
	v_fmac_f32_e32 v44, v45, v42
	v_fma_f32 v41, -v41, v44, v43
	v_div_fmas_f32 v41, v41, v42, v44
	v_div_fixup_f32 v39, v41, v39, v40
	v_fmac_f32_e32 v13, v40, v39
	v_fmac_f32_e32 v19, v39, v39
	v_add_f32_e32 v37, v37, v13
	s_andn2_b64 exec, exec, s[26:27]
	s_cbranch_execnz .LBB38_41
; %bb.42:
	s_or_b64 exec, exec, s[26:27]
.LBB38_43:
	s_or_b64 exec, exec, s[10:11]
	v_and_b32_e32 v38, 0x7fffffff, v37
	v_mov_b32_e32 v37, 0
	v_mov_b32_e32 v39, 0
	s_and_saveexec_b64 s[10:11], s[4:5]
	s_cbranch_execz .LBB38_47
; %bb.44:
	v_mov_b32_e32 v28, s19
	v_add_co_u32_e32 v29, vcc, s18, v20
	v_addc_co_u32_e32 v28, vcc, v28, v21, vcc
	v_lshlrev_b64 v[30:31], 2, v[8:9]
	v_add_co_u32_e32 v29, vcc, v29, v30
	s_add_u32 s26, s14, s16
	v_addc_co_u32_e32 v37, vcc, v28, v31, vcc
	s_addc_u32 s27, s15, s17
	v_mov_b32_e32 v39, s27
	v_add_co_u32_e32 v28, vcc, s26, v29
	s_add_u32 s26, s24, s22
	v_addc_co_u32_e32 v29, vcc, v39, v37, vcc
	s_addc_u32 s27, s25, s23
	v_mov_b32_e32 v37, s27
	v_add_co_u32_e32 v39, vcc, s26, v26
	v_addc_co_u32_e32 v37, vcc, v37, v27, vcc
	v_add_co_u32_e32 v30, vcc, v39, v30
	v_addc_co_u32_e32 v31, vcc, v37, v31, vcc
	v_mov_b32_e32 v37, s13
	v_add_co_u32_e32 v30, vcc, s12, v30
	v_addc_co_u32_e32 v31, vcc, v37, v31, vcc
	s_mov_b64 s[26:27], 0
	v_mov_b32_e32 v37, 0
	v_mov_b32_e32 v40, v8
	;; [unrolled: 1-line block ×3, first 2 shown]
.LBB38_45:                              ; =>This Inner Loop Header: Depth=1
	global_load_dword v41, v[28:29], off
	v_add_u32_e32 v40, -1, v40
	v_cmp_le_i32_e32 vcc, v40, v12
	s_or_b64 s[26:27], vcc, s[26:27]
	s_waitcnt vmcnt(0)
	v_sub_f32_e32 v41, v41, v11
	global_store_dword v[28:29], v41, off
	global_load_dword v42, v[30:31], off
	v_add_co_u32_e32 v28, vcc, -4, v28
	v_addc_co_u32_e32 v29, vcc, -1, v29, vcc
	v_add_co_u32_e32 v30, vcc, -4, v30
	v_addc_co_u32_e32 v31, vcc, -1, v31, vcc
	s_waitcnt vmcnt(0)
	v_div_scale_f32 v43, s[28:29], v41, v41, v42
	v_rcp_f32_e32 v44, v43
	v_div_scale_f32 v45, vcc, v42, v41, v42
	v_fma_f32 v46, -v43, v44, 1.0
	v_fmac_f32_e32 v44, v46, v44
	v_mul_f32_e32 v46, v45, v44
	v_fma_f32 v47, -v43, v46, v45
	v_fmac_f32_e32 v46, v47, v44
	v_fma_f32 v43, -v43, v46, v45
	v_div_fmas_f32 v43, v43, v44, v46
	v_div_fixup_f32 v41, v43, v41, v42
	v_fmac_f32_e32 v39, v42, v41
	v_fmac_f32_e32 v37, v41, v41
	v_add_f32_e32 v38, v38, v39
	s_andn2_b64 exec, exec, s[26:27]
	s_cbranch_execnz .LBB38_45
; %bb.46:
	s_or_b64 exec, exec, s[26:27]
.LBB38_47:
	s_or_b64 exec, exec, s[10:11]
	v_add_co_u32_e32 v24, vcc, v6, v24
	v_addc_co_u32_e32 v25, vcc, v7, v25, vcc
	global_load_dword v30, v[22:23], off
	global_load_dword v28, v[24:25], off
	v_add_f32_e32 v29, v17, v13
	v_add_f32_e32 v37, v19, v37
	v_sub_f32_e32 v19, v39, v13
	v_add_f32_e32 v13, v17, v17
	v_add_f32_e32 v39, v29, v39
	v_mov_b32_e32 v29, v13
	v_fmac_f32_e32 v29, 0x41000000, v19
	s_waitcnt vmcnt(0)
	v_div_scale_f32 v31, s[10:11], v30, v30, v28
	v_rcp_f32_e32 v40, v31
	v_div_scale_f32 v19, vcc, v28, v30, v28
	s_mov_b32 s10, 0x40400000
	v_fma_f32 v41, -v31, v40, 1.0
	v_fmac_f32_e32 v40, v41, v40
	v_mul_f32_e32 v41, v19, v40
	v_fma_f32 v42, -v31, v41, v19
	v_fmac_f32_e32 v41, v42, v40
	v_fma_f32 v19, -v31, v41, v19
	v_div_fmas_f32 v19, v19, v40, v41
	v_div_fixup_f32 v19, v19, v30, v28
	v_mul_f32_e32 v40, v28, v19
	v_fma_f32 v31, v19, v19, v37
	v_fmac_f32_e32 v39, v28, v19
	v_fma_f32 v19, |v40|, s10, v29
	v_fma_f32 v19, |v11|, v31, v19
	v_add_f32_e32 v19, v38, v19
	v_mul_f32_e32 v19, s39, v19
	v_cmp_nle_f32_e64 s[10:11], |v39|, v19
	s_and_saveexec_b64 s[26:27], s[10:11]
	s_cbranch_execz .LBB38_127
; %bb.48:
	v_cndmask_b32_e64 v19, 4, 0, s[0:1]
	v_add_co_u32_e32 v40, vcc, v14, v19
	v_addc_co_u32_e32 v41, vcc, 0, v15, vcc
	global_load_dword v35, v[40:41], off
	global_load_dwordx2 v[28:29], v[4:5], off
	v_sub_f32_e32 v19, v10, v32
	v_cndmask_b32_e64 v10, v16, v19, s[0:1]
	s_waitcnt vmcnt(1)
	v_mul_f32_e32 v10, v10, v35
	s_waitcnt vmcnt(0)
	v_cndmask_b32_e64 v32, v29, v28, s[0:1]
	v_mul_f32_e32 v10, v35, v10
	v_div_scale_f32 v35, s[10:11], v32, v32, v10
	v_rcp_f32_e32 v42, v35
	v_div_scale_f32 v44, vcc, v10, v32, v10
	v_mul_f32_e32 v41, v28, v29
	v_fma_f32 v45, -v35, v42, 1.0
	v_fmac_f32_e32 v42, v45, v42
	v_mul_f32_e32 v45, v44, v42
	v_fma_f32 v46, -v35, v45, v44
	v_fmac_f32_e32 v45, v46, v42
	v_fma_f32 v35, -v35, v45, v44
	v_div_fmas_f32 v35, v35, v42, v45
	v_div_fixup_f32 v35, v35, v32, v10
	v_div_scale_f32 v42, s[10:11], v32, v32, v35
	v_rcp_f32_e32 v44, v42
	v_add_f32_e32 v40, v28, v29
	v_mul_f32_e32 v43, v31, v41
	v_fma_f32 v10, v39, v40, -v43
	v_fma_f32 v43, -v42, v44, 1.0
	v_div_scale_f32 v40, vcc, v35, v32, v35
	v_fmac_f32_e32 v44, v43, v44
	v_mul_f32_e32 v43, v40, v44
	v_fma_f32 v45, -v42, v43, v40
	v_fmac_f32_e32 v43, v45, v44
	v_fma_f32 v40, -v42, v43, v40
	v_cndmask_b32_e64 v38, v28, v29, s[0:1]
	v_div_fmas_f32 v40, v40, v44, v43
	v_fma_f32 v38, -v31, v38, v39
	v_div_fixup_f32 v32, v40, v32, v35
	v_sub_f32_e32 v38, v38, v32
	v_mul_f32_e32 v35, v39, v41
	v_cmp_neq_f32_e32 vcc, 0, v38
                                        ; implicit-def: $vgpr32
	s_and_saveexec_b64 s[10:11], vcc
	s_xor_b64 s[28:29], exec, s[10:11]
	s_cbranch_execz .LBB38_54
; %bb.49:
	v_mul_f32_e32 v28, -4.0, v35
	v_mul_f32_e32 v28, v28, v38
	v_fmac_f32_e32 v28, v10, v10
	s_mov_b32 s10, 0xf800000
	s_mov_b32 s11, 0x4f800000
	v_mul_f32_e64 v29, |v28|, s11
	v_cmp_lt_f32_e64 vcc, |v28|, s10
	v_cndmask_b32_e64 v28, |v28|, v29, vcc
	v_sqrt_f32_e32 v29, v28
	v_add_u32_e32 v32, -1, v29
	v_fma_f32 v37, -v32, v29, v28
	v_cmp_ge_f32_e64 s[10:11], 0, v37
	v_add_u32_e32 v37, 1, v29
	v_cndmask_b32_e64 v32, v29, v32, s[10:11]
	v_fma_f32 v29, -v37, v29, v28
	v_cmp_lt_f32_e64 s[10:11], 0, v29
	v_cndmask_b32_e64 v29, v32, v37, s[10:11]
	v_mul_f32_e32 v32, 0x37800000, v29
	v_cndmask_b32_e32 v29, v29, v32, vcc
	v_mov_b32_e32 v32, 0x260
	v_cmp_class_f32_e32 vcc, v28, v32
	v_cndmask_b32_e32 v28, v29, v28, vcc
	v_cmp_ge_f32_e32 vcc, 0, v10
                                        ; implicit-def: $vgpr32
	s_and_saveexec_b64 s[10:11], vcc
	s_xor_b64 s[10:11], exec, s[10:11]
	s_cbranch_execz .LBB38_51
; %bb.50:
	v_sub_f32_e32 v10, v10, v28
	v_add_f32_e32 v28, v38, v38
	v_div_scale_f32 v29, s[30:31], v28, v28, v10
	v_rcp_f32_e32 v32, v29
	v_fma_f32 v35, -v29, v32, 1.0
	v_fmac_f32_e32 v32, v35, v32
	v_div_scale_f32 v35, vcc, v10, v28, v10
	v_mul_f32_e32 v37, v35, v32
	v_fma_f32 v38, -v29, v37, v35
	v_fmac_f32_e32 v37, v38, v32
	v_fma_f32 v29, -v29, v37, v35
	v_div_fmas_f32 v29, v29, v32, v37
	v_div_fixup_f32 v32, v29, v28, v10
                                        ; implicit-def: $vgpr35
                                        ; implicit-def: $vgpr10
                                        ; implicit-def: $vgpr28
.LBB38_51:
	s_andn2_saveexec_b64 s[10:11], s[10:11]
	s_cbranch_execz .LBB38_53
; %bb.52:
	v_add_f32_e32 v29, v35, v35
	v_add_f32_e32 v10, v10, v28
	v_div_scale_f32 v28, s[30:31], v10, v10, v29
	v_rcp_f32_e32 v32, v28
	v_fma_f32 v35, -v28, v32, 1.0
	v_fmac_f32_e32 v32, v35, v32
	v_div_scale_f32 v35, vcc, v29, v10, v29
	v_mul_f32_e32 v37, v35, v32
	v_fma_f32 v38, -v28, v37, v35
	v_fmac_f32_e32 v37, v38, v32
	v_fma_f32 v28, -v28, v37, v35
	v_div_fmas_f32 v28, v28, v32, v37
	v_div_fixup_f32 v32, v28, v10, v29
.LBB38_53:
	s_or_b64 exec, exec, s[10:11]
                                        ; implicit-def: $vgpr10
                                        ; implicit-def: $vgpr35
                                        ; implicit-def: $vgpr28_vgpr29
                                        ; implicit-def: $vgpr37
.LBB38_54:
	s_andn2_saveexec_b64 s[10:11], s[28:29]
	s_cbranch_execz .LBB38_62
; %bb.55:
	v_cmp_eq_f32_e32 vcc, 0, v10
	s_and_saveexec_b64 s[28:29], vcc
	s_cbranch_execz .LBB38_61
; %bb.56:
                                        ; implicit-def: $vgpr10
	s_and_saveexec_b64 s[30:31], s[2:3]
	s_xor_b64 s[30:31], exec, s[30:31]
	s_cbranch_execz .LBB38_58
; %bb.57:
	global_load_dword v10, v[14:15], off offset:4
	v_mul_f32_e32 v28, v28, v28
	s_waitcnt vmcnt(0)
	v_mul_f32_e32 v10, v10, v10
	v_fmac_f32_e32 v10, v37, v28
                                        ; implicit-def: $vgpr28_vgpr29
                                        ; implicit-def: $vgpr37
.LBB38_58:
	s_andn2_saveexec_b64 s[30:31], s[30:31]
	s_cbranch_execz .LBB38_60
; %bb.59:
	global_load_dword v10, v[14:15], off
	v_mul_f32_e32 v28, v29, v29
	s_waitcnt vmcnt(0)
	v_mul_f32_e32 v10, v10, v10
	v_fmac_f32_e32 v10, v37, v28
.LBB38_60:
	s_or_b64 exec, exec, s[30:31]
.LBB38_61:
	s_or_b64 exec, exec, s[28:29]
	v_div_scale_f32 v28, s[28:29], v10, v10, v35
	v_rcp_f32_e32 v29, v28
	v_div_scale_f32 v32, vcc, v35, v10, v35
	v_fma_f32 v37, -v28, v29, 1.0
	v_fmac_f32_e32 v29, v37, v29
	v_mul_f32_e32 v37, v32, v29
	v_fma_f32 v38, -v28, v37, v32
	v_fmac_f32_e32 v37, v38, v29
	v_fma_f32 v28, -v28, v37, v32
	v_div_fmas_f32 v28, v28, v29, v37
	v_div_fixup_f32 v32, v28, v10, v35
.LBB38_62:
	s_or_b64 exec, exec, s[10:11]
	v_mul_f32_e32 v10, v39, v32
	v_cmp_le_f32_e32 vcc, 0, v10
	s_and_saveexec_b64 s[10:11], vcc
; %bb.63:
	v_div_scale_f32 v10, s[28:29], v31, v31, -v39
	v_rcp_f32_e32 v28, v10
	v_div_scale_f32 v29, vcc, -v39, v31, -v39
	v_fma_f32 v32, -v10, v28, 1.0
	v_fmac_f32_e32 v28, v32, v28
	v_mul_f32_e32 v32, v29, v28
	v_fma_f32 v35, -v10, v32, v29
	v_fmac_f32_e32 v32, v35, v28
	v_fma_f32 v10, -v10, v32, v29
	v_div_fmas_f32 v10, v10, v28, v32
	v_div_fixup_f32 v32, v10, v31, -v39
; %bb.64:
	s_or_b64 exec, exec, s[10:11]
	v_cmp_lt_f32_e32 vcc, v33, v11
	v_cndmask_b32_e32 v10, v33, v11, vcc
	v_cmp_nge_f32_e32 vcc, 0, v39
	v_cndmask_b32_e32 v37, v10, v33, vcc
	v_cmp_lt_f32_e32 vcc, 0, v39
	v_cmp_lt_f32_e64 s[10:11], v11, v34
	s_and_b64 vcc, vcc, s[10:11]
	v_cndmask_b32_e32 v38, v34, v11, vcc
	v_add_f32_e32 v10, v11, v32
	v_cmp_gt_f32_e32 vcc, v10, v38
	v_cmp_lt_f32_e64 s[10:11], v10, v37
	s_or_b64 s[28:29], vcc, s[10:11]
	s_and_saveexec_b64 s[10:11], s[28:29]
	s_cbranch_execz .LBB38_70
; %bb.65:
	v_cmp_ngt_f32_e32 vcc, 0, v39
                                        ; implicit-def: $vgpr32
	s_and_saveexec_b64 s[28:29], vcc
	s_xor_b64 s[28:29], exec, s[28:29]
; %bb.66:
	v_sub_f32_e32 v10, v37, v11
	v_mul_f32_e32 v32, 0.5, v10
; %bb.67:
	s_andn2_saveexec_b64 s[28:29], s[28:29]
; %bb.68:
	v_sub_f32_e32 v10, v38, v11
	v_mul_f32_e32 v32, 0.5, v10
; %bb.69:
	s_or_b64 exec, exec, s[28:29]
.LBB38_70:
	s_or_b64 exec, exec, s[10:11]
	v_sub_f32_e32 v10, v30, v32
	global_store_dword v[22:23], v10, off
	v_mov_b32_e32 v10, 0
	v_mov_b32_e32 v33, 0
	;; [unrolled: 1-line block ×3, first 2 shown]
	s_and_saveexec_b64 s[10:11], s[6:7]
	s_cbranch_execz .LBB38_74
; %bb.71:
	s_mov_b64 s[28:29], 0
	v_mov_b32_e32 v10, 0
	v_pk_mov_b32 v[28:29], v[6:7], v[6:7] op_sel:[0,1]
	v_pk_mov_b32 v[30:31], v[2:3], v[2:3] op_sel:[0,1]
	v_mov_b32_e32 v34, v12
	v_mov_b32_e32 v33, 0
	;; [unrolled: 1-line block ×3, first 2 shown]
.LBB38_72:                              ; =>This Inner Loop Header: Depth=1
	global_load_dword v35, v[30:31], off
	v_add_u32_e32 v34, -1, v34
	v_cmp_eq_u32_e32 vcc, 0, v34
	s_or_b64 s[28:29], vcc, s[28:29]
	s_waitcnt vmcnt(0)
	v_sub_f32_e32 v35, v35, v32
	global_store_dword v[30:31], v35, off
	global_load_dword v40, v[28:29], off
	v_add_co_u32_e32 v30, vcc, 4, v30
	v_addc_co_u32_e32 v31, vcc, 0, v31, vcc
	v_add_co_u32_e32 v28, vcc, 4, v28
	v_addc_co_u32_e32 v29, vcc, 0, v29, vcc
	s_waitcnt vmcnt(0)
	v_div_scale_f32 v42, s[30:31], v35, v35, v40
	v_rcp_f32_e32 v43, v42
	v_div_scale_f32 v44, vcc, v40, v35, v40
	v_fma_f32 v45, -v42, v43, 1.0
	v_fmac_f32_e32 v43, v45, v43
	v_mul_f32_e32 v45, v44, v43
	v_fma_f32 v46, -v42, v45, v44
	v_fmac_f32_e32 v45, v46, v43
	v_fma_f32 v42, -v42, v45, v44
	v_div_fmas_f32 v42, v42, v43, v45
	v_div_fixup_f32 v35, v42, v35, v40
	v_fmac_f32_e32 v41, v40, v35
	v_fmac_f32_e32 v10, v35, v35
	v_add_f32_e32 v33, v33, v41
	s_andn2_b64 exec, exec, s[28:29]
	s_cbranch_execnz .LBB38_72
; %bb.73:
	s_or_b64 exec, exec, s[28:29]
.LBB38_74:
	s_or_b64 exec, exec, s[10:11]
	v_and_b32_e32 v42, 0x7fffffff, v33
                                        ; implicit-def: $sgpr10
                                        ; implicit-def: $vgpr28_vgpr29
                                        ; implicit-def: $vgpr34_vgpr35
	s_and_saveexec_b64 s[28:29], s[8:9]
	s_xor_b64 s[8:9], exec, s[28:29]
	s_cbranch_execz .LBB38_76
; %bb.75:
	v_mov_b32_e32 v28, s19
	v_add_co_u32_e32 v29, vcc, s18, v20
	v_addc_co_u32_e32 v28, vcc, v28, v21, vcc
	v_lshlrev_b64 v[20:21], 2, v[8:9]
	v_add_co_u32_e32 v9, vcc, v29, v20
	v_addc_co_u32_e32 v29, vcc, v28, v21, vcc
	v_mov_b32_e32 v30, s17
	v_add_co_u32_e32 v28, vcc, s16, v9
	s_add_u32 s10, s24, s22
	v_addc_co_u32_e32 v29, vcc, v29, v30, vcc
	s_addc_u32 s11, s25, s23
	v_mov_b32_e32 v9, s11
	v_add_co_u32_e32 v26, vcc, s10, v26
	v_addc_co_u32_e32 v9, vcc, v9, v27, vcc
	v_add_co_u32_e32 v34, vcc, v26, v20
	v_addc_co_u32_e32 v35, vcc, v9, v21, vcc
	s_mov_b32 s10, 0
                                        ; implicit-def: $vgpr20_vgpr21
                                        ; implicit-def: $vgpr26_vgpr27
.LBB38_76:
	s_or_saveexec_b64 s[8:9], s[8:9]
	v_mov_b32_e32 v31, s10
	v_mov_b32_e32 v30, s10
	s_xor_b64 exec, exec, s[8:9]
	s_cbranch_execz .LBB38_80
; %bb.77:
	v_mov_b32_e32 v28, s19
	v_add_co_u32_e32 v20, vcc, s18, v20
	v_addc_co_u32_e32 v21, vcc, v28, v21, vcc
	v_lshlrev_b64 v[30:31], 2, v[8:9]
	v_add_co_u32_e32 v9, vcc, v20, v30
	v_addc_co_u32_e32 v20, vcc, v21, v31, vcc
	v_mov_b32_e32 v21, s17
	v_add_co_u32_e32 v28, vcc, s16, v9
	v_addc_co_u32_e32 v29, vcc, v20, v21, vcc
	v_mov_b32_e32 v9, s15
	v_add_co_u32_e32 v20, vcc, s14, v28
	s_add_u32 s10, s24, s22
	v_addc_co_u32_e32 v21, vcc, v9, v29, vcc
	s_addc_u32 s11, s25, s23
	v_mov_b32_e32 v9, s11
	v_add_co_u32_e32 v26, vcc, s10, v26
	v_addc_co_u32_e32 v9, vcc, v9, v27, vcc
	v_add_co_u32_e32 v34, vcc, v26, v30
	v_addc_co_u32_e32 v35, vcc, v9, v31, vcc
	v_mov_b32_e32 v9, s13
	v_add_co_u32_e32 v26, vcc, s12, v34
	v_mov_b32_e32 v30, 0
	v_addc_co_u32_e32 v27, vcc, v9, v35, vcc
	s_mov_b64 s[10:11], 0
	v_mov_b32_e32 v9, v8
	v_mov_b32_e32 v31, v30
.LBB38_78:                              ; =>This Inner Loop Header: Depth=1
	global_load_dword v33, v[20:21], off
	v_add_u32_e32 v9, -1, v9
	v_cmp_le_i32_e32 vcc, v9, v12
	s_or_b64 s[10:11], vcc, s[10:11]
	s_waitcnt vmcnt(0)
	v_sub_f32_e32 v33, v33, v32
	global_store_dword v[20:21], v33, off
	global_load_dword v45, v[26:27], off
	v_add_co_u32_e32 v20, vcc, -4, v20
	v_addc_co_u32_e32 v21, vcc, -1, v21, vcc
	v_add_co_u32_e32 v26, vcc, -4, v26
	v_addc_co_u32_e32 v27, vcc, -1, v27, vcc
	s_waitcnt vmcnt(0)
	v_div_scale_f32 v40, s[22:23], v33, v33, v45
	v_rcp_f32_e32 v43, v40
	v_div_scale_f32 v44, vcc, v45, v33, v45
	v_fma_f32 v46, -v40, v43, 1.0
	v_fmac_f32_e32 v43, v46, v43
	v_mul_f32_e32 v46, v44, v43
	v_fma_f32 v47, -v40, v46, v44
	v_fmac_f32_e32 v46, v47, v43
	v_fma_f32 v40, -v40, v46, v44
	v_div_fmas_f32 v40, v40, v43, v46
	v_div_fixup_f32 v44, v40, v33, v45
	v_pk_fma_f32 v[30:31], v[44:45], v[44:45], v[30:31] op_sel_hi:[1,0,1]
	v_add_f32_e32 v42, v42, v31
	s_andn2_b64 exec, exec, s[10:11]
	s_cbranch_execnz .LBB38_78
; %bb.79:
	s_or_b64 exec, exec, s[10:11]
.LBB38_80:
	s_or_b64 exec, exec, s[8:9]
	global_load_dword v33, v[24:25], off
	global_load_dword v40, v[22:23], off
	v_add_f32_e32 v9, v11, v32
	v_add_f32_e32 v11, v17, v41
	v_and_b32_e32 v21, 0x7fffffff, v39
	s_mov_b32 s41, 0x41200000
	v_sub_f32_e32 v20, v31, v41
	v_mov_b32_e32 v41, v13
	v_pk_add_f32 v[44:45], v[10:11], v[30:31]
	v_div_scale_f32 v11, s[8:9], s41, s41, v21
	v_fmac_f32_e32 v41, 0x41000000, v20
	v_add_co_u32_e32 v20, vcc, s14, v28
	v_rcp_f32_e32 v28, v11
	v_mov_b32_e32 v26, s15
	v_div_scale_f32 v31, s[8:9], v21, s41, v21
	v_addc_co_u32_e32 v21, vcc, v26, v29, vcc
	v_fma_f32 v29, -v11, v28, 1.0
	v_fmac_f32_e32 v28, v29, v28
	v_mul_f32_e32 v29, v31, v28
	v_fma_f32 v32, -v11, v29, v31
	v_mov_b32_e32 v27, s13
	v_add_co_u32_e32 v26, vcc, s12, v34
	v_fmac_f32_e32 v29, v32, v28
	v_addc_co_u32_e32 v27, vcc, v27, v35, vcc
	v_fma_f32 v11, -v11, v29, v31
	s_mov_b32 s40, 0x40400000
	s_mov_b32 s42, 1
	s_mov_b64 s[10:11], 0
	s_mov_b32 s43, 0xf800000
	s_mov_b32 s44, 0x4f800000
                                        ; implicit-def: $sgpr22_sgpr23
	s_waitcnt vmcnt(0)
	v_div_scale_f32 v32, s[12:13], v40, v40, v33
	v_rcp_f32_e32 v34, v32
	v_div_scale_f32 v31, vcc, v33, v40, v33
                                        ; implicit-def: $sgpr12_sgpr13
	v_fma_f32 v35, -v32, v34, 1.0
	v_fmac_f32_e32 v34, v35, v34
	v_mul_f32_e32 v35, v31, v34
	v_fma_f32 v43, -v32, v35, v31
	v_fmac_f32_e32 v35, v43, v34
	v_fma_f32 v31, -v32, v35, v31
	v_div_fmas_f32 v31, v31, v34, v35
	v_div_fixup_f32 v32, v31, v40, v33
	s_mov_b64 vcc, s[8:9]
	v_pk_mul_f32 v[34:35], v[32:33], v[32:33] op_sel_hi:[1,0]
	v_div_fmas_f32 v11, v11, v28, v29
	v_pk_fma_f32 v[28:29], v[32:33], v[32:33], v[44:45] op_sel_hi:[1,0,1]
	v_fma_f32 v31, |v35|, s40, v41
	v_div_fixup_f32 v11, v11, s41, |v39|
	v_cndmask_b32_e64 v33, v29, -v29, s[0:1]
	v_fma_f32 v31, |v9|, v28, v31
	v_cmp_gt_f32_e64 s[24:25], v33, v11
	v_add_f32_e32 v11, v42, v31
	v_mov_b32_e32 v39, 0x260
	s_branch .LBB38_83
.LBB38_81:                              ;   in Loop: Header=BB38_83 Depth=1
	s_or_b64 exec, exec, s[8:9]
	global_load_dword v33, v[24:25], off
	global_load_dword v40, v[22:23], off
	v_add_f32_e32 v9, v9, v11
	v_add_f32_e32 v11, v17, v28
	v_and_b32_e32 v32, 0x7fffffff, v29
	v_pk_add_f32 v[34:35], v[10:11], v[30:31]
	v_div_scale_f32 v11, s[8:9], s41, s41, v32
	v_sub_f32_e32 v28, v31, v28
	v_rcp_f32_e32 v31, v11
	v_mov_b32_e32 v44, v13
	v_fmac_f32_e32 v44, 0x41000000, v28
	v_div_scale_f32 v28, s[8:9], v32, s41, v32
	v_fma_f32 v32, -v11, v31, 1.0
	v_fmac_f32_e32 v31, v32, v31
	v_mul_f32_e32 v42, v28, v31
	v_fma_f32 v32, -v11, v42, v28
	v_fmac_f32_e32 v42, v32, v31
	v_fma_f32 v11, -v11, v42, v28
	s_add_i32 s42, s42, 1
	s_waitcnt vmcnt(0)
	v_div_scale_f32 v32, s[30:31], v40, v40, v33
	v_rcp_f32_e32 v43, v32
	v_div_scale_f32 v28, vcc, v33, v40, v33
	v_fma_f32 v45, -v32, v43, 1.0
	v_fmac_f32_e32 v43, v45, v43
	v_mul_f32_e32 v45, v28, v43
	v_fma_f32 v46, -v32, v45, v28
	v_fmac_f32_e32 v45, v46, v43
	v_fma_f32 v28, -v32, v45, v28
	v_div_fmas_f32 v28, v28, v43, v45
	v_div_fixup_f32 v32, v28, v40, v33
	s_mov_b64 vcc, s[8:9]
	v_div_fmas_f32 v11, v11, v31, v42
	v_pk_fma_f32 v[34:35], v[32:33], v[32:33], v[34:35] op_sel_hi:[1,0,1]
	v_div_fixup_f32 v11, v11, s41, |v29|
	v_mul_f32_e32 v29, v29, v35
	v_cmp_gt_f32_e64 s[8:9], |v35|, v11
	v_cmp_lt_f32_e32 vcc, 0, v29
	s_and_b64 s[8:9], vcc, s[8:9]
	s_xor_b64 s[8:9], s[24:25], s[8:9]
	v_pk_mul_f32 v[42:43], v[32:33], v[32:33] op_sel_hi:[1,0]
	s_cmp_eq_u32 s42, 50
	v_fma_f32 v28, |v43|, s40, v44
	s_cselect_b64 s[30:31], -1, 0
	s_andn2_b64 s[22:23], s[22:23], exec
	s_and_b64 s[8:9], s[8:9], exec
	v_fma_f32 v11, |v9|, v34, v28
	s_andn2_b64 s[12:13], s[12:13], exec
	s_or_b64 s[22:23], s[22:23], s[8:9]
	s_and_b64 s[8:9], s[30:31], exec
	v_add_f32_e32 v11, v41, v11
	s_or_b64 s[12:13], s[12:13], s[8:9]
	v_pk_mov_b32 v[28:29], v[34:35], v[34:35] op_sel:[0,1]
                                        ; implicit-def: $sgpr24_sgpr25
.LBB38_82:                              ;   in Loop: Header=BB38_83 Depth=1
	s_or_b64 exec, exec, s[28:29]
	s_and_b64 s[8:9], exec, s[12:13]
	s_or_b64 s[10:11], s[8:9], s[10:11]
	s_andn2_b64 s[8:9], s[24:25], exec
	s_and_b64 s[24:25], s[22:23], exec
	s_or_b64 s[24:25], s[8:9], s[24:25]
	s_andn2_b64 exec, exec, s[10:11]
	s_cbranch_execz .LBB38_126
.LBB38_83:                              ; =>This Loop Header: Depth=1
                                        ;     Child Loop BB38_120 Depth 2
                                        ;     Child Loop BB38_124 Depth 2
	v_mul_f32_e32 v11, s39, v11
	v_cmp_nle_f32_e64 s[8:9], |v29|, v11
	s_andn2_b64 s[22:23], s[22:23], exec
	s_or_b64 s[12:13], s[12:13], exec
                                        ; implicit-def: $vgpr11
	s_and_saveexec_b64 s[28:29], s[8:9]
	s_cbranch_execz .LBB38_82
; %bb.84:                               ;   in Loop: Header=BB38_83 Depth=1
	global_load_dwordx2 v[34:35], v[4:5], off
	s_xor_b64 s[30:31], s[24:25], -1
                                        ; implicit-def: $vgpr33
	s_and_saveexec_b64 s[8:9], s[30:31]
	s_xor_b64 s[8:9], exec, s[8:9]
	s_cbranch_execz .LBB38_86
; %bb.85:                               ;   in Loop: Header=BB38_83 Depth=1
	v_fma_f32 v11, v32, v32, v10
	v_fma_f32 v31, v32, v32, v30
	v_cndmask_b32_e64 v10, v10, v11, s[0:1]
	v_cndmask_b32_e64 v30, v31, v30, s[0:1]
	s_waitcnt vmcnt(0)
	v_fma_f32 v11, -v10, v34, v29
	v_fma_f32 v33, -v30, v35, v11
.LBB38_86:                              ;   in Loop: Header=BB38_83 Depth=1
	s_andn2_saveexec_b64 s[8:9], s[8:9]
	s_cbranch_execz .LBB38_92
; %bb.87:                               ;   in Loop: Header=BB38_83 Depth=1
                                        ; implicit-def: $vgpr33
	s_and_saveexec_b64 s[34:35], s[2:3]
	s_xor_b64 s[34:35], exec, s[34:35]
	s_cbranch_execz .LBB38_89
; %bb.88:                               ;   in Loop: Header=BB38_83 Depth=1
	global_load_dword v11, v[14:15], off offset:4
	s_waitcnt vmcnt(0)
	v_mul_f32_e32 v31, v16, v11
	v_mul_f32_e32 v11, v11, v31
	v_div_scale_f32 v31, s[36:37], v35, v35, v11
	v_rcp_f32_e32 v32, v31
	v_div_scale_f32 v33, vcc, v11, v35, v11
	v_fma_f32 v41, -v31, v32, 1.0
	v_fmac_f32_e32 v32, v41, v32
	v_mul_f32_e32 v41, v33, v32
	v_fma_f32 v42, -v31, v41, v33
	v_fmac_f32_e32 v41, v42, v32
	v_fma_f32 v31, -v31, v41, v33
	v_div_fmas_f32 v31, v31, v32, v41
	v_div_fixup_f32 v11, v31, v35, v11
	v_div_scale_f32 v31, s[36:37], v35, v35, v11
	v_rcp_f32_e32 v32, v31
	v_div_scale_f32 v41, vcc, v11, v35, v11
	v_fma_f32 v33, -v28, v34, v29
	v_fma_f32 v42, -v31, v32, 1.0
	v_fmac_f32_e32 v32, v42, v32
	v_mul_f32_e32 v42, v41, v32
	v_fma_f32 v43, -v31, v42, v41
	v_fmac_f32_e32 v42, v43, v32
	v_fma_f32 v31, -v31, v42, v41
	v_div_fmas_f32 v31, v31, v32, v42
	v_div_fixup_f32 v11, v31, v35, v11
	v_sub_f32_e32 v33, v33, v11
.LBB38_89:                              ;   in Loop: Header=BB38_83 Depth=1
	s_andn2_saveexec_b64 s[34:35], s[34:35]
	s_cbranch_execz .LBB38_91
; %bb.90:                               ;   in Loop: Header=BB38_83 Depth=1
	global_load_dword v11, v[14:15], off
	s_waitcnt vmcnt(0)
	v_mul_f32_e32 v31, v19, v11
	v_mul_f32_e32 v11, v11, v31
	v_div_scale_f32 v31, s[36:37], v34, v34, v11
	v_rcp_f32_e32 v32, v31
	v_div_scale_f32 v33, vcc, v11, v34, v11
	v_fma_f32 v41, -v31, v32, 1.0
	v_fmac_f32_e32 v32, v41, v32
	v_mul_f32_e32 v41, v33, v32
	v_fma_f32 v42, -v31, v41, v33
	v_fmac_f32_e32 v41, v42, v32
	v_fma_f32 v31, -v31, v41, v33
	v_div_fmas_f32 v31, v31, v32, v41
	v_div_fixup_f32 v11, v31, v34, v11
	v_div_scale_f32 v31, s[36:37], v34, v34, v11
	v_rcp_f32_e32 v32, v31
	v_div_scale_f32 v41, vcc, v11, v34, v11
	v_fma_f32 v33, -v28, v35, v29
	v_fma_f32 v42, -v31, v32, 1.0
	v_fmac_f32_e32 v32, v42, v32
	v_mul_f32_e32 v42, v41, v32
	v_fma_f32 v43, -v31, v42, v41
	v_fmac_f32_e32 v42, v43, v32
	v_fma_f32 v31, -v31, v42, v41
	v_div_fmas_f32 v31, v31, v32, v42
	v_div_fixup_f32 v11, v31, v34, v11
	v_sub_f32_e32 v33, v33, v11
.LBB38_91:                              ;   in Loop: Header=BB38_83 Depth=1
	s_or_b64 exec, exec, s[34:35]
.LBB38_92:                              ;   in Loop: Header=BB38_83 Depth=1
	s_or_b64 exec, exec, s[8:9]
	s_waitcnt vmcnt(0)
	v_mul_f32_e32 v31, v34, v35
	v_add_f32_e32 v11, v34, v35
	v_mul_f32_e32 v32, v28, v31
	v_fma_f32 v32, v29, v11, -v32
	v_mul_f32_e32 v31, v29, v31
	v_cmp_neq_f32_e32 vcc, 0, v33
                                        ; implicit-def: $vgpr11
	s_and_saveexec_b64 s[8:9], vcc
	s_xor_b64 s[34:35], exec, s[8:9]
	s_cbranch_execz .LBB38_98
; %bb.93:                               ;   in Loop: Header=BB38_83 Depth=1
	v_mul_f32_e32 v10, -4.0, v31
	v_mul_f32_e32 v10, v10, v33
	v_fmac_f32_e32 v10, v32, v32
	v_mul_f32_e64 v11, |v10|, s44
	v_cmp_lt_f32_e64 vcc, |v10|, s43
	v_cndmask_b32_e64 v10, |v10|, v11, vcc
	v_sqrt_f32_e32 v11, v10
	v_add_u32_e32 v30, -1, v11
	v_fma_f32 v35, -v30, v11, v10
	v_add_u32_e32 v34, 1, v11
	v_cmp_ge_f32_e64 s[8:9], 0, v35
	v_cndmask_b32_e64 v30, v11, v30, s[8:9]
	v_fma_f32 v11, -v34, v11, v10
	v_cmp_lt_f32_e64 s[8:9], 0, v11
	v_cndmask_b32_e64 v11, v30, v34, s[8:9]
	v_mul_f32_e32 v30, 0x37800000, v11
	v_cndmask_b32_e32 v11, v11, v30, vcc
	v_cmp_class_f32_e32 vcc, v10, v39
	v_cndmask_b32_e32 v10, v11, v10, vcc
	v_cmp_ge_f32_e32 vcc, 0, v32
                                        ; implicit-def: $vgpr11
	s_and_saveexec_b64 s[8:9], vcc
	s_xor_b64 s[8:9], exec, s[8:9]
	s_cbranch_execz .LBB38_95
; %bb.94:                               ;   in Loop: Header=BB38_83 Depth=1
	v_sub_f32_e32 v10, v32, v10
	v_add_f32_e32 v11, v33, v33
	v_div_scale_f32 v30, s[36:37], v11, v11, v10
	v_rcp_f32_e32 v31, v30
	v_fma_f32 v32, -v30, v31, 1.0
	v_fmac_f32_e32 v31, v32, v31
	v_div_scale_f32 v32, vcc, v10, v11, v10
	v_mul_f32_e32 v33, v32, v31
	v_fma_f32 v34, -v30, v33, v32
	v_fmac_f32_e32 v33, v34, v31
	v_fma_f32 v30, -v30, v33, v32
	v_div_fmas_f32 v30, v30, v31, v33
	v_div_fixup_f32 v11, v30, v11, v10
                                        ; implicit-def: $vgpr31
                                        ; implicit-def: $vgpr32
                                        ; implicit-def: $vgpr10
.LBB38_95:                              ;   in Loop: Header=BB38_83 Depth=1
	s_andn2_saveexec_b64 s[8:9], s[8:9]
	s_cbranch_execz .LBB38_97
; %bb.96:                               ;   in Loop: Header=BB38_83 Depth=1
	v_add_f32_e32 v11, v31, v31
	v_add_f32_e32 v10, v32, v10
	v_div_scale_f32 v30, s[36:37], v10, v10, v11
	v_rcp_f32_e32 v31, v30
	v_fma_f32 v32, -v30, v31, 1.0
	v_fmac_f32_e32 v31, v32, v31
	v_div_scale_f32 v32, vcc, v11, v10, v11
	v_mul_f32_e32 v33, v32, v31
	v_fma_f32 v34, -v30, v33, v32
	v_fmac_f32_e32 v33, v34, v31
	v_fma_f32 v30, -v30, v33, v32
	v_div_fmas_f32 v30, v30, v31, v33
	v_div_fixup_f32 v11, v30, v10, v11
.LBB38_97:                              ;   in Loop: Header=BB38_83 Depth=1
	s_or_b64 exec, exec, s[8:9]
                                        ; implicit-def: $vgpr32
                                        ; implicit-def: $vgpr31
                                        ; implicit-def: $vgpr34_vgpr35
                                        ; implicit-def: $vgpr30
                                        ; implicit-def: $vgpr10
.LBB38_98:                              ;   in Loop: Header=BB38_83 Depth=1
	s_andn2_saveexec_b64 s[8:9], s[34:35]
	s_cbranch_execz .LBB38_110
; %bb.99:                               ;   in Loop: Header=BB38_83 Depth=1
	v_cmp_eq_f32_e32 vcc, 0, v32
	s_and_saveexec_b64 s[34:35], vcc
	s_cbranch_execz .LBB38_109
; %bb.100:                              ;   in Loop: Header=BB38_83 Depth=1
                                        ; implicit-def: $vgpr32
	s_and_saveexec_b64 s[36:37], s[30:31]
	s_xor_b64 s[30:31], exec, s[36:37]
; %bb.101:                              ;   in Loop: Header=BB38_83 Depth=1
	v_mul_f32_e32 v32, v35, v35
	v_mul_f32_e32 v11, v34, v34
	;; [unrolled: 1-line block ×3, first 2 shown]
	v_fmac_f32_e32 v32, v11, v10
                                        ; implicit-def: $vgpr34_vgpr35
                                        ; implicit-def: $vgpr10
                                        ; implicit-def: $vgpr30
; %bb.102:                              ;   in Loop: Header=BB38_83 Depth=1
	s_andn2_saveexec_b64 s[30:31], s[30:31]
	s_cbranch_execz .LBB38_108
; %bb.103:                              ;   in Loop: Header=BB38_83 Depth=1
	v_add_f32_e32 v10, v10, v30
                                        ; implicit-def: $vgpr32
	s_and_saveexec_b64 s[36:37], s[2:3]
	s_xor_b64 s[36:37], exec, s[36:37]
	s_cbranch_execz .LBB38_105
; %bb.104:                              ;   in Loop: Header=BB38_83 Depth=1
	global_load_dword v11, v[14:15], off offset:4
	s_waitcnt vmcnt(0)
	v_mul_f32_e32 v32, v11, v11
	v_mul_f32_e32 v11, v34, v34
	v_fmac_f32_e32 v32, v11, v10
                                        ; implicit-def: $vgpr34_vgpr35
                                        ; implicit-def: $vgpr10
.LBB38_105:                             ;   in Loop: Header=BB38_83 Depth=1
	s_andn2_saveexec_b64 s[36:37], s[36:37]
	s_cbranch_execz .LBB38_107
; %bb.106:                              ;   in Loop: Header=BB38_83 Depth=1
	global_load_dword v11, v[14:15], off
	s_waitcnt vmcnt(0)
	v_mul_f32_e32 v32, v11, v11
	v_mul_f32_e32 v11, v35, v35
	v_fmac_f32_e32 v32, v11, v10
.LBB38_107:                             ;   in Loop: Header=BB38_83 Depth=1
	s_or_b64 exec, exec, s[36:37]
.LBB38_108:                             ;   in Loop: Header=BB38_83 Depth=1
	s_or_b64 exec, exec, s[30:31]
.LBB38_109:                             ;   in Loop: Header=BB38_83 Depth=1
	s_or_b64 exec, exec, s[34:35]
	v_div_scale_f32 v10, s[30:31], v32, v32, v31
	v_rcp_f32_e32 v11, v10
	v_div_scale_f32 v30, vcc, v31, v32, v31
	v_fma_f32 v33, -v10, v11, 1.0
	v_fmac_f32_e32 v11, v33, v11
	v_mul_f32_e32 v33, v30, v11
	v_fma_f32 v34, -v10, v33, v30
	v_fmac_f32_e32 v33, v34, v11
	v_fma_f32 v10, -v10, v33, v30
	v_div_fmas_f32 v10, v10, v11, v33
	v_div_fixup_f32 v11, v10, v32, v31
.LBB38_110:                             ;   in Loop: Header=BB38_83 Depth=1
	s_or_b64 exec, exec, s[8:9]
	v_mul_f32_e32 v10, v29, v11
	v_cmp_le_f32_e32 vcc, 0, v10
	s_and_saveexec_b64 s[8:9], vcc
; %bb.111:                              ;   in Loop: Header=BB38_83 Depth=1
	v_div_scale_f32 v10, s[30:31], v28, v28, -v29
	v_rcp_f32_e32 v11, v10
	v_div_scale_f32 v30, vcc, -v29, v28, -v29
	v_fma_f32 v31, -v10, v11, 1.0
	v_fmac_f32_e32 v11, v31, v11
	v_mul_f32_e32 v31, v30, v11
	v_fma_f32 v32, -v10, v31, v30
	v_fmac_f32_e32 v31, v32, v11
	v_fma_f32 v10, -v10, v31, v30
	v_div_fmas_f32 v10, v10, v11, v31
	v_div_fixup_f32 v11, v10, v28, -v29
; %bb.112:                              ;   in Loop: Header=BB38_83 Depth=1
	s_or_b64 exec, exec, s[8:9]
	v_cmp_lt_f32_e32 vcc, v37, v9
	v_cndmask_b32_e32 v10, v37, v9, vcc
	v_cmp_nge_f32_e32 vcc, 0, v29
	v_cndmask_b32_e32 v37, v10, v37, vcc
	v_cmp_lt_f32_e32 vcc, 0, v29
	v_cmp_lt_f32_e64 s[8:9], v9, v38
	s_and_b64 vcc, vcc, s[8:9]
	v_cndmask_b32_e32 v38, v38, v9, vcc
	v_add_f32_e32 v10, v9, v11
	v_cmp_gt_f32_e32 vcc, v10, v38
	v_cmp_lt_f32_e64 s[8:9], v10, v37
	s_or_b64 s[30:31], vcc, s[8:9]
	s_and_saveexec_b64 s[8:9], s[30:31]
	s_cbranch_execz .LBB38_118
; %bb.113:                              ;   in Loop: Header=BB38_83 Depth=1
	v_cmp_ngt_f32_e32 vcc, 0, v29
                                        ; implicit-def: $vgpr11
	s_and_saveexec_b64 s[30:31], vcc
	s_xor_b64 s[30:31], exec, s[30:31]
; %bb.114:                              ;   in Loop: Header=BB38_83 Depth=1
	v_sub_f32_e32 v10, v37, v9
	v_mul_f32_e32 v11, 0.5, v10
; %bb.115:                              ;   in Loop: Header=BB38_83 Depth=1
	s_andn2_saveexec_b64 s[30:31], s[30:31]
; %bb.116:                              ;   in Loop: Header=BB38_83 Depth=1
	v_sub_f32_e32 v10, v38, v9
	v_mul_f32_e32 v11, 0.5, v10
; %bb.117:                              ;   in Loop: Header=BB38_83 Depth=1
	s_or_b64 exec, exec, s[30:31]
.LBB38_118:                             ;   in Loop: Header=BB38_83 Depth=1
	s_or_b64 exec, exec, s[8:9]
	v_sub_f32_e32 v10, v40, v11
	global_store_dword v[22:23], v10, off
	v_mov_b32_e32 v10, 0
	v_mov_b32_e32 v34, 0
	;; [unrolled: 1-line block ×3, first 2 shown]
	s_and_saveexec_b64 s[8:9], s[6:7]
	s_cbranch_execz .LBB38_122
; %bb.119:                              ;   in Loop: Header=BB38_83 Depth=1
	s_mov_b64 s[30:31], 0
	v_mov_b32_e32 v10, 0
	v_pk_mov_b32 v[30:31], v[6:7], v[6:7] op_sel:[0,1]
	v_pk_mov_b32 v[32:33], v[2:3], v[2:3] op_sel:[0,1]
	v_mov_b32_e32 v35, v12
	v_mov_b32_e32 v34, 0
	;; [unrolled: 1-line block ×3, first 2 shown]
.LBB38_120:                             ;   Parent Loop BB38_83 Depth=1
                                        ; =>  This Inner Loop Header: Depth=2
	global_load_dword v40, v[32:33], off
	v_add_u32_e32 v35, -1, v35
	v_cmp_eq_u32_e32 vcc, 0, v35
	s_or_b64 s[30:31], vcc, s[30:31]
	s_waitcnt vmcnt(0)
	v_sub_f32_e32 v40, v40, v11
	global_store_dword v[32:33], v40, off
	global_load_dword v41, v[30:31], off
	v_add_co_u32_e32 v32, vcc, 4, v32
	v_addc_co_u32_e32 v33, vcc, 0, v33, vcc
	v_add_co_u32_e32 v30, vcc, 4, v30
	v_addc_co_u32_e32 v31, vcc, 0, v31, vcc
	s_waitcnt vmcnt(0)
	v_div_scale_f32 v42, s[34:35], v40, v40, v41
	v_rcp_f32_e32 v43, v42
	v_div_scale_f32 v44, vcc, v41, v40, v41
	v_fma_f32 v45, -v42, v43, 1.0
	v_fmac_f32_e32 v43, v45, v43
	v_mul_f32_e32 v45, v44, v43
	v_fma_f32 v46, -v42, v45, v44
	v_fmac_f32_e32 v45, v46, v43
	v_fma_f32 v42, -v42, v45, v44
	v_div_fmas_f32 v42, v42, v43, v45
	v_div_fixup_f32 v40, v42, v40, v41
	v_fmac_f32_e32 v28, v41, v40
	v_fmac_f32_e32 v10, v40, v40
	v_add_f32_e32 v34, v34, v28
	s_andn2_b64 exec, exec, s[30:31]
	s_cbranch_execnz .LBB38_120
; %bb.121:                              ;   in Loop: Header=BB38_83 Depth=1
	s_or_b64 exec, exec, s[30:31]
.LBB38_122:                             ;   in Loop: Header=BB38_83 Depth=1
	s_or_b64 exec, exec, s[8:9]
	v_mov_b32_e32 v31, 0
	v_and_b32_e32 v41, 0x7fffffff, v34
	v_mov_b32_e32 v30, v31
	s_and_saveexec_b64 s[8:9], s[4:5]
	s_cbranch_execz .LBB38_81
; %bb.123:                              ;   in Loop: Header=BB38_83 Depth=1
	v_mov_b32_e32 v30, 0
	s_mov_b64 s[30:31], 0
	v_pk_mov_b32 v[32:33], v[26:27], v[26:27] op_sel:[0,1]
	v_pk_mov_b32 v[34:35], v[20:21], v[20:21] op_sel:[0,1]
	v_mov_b32_e32 v40, v8
	v_mov_b32_e32 v31, v30
.LBB38_124:                             ;   Parent Loop BB38_83 Depth=1
                                        ; =>  This Inner Loop Header: Depth=2
	global_load_dword v42, v[34:35], off
	v_add_u32_e32 v40, -1, v40
	v_cmp_le_i32_e32 vcc, v40, v12
	s_or_b64 s[30:31], vcc, s[30:31]
	s_waitcnt vmcnt(0)
	v_sub_f32_e32 v42, v42, v11
	global_store_dword v[34:35], v42, off
	global_load_dword v43, v[32:33], off
	v_add_co_u32_e32 v34, vcc, -4, v34
	v_addc_co_u32_e32 v35, vcc, -1, v35, vcc
	v_add_co_u32_e32 v32, vcc, -4, v32
	v_addc_co_u32_e32 v33, vcc, -1, v33, vcc
	s_waitcnt vmcnt(0)
	v_div_scale_f32 v44, s[34:35], v42, v42, v43
	v_rcp_f32_e32 v45, v44
	v_div_scale_f32 v46, vcc, v43, v42, v43
	v_fma_f32 v47, -v44, v45, 1.0
	v_fmac_f32_e32 v45, v47, v45
	v_mul_f32_e32 v47, v46, v45
	v_fma_f32 v48, -v44, v47, v46
	v_fmac_f32_e32 v47, v48, v45
	v_fma_f32 v44, -v44, v47, v46
	v_div_fmas_f32 v44, v44, v45, v47
	v_div_fixup_f32 v42, v44, v42, v43
	v_pk_fma_f32 v[30:31], v[42:43], v[42:43], v[30:31] op_sel_hi:[1,0,1]
	v_add_f32_e32 v41, v41, v31
	s_andn2_b64 exec, exec, s[30:31]
	s_cbranch_execnz .LBB38_124
; %bb.125:                              ;   in Loop: Header=BB38_83 Depth=1
	s_or_b64 exec, exec, s[30:31]
	s_branch .LBB38_81
.LBB38_126:
	s_or_b64 exec, exec, s[10:11]
	v_add_f32_e32 v35, v18, v9
.LBB38_127:
	s_or_b64 exec, exec, s[26:27]
                                        ; implicit-def: $vgpr16
                                        ; implicit-def: $vgpr18
                                        ; implicit-def: $vgpr24
                                        ; implicit-def: $vgpr22
                                        ; implicit-def: $vgpr2_vgpr3
                                        ; implicit-def: $vgpr6_vgpr7
                                        ; implicit-def: $vgpr4_vgpr5
                                        ; implicit-def: $vgpr10
                                        ; implicit-def: $vgpr20_vgpr21
                                        ; implicit-def: $vgpr14_vgpr15
.LBB38_128:
	s_andn2_saveexec_b64 s[6:7], s[20:21]
	s_cbranch_execz .LBB38_203
; %bb.129:
	v_ashrrev_i32_e32 v25, 31, v24
	v_lshlrev_b64 v[12:13], 2, v[24:25]
	v_add_co_u32_e32 v8, vcc, v2, v12
	v_addc_co_u32_e32 v9, vcc, v3, v13, vcc
	global_load_dword v17, v[8:9], off offset:-8
	s_waitcnt vmcnt(1)
	v_fma_f32 v19, |v36|, 0.5, v10
	v_cmp_lt_i32_e32 vcc, 2, v24
	v_mov_b32_e32 v11, 0
	s_and_saveexec_b64 s[0:1], vcc
	s_cbranch_execz .LBB38_133
; %bb.130:
	v_add_u32_e32 v23, -2, v24
	s_mov_b64 s[2:3], 0
	v_mov_b32_e32 v11, 0
	v_pk_mov_b32 v[26:27], v[6:7], v[6:7] op_sel:[0,1]
	v_pk_mov_b32 v[28:29], v[2:3], v[2:3] op_sel:[0,1]
.LBB38_131:                             ; =>This Inner Loop Header: Depth=1
	global_load_dword v25, v[28:29], off
	global_load_dword v30, v[26:27], off
	v_add_co_u32_e32 v28, vcc, 4, v28
	v_addc_co_u32_e32 v29, vcc, 0, v29, vcc
	v_add_co_u32_e32 v26, vcc, 4, v26
	v_add_u32_e32 v23, -1, v23
	v_addc_co_u32_e32 v27, vcc, 0, v27, vcc
	v_cmp_eq_u32_e32 vcc, 0, v23
	s_or_b64 s[2:3], vcc, s[2:3]
	s_waitcnt vmcnt(1)
	v_sub_f32_e32 v25, v25, v19
	s_waitcnt vmcnt(0)
	v_div_scale_f32 v31, s[4:5], v25, v25, v30
	v_rcp_f32_e32 v32, v31
	v_div_scale_f32 v33, vcc, v30, v25, v30
	v_fma_f32 v34, -v31, v32, 1.0
	v_fmac_f32_e32 v32, v34, v32
	v_mul_f32_e32 v34, v33, v32
	v_fma_f32 v35, -v31, v34, v33
	v_fmac_f32_e32 v34, v35, v32
	v_fma_f32 v31, -v31, v34, v33
	v_div_fmas_f32 v31, v31, v32, v34
	v_div_fixup_f32 v25, v31, v25, v30
	v_fmac_f32_e32 v11, v30, v25
	s_andn2_b64 exec, exec, s[2:3]
	s_cbranch_execnz .LBB38_131
; %bb.132:
	s_or_b64 exec, exec, s[2:3]
.LBB38_133:
	s_or_b64 exec, exec, s[0:1]
	v_add_co_u32_e32 v26, vcc, v6, v12
	v_addc_co_u32_e32 v27, vcc, v7, v13, vcc
	v_add_co_u32_e32 v12, vcc, v6, v14
	v_addc_co_u32_e32 v13, vcc, v7, v15, vcc
	global_load_dword v30, v[26:27], off offset:-8
	global_load_dword v31, v[12:13], off
	v_and_b32_e32 v23, 0x7fffffff, v36
	v_div_scale_f32 v14, s[0:1], v23, v23, 1.0
	v_rcp_f32_e32 v15, v14
	v_div_scale_f32 v25, vcc, 1.0, v23, 1.0
	s_waitcnt vmcnt(2)
	v_sub_f32_e32 v19, v17, v19
	v_fma_f32 v26, -v14, v15, 1.0
	v_fmac_f32_e32 v15, v26, v15
	v_mul_f32_e32 v26, v25, v15
	v_fma_f32 v27, -v14, v26, v25
	v_fmac_f32_e32 v26, v27, v15
	v_fma_f32 v14, -v14, v26, v25
	v_div_fmas_f32 v14, v14, v15, v26
	v_div_fixup_f32 v14, v14, |v36|, 1.0
	v_add_f32_e32 v11, v14, v11
	v_mul_f32_e64 v28, |v36|, 0.5
	s_waitcnt vmcnt(0)
	v_pk_mul_f32 v[26:27], v[30:31], v[30:31]
	v_div_scale_f32 v15, s[0:1], v19, v19, v26
	v_rcp_f32_e32 v25, v15
	v_div_scale_f32 v29, vcc, v26, v19, v26
	v_add_f32_e32 v30, v27, v27
	v_fma_f32 v31, -v15, v25, 1.0
	v_fmac_f32_e32 v25, v31, v25
	v_mul_f32_e32 v31, v29, v25
	v_fma_f32 v32, -v15, v31, v29
	v_fmac_f32_e32 v31, v32, v25
	v_fma_f32 v15, -v15, v31, v29
	v_div_fmas_f32 v15, v15, v25, v31
	v_div_fixup_f32 v15, v15, v19, v26
	v_mul_f32_e32 v30, v14, v30
	v_add_f32_e32 v15, v11, v15
	v_cmp_ngt_f32_e32 vcc, v15, v30
	v_sub_f32_e32 v15, v10, v17
                                        ; implicit-def: $vgpr29
	s_and_saveexec_b64 s[0:1], vcc
	s_xor_b64 s[2:3], exec, s[0:1]
	s_cbranch_execz .LBB38_141
; %bb.134:
	v_div_scale_f32 v17, s[0:1], v23, v23, v27
	v_rcp_f32_e32 v19, v17
	v_add_f32_e64 v25, |v36|, v15
	v_fma_f32 v29, -v17, v19, 1.0
	v_fmac_f32_e32 v19, v29, v19
	v_div_scale_f32 v29, vcc, v27, v23, v27
	v_mul_f32_e32 v30, v29, v19
	v_fma_f32 v31, -v17, v30, v29
	v_fmac_f32_e32 v30, v31, v19
	v_fma_f32 v17, -v17, v30, v29
	v_div_scale_f32 v29, s[0:1], v25, v25, v26
	v_rcp_f32_e32 v31, v29
	v_div_fmas_f32 v17, v17, v19, v30
	v_div_fixup_f32 v17, v17, |v36|, v27
	v_fma_f32 v19, -v29, v31, 1.0
	v_fmac_f32_e32 v31, v19, v31
	v_div_scale_f32 v19, vcc, v26, v25, v26
	v_mul_f32_e32 v30, v19, v31
	v_fma_f32 v32, -v29, v30, v19
	v_fmac_f32_e32 v30, v32, v31
	v_fma_f32 v19, -v29, v30, v19
	v_div_fmas_f32 v19, v19, v31, v30
	v_div_fixup_f32 v19, v19, v25, v26
	v_add_f32_e32 v17, v19, v17
	v_cmp_nle_f32_e32 vcc, v11, v17
	v_mov_b32_e32 v29, v23
	s_and_saveexec_b64 s[4:5], vcc
	s_cbranch_execz .LBB38_140
; %bb.135:
	v_fma_f32 v17, -v15, v11, v26
	v_mul_f32_e32 v15, v15, v27
	v_mul_f32_e32 v19, 4.0, v15
	v_add_f32_e32 v17, v27, v17
	v_mul_f32_e32 v19, v11, v19
	v_fmac_f32_e32 v19, v17, v17
	s_mov_b32 s0, 0xf800000
	v_mul_f32_e32 v25, 0x4f800000, v19
	v_cmp_gt_f32_e32 vcc, s0, v19
	v_cndmask_b32_e32 v19, v19, v25, vcc
	v_sqrt_f32_e32 v25, v19
	v_add_u32_e32 v26, -1, v25
	v_fma_f32 v27, -v26, v25, v19
	v_cmp_ge_f32_e64 s[0:1], 0, v27
	v_add_u32_e32 v27, 1, v25
	v_cndmask_b32_e64 v26, v25, v26, s[0:1]
	v_fma_f32 v25, -v27, v25, v19
	v_cmp_lt_f32_e64 s[0:1], 0, v25
	v_cndmask_b32_e64 v25, v26, v27, s[0:1]
	v_mul_f32_e32 v26, 0x37800000, v25
	v_cndmask_b32_e32 v25, v25, v26, vcc
	v_mov_b32_e32 v26, 0x260
	v_cmp_class_f32_e32 vcc, v19, v26
	v_cndmask_b32_e32 v25, v25, v19, vcc
	v_cmp_ngt_f32_e32 vcc, 0, v17
                                        ; implicit-def: $vgpr19
	s_and_saveexec_b64 s[0:1], vcc
	s_xor_b64 s[0:1], exec, s[0:1]
	s_cbranch_execz .LBB38_137
; %bb.136:
	v_add_f32_e32 v15, v17, v25
	v_add_f32_e32 v11, v11, v11
	v_div_scale_f32 v17, s[8:9], v11, v11, v15
	v_rcp_f32_e32 v19, v17
	v_fma_f32 v25, -v17, v19, 1.0
	v_fmac_f32_e32 v19, v25, v19
	v_div_scale_f32 v25, vcc, v15, v11, v15
	v_mul_f32_e32 v26, v25, v19
	v_fma_f32 v27, -v17, v26, v25
	v_fmac_f32_e32 v26, v27, v19
	v_fma_f32 v17, -v17, v26, v25
	v_div_fmas_f32 v17, v17, v19, v26
	v_div_fixup_f32 v19, v17, v11, v15
                                        ; implicit-def: $vgpr15
                                        ; implicit-def: $vgpr25
                                        ; implicit-def: $vgpr17
.LBB38_137:
	s_andn2_saveexec_b64 s[0:1], s[0:1]
	s_cbranch_execz .LBB38_139
; %bb.138:
	v_add_f32_e32 v11, v15, v15
	v_sub_f32_e32 v15, v25, v17
	v_div_scale_f32 v17, s[8:9], v15, v15, v11
	v_rcp_f32_e32 v19, v17
	v_fma_f32 v25, -v17, v19, 1.0
	v_fmac_f32_e32 v19, v25, v19
	v_div_scale_f32 v25, vcc, v11, v15, v11
	v_mul_f32_e32 v26, v25, v19
	v_fma_f32 v27, -v17, v26, v25
	v_fmac_f32_e32 v26, v27, v19
	v_fma_f32 v17, -v17, v26, v25
	v_div_fmas_f32 v17, v17, v19, v26
	v_div_fixup_f32 v19, v17, v15, v11
.LBB38_139:
	s_or_b64 exec, exec, s[0:1]
	v_mov_b32_e32 v29, v23
	v_mov_b32_e32 v23, v19
.LBB38_140:
	s_or_b64 exec, exec, s[4:5]
                                        ; implicit-def: $vgpr15
                                        ; implicit-def: $vgpr11
                                        ; implicit-def: $vgpr26_vgpr27
.LBB38_141:
	s_andn2_saveexec_b64 s[2:3], s[2:3]
	s_cbranch_execz .LBB38_147
; %bb.142:
	v_fma_f32 v17, -v15, v11, v26
	v_mul_f32_e32 v15, v15, v27
	v_mul_f32_e32 v19, 4.0, v15
	v_add_f32_e32 v17, v27, v17
	v_mul_f32_e32 v19, v11, v19
	v_fmac_f32_e32 v19, v17, v17
	s_mov_b32 s0, 0xf800000
	v_mul_f32_e32 v23, 0x4f800000, v19
	v_cmp_gt_f32_e32 vcc, s0, v19
	v_cndmask_b32_e32 v19, v19, v23, vcc
	v_sqrt_f32_e32 v23, v19
	s_mov_b32 s4, 0
	v_add_u32_e32 v25, -1, v23
	v_fma_f32 v26, -v25, v23, v19
	v_cmp_ge_f32_e64 s[0:1], 0, v26
	v_add_u32_e32 v26, 1, v23
	v_cndmask_b32_e64 v25, v23, v25, s[0:1]
	v_fma_f32 v23, -v26, v23, v19
	v_cmp_lt_f32_e64 s[0:1], 0, v23
	v_cndmask_b32_e64 v23, v25, v26, s[0:1]
	v_mul_f32_e32 v25, 0x37800000, v23
	v_cndmask_b32_e32 v23, v23, v25, vcc
	v_mov_b32_e32 v25, 0x260
	v_cmp_class_f32_e32 vcc, v19, v25
	v_cndmask_b32_e32 v19, v23, v19, vcc
	v_cmp_ngt_f32_e32 vcc, 0, v17
                                        ; implicit-def: $vgpr23
	s_and_saveexec_b64 s[0:1], vcc
	s_xor_b64 s[0:1], exec, s[0:1]
	s_cbranch_execz .LBB38_144
; %bb.143:
	v_add_f32_e32 v15, v17, v19
	v_add_f32_e32 v11, v11, v11
	v_div_scale_f32 v17, s[8:9], v11, v11, v15
	v_rcp_f32_e32 v19, v17
	v_fma_f32 v23, -v17, v19, 1.0
	v_fmac_f32_e32 v19, v23, v19
	v_div_scale_f32 v23, vcc, v15, v11, v15
	v_mul_f32_e32 v25, v23, v19
	v_fma_f32 v26, -v17, v25, v23
	v_fmac_f32_e32 v25, v26, v19
	v_fma_f32 v17, -v17, v25, v23
	v_div_fmas_f32 v17, v17, v19, v25
	v_div_fixup_f32 v23, v17, v11, v15
                                        ; implicit-def: $vgpr15
                                        ; implicit-def: $vgpr19
                                        ; implicit-def: $vgpr17
.LBB38_144:
	s_or_saveexec_b64 s[0:1], s[0:1]
	v_mov_b32_e32 v11, s4
	s_xor_b64 exec, exec, s[0:1]
	s_cbranch_execz .LBB38_146
; %bb.145:
	v_add_f32_e32 v11, v15, v15
	v_sub_f32_e32 v15, v19, v17
	v_div_scale_f32 v17, s[4:5], v15, v15, v11
	v_rcp_f32_e32 v19, v17
	v_fma_f32 v23, -v17, v19, 1.0
	v_fmac_f32_e32 v19, v23, v19
	v_div_scale_f32 v23, vcc, v11, v15, v11
	v_mul_f32_e32 v25, v23, v19
	v_fma_f32 v26, -v17, v25, v23
	v_fmac_f32_e32 v25, v26, v19
	v_fma_f32 v17, -v17, v25, v23
	v_div_fmas_f32 v17, v17, v19, v25
	v_div_fixup_f32 v23, v17, v15, v11
	v_mov_b32_e32 v11, 0
.LBB38_146:
	s_or_b64 exec, exec, s[0:1]
	v_mov_b32_e32 v29, v28
	v_mov_b32_e32 v28, v11
.LBB38_147:
	s_or_b64 exec, exec, s[2:3]
	v_cmp_lt_i32_e64 s[0:1], 1, v24
	v_mov_b32_e32 v11, v10
	s_and_saveexec_b64 s[2:3], s[0:1]
	s_cbranch_execz .LBB38_156
; %bb.148:
	v_cmp_lt_u32_e32 vcc, 1, v22
	s_mov_b64 s[8:9], -1
	v_mov_b32_e32 v24, 0
	s_and_saveexec_b64 s[4:5], vcc
	s_cbranch_execz .LBB38_152
; %bb.149:
	v_and_b32_e32 v24, -2, v22
	v_mov_b32_e32 v11, v10
	s_mov_b64 s[8:9], 0
	v_mov_b32_e32 v15, v24
	v_pk_mov_b32 v[26:27], v[2:3], v[2:3] op_sel:[0,1]
.LBB38_150:                             ; =>This Inner Loop Header: Depth=1
	global_load_dwordx2 v[30:31], v[26:27], off
	v_add_u32_e32 v15, -2, v15
	v_cmp_eq_u32_e32 vcc, 0, v15
	s_or_b64 s[8:9], vcc, s[8:9]
	s_waitcnt vmcnt(0)
	v_pk_add_f32 v[30:31], v[30:31], v[10:11] neg_lo:[0,1] neg_hi:[0,1]
	global_store_dwordx2 v[26:27], v[30:31], off
	v_add_co_u32_e32 v26, vcc, 8, v26
	v_addc_co_u32_e32 v27, vcc, 0, v27, vcc
	s_andn2_b64 exec, exec, s[8:9]
	s_cbranch_execnz .LBB38_150
; %bb.151:
	s_or_b64 exec, exec, s[8:9]
	v_cmp_ne_u32_e32 vcc, v22, v24
	s_orn2_b64 s[8:9], vcc, exec
.LBB38_152:
	s_or_b64 exec, exec, s[4:5]
	s_and_saveexec_b64 s[4:5], s[8:9]
	s_cbranch_execz .LBB38_155
; %bb.153:
	v_sub_u32_e32 v11, v16, v24
	v_sub_u32_e32 v11, v11, v18
	v_mov_b32_e32 v15, s19
	v_add_co_u32_e32 v18, vcc, s18, v20
	v_mov_b32_e32 v25, 0
	v_addc_co_u32_e32 v15, vcc, v15, v21, vcc
	v_lshlrev_b64 v[16:17], 2, v[24:25]
	v_add_co_u32_e32 v16, vcc, v18, v16
	s_add_u32 s8, s14, s16
	v_addc_co_u32_e32 v15, vcc, v15, v17, vcc
	s_addc_u32 s9, s15, s17
	v_mov_b32_e32 v17, s9
	v_add_co_u32_e32 v16, vcc, s8, v16
	v_addc_co_u32_e32 v17, vcc, v17, v15, vcc
	s_mov_b64 s[8:9], 0
.LBB38_154:                             ; =>This Inner Loop Header: Depth=1
	global_load_dword v15, v[16:17], off
	v_add_u32_e32 v11, -1, v11
	v_cmp_eq_u32_e32 vcc, 0, v11
	s_or_b64 s[8:9], vcc, s[8:9]
	s_waitcnt vmcnt(0)
	v_sub_f32_e32 v15, v15, v10
	global_store_dword v[16:17], v15, off
	v_add_co_u32_e32 v16, vcc, 4, v16
	v_addc_co_u32_e32 v17, vcc, 0, v17, vcc
	s_andn2_b64 exec, exec, s[8:9]
	s_cbranch_execnz .LBB38_154
.LBB38_155:
	s_or_b64 exec, exec, s[4:5]
	global_load_dword v11, v[4:5], off
.LBB38_156:
	s_or_b64 exec, exec, s[2:3]
	s_waitcnt vmcnt(0)
	v_sub_f32_e32 v16, v11, v10
	v_mov_b32_e32 v11, 0
	v_mov_b32_e32 v15, 0
	;; [unrolled: 1-line block ×3, first 2 shown]
	global_store_dword v[4:5], v16, off
	s_and_saveexec_b64 s[2:3], s[0:1]
	s_cbranch_execz .LBB38_160
; %bb.157:
	s_mov_b64 s[4:5], 0
	v_mov_b32_e32 v11, 0
	v_pk_mov_b32 v[16:17], v[6:7], v[6:7] op_sel:[0,1]
	v_pk_mov_b32 v[20:21], v[2:3], v[2:3] op_sel:[0,1]
	v_mov_b32_e32 v19, v22
	v_mov_b32_e32 v15, 0
	;; [unrolled: 1-line block ×3, first 2 shown]
.LBB38_158:                             ; =>This Inner Loop Header: Depth=1
	global_load_dword v24, v[20:21], off
	v_add_u32_e32 v19, -1, v19
	v_cmp_eq_u32_e32 vcc, 0, v19
	s_or_b64 s[4:5], vcc, s[4:5]
	s_waitcnt vmcnt(0)
	v_sub_f32_e32 v24, v24, v23
	global_store_dword v[20:21], v24, off
	global_load_dword v25, v[16:17], off
	v_add_co_u32_e32 v20, vcc, 4, v20
	v_addc_co_u32_e32 v21, vcc, 0, v21, vcc
	v_add_co_u32_e32 v16, vcc, 4, v16
	v_addc_co_u32_e32 v17, vcc, 0, v17, vcc
	s_waitcnt vmcnt(0)
	v_div_scale_f32 v26, s[8:9], v24, v24, v25
	v_rcp_f32_e32 v27, v26
	v_div_scale_f32 v30, vcc, v25, v24, v25
	v_fma_f32 v31, -v26, v27, 1.0
	v_fmac_f32_e32 v27, v31, v27
	v_mul_f32_e32 v31, v30, v27
	v_fma_f32 v32, -v26, v31, v30
	v_fmac_f32_e32 v31, v32, v27
	v_fma_f32 v26, -v26, v31, v30
	v_div_fmas_f32 v26, v26, v27, v31
	v_div_fixup_f32 v24, v26, v24, v25
	v_fmac_f32_e32 v18, v25, v24
	v_fmac_f32_e32 v11, v24, v24
	v_add_f32_e32 v15, v15, v18
	s_andn2_b64 exec, exec, s[4:5]
	s_cbranch_execnz .LBB38_158
; %bb.159:
	s_or_b64 exec, exec, s[4:5]
	global_load_dword v16, v[4:5], off
.LBB38_160:
	s_or_b64 exec, exec, s[2:3]
	s_waitcnt vmcnt(0)
	v_sub_f32_e32 v16, v16, v23
	global_store_dword v[4:5], v16, off
	global_load_dword v20, v[12:13], off
	v_and_b32_e32 v24, 0x7fffffff, v15
	v_mov_b32_e32 v19, 0
	v_mov_b32_e32 v25, v14
	;; [unrolled: 1-line block ×3, first 2 shown]
	s_waitcnt vmcnt(0)
	v_div_scale_f32 v15, s[2:3], v16, v16, v20
	v_rcp_f32_e32 v21, v15
	v_div_scale_f32 v26, vcc, v20, v16, v20
	v_fma_f32 v27, -v15, v21, 1.0
	v_fmac_f32_e32 v21, v27, v21
	v_mul_f32_e32 v27, v26, v21
	v_fma_f32 v30, -v15, v27, v26
	v_fmac_f32_e32 v27, v30, v21
	v_fma_f32 v15, -v15, v27, v26
	v_div_fmas_f32 v15, v15, v21, v27
	v_div_fixup_f32 v21, v15, v16, v20
	v_mul_f32_e32 v15, v20, v21
	v_pk_add_f32 v[26:27], v[14:15], v[18:19]
	v_add_f32_e32 v15, v18, v27
	v_fma_f32 v20, v21, v21, v11
	v_mul_f32_e32 v15, 0xc1000000, v15
	v_fma_f32 v15, |v23|, v20, v15
	v_sub_f32_e32 v31, v15, v27
	v_mov_b32_e32 v30, v27
	v_pk_add_f32 v[24:25], v[24:25], v[30:31]
	v_add_f32_e32 v15, v24, v25
	v_add_f32_e32 v19, v26, v27
	v_mul_f32_e32 v15, s39, v15
	v_cmp_nle_f32_e64 s[2:3], |v19|, v15
	s_and_saveexec_b64 s[8:9], s[2:3]
	s_cbranch_execz .LBB38_202
; %bb.161:
	global_load_dword v24, v[8:9], off offset:-8
	v_mul_f32_e32 v15, v21, v21
	v_cmp_lt_f32_e32 vcc, 0, v19
	v_cmp_lt_f32_e64 s[2:3], v23, v29
	s_and_b64 s[2:3], s[2:3], vcc
	s_waitcnt vmcnt(0)
	v_fma_f32 v11, -v11, v24, v19
	v_fma_f32 v18, -v16, v15, v11
	v_cmp_neq_f32_e32 vcc, 0, v18
                                        ; implicit-def: $vgpr15
	s_and_saveexec_b64 s[4:5], vcc
	s_xor_b64 s[10:11], exec, s[4:5]
	s_cbranch_execz .LBB38_167
; %bb.162:
	v_mul_f32_e32 v15, v16, v24
	v_add_f32_e32 v11, v16, v24
	v_mul_f32_e32 v21, v20, v15
	v_fma_f32 v11, v19, v11, -v21
	v_mul_f32_e32 v21, v19, v15
	v_mul_f32_e32 v15, -4.0, v21
	v_mul_f32_e64 v15, v15, |v18|
	v_fmac_f32_e32 v15, v11, v11
	s_mov_b32 s4, 0xf800000
	s_mov_b32 s5, 0x4f800000
	v_mul_f32_e64 v24, |v15|, s5
	v_cmp_lt_f32_e64 vcc, |v15|, s4
	v_cndmask_b32_e64 v15, |v15|, v24, vcc
	v_sqrt_f32_e32 v24, v15
	v_add_u32_e32 v25, -1, v24
	v_fma_f32 v26, -v25, v24, v15
	v_cmp_ge_f32_e64 s[4:5], 0, v26
	v_add_u32_e32 v26, 1, v24
	v_cndmask_b32_e64 v25, v24, v25, s[4:5]
	v_fma_f32 v24, -v26, v24, v15
	v_cmp_lt_f32_e64 s[4:5], 0, v24
	v_cndmask_b32_e64 v24, v25, v26, s[4:5]
	v_mul_f32_e32 v25, 0x37800000, v24
	v_cndmask_b32_e32 v24, v24, v25, vcc
	v_mov_b32_e32 v25, 0x260
	v_cmp_class_f32_e32 vcc, v15, v25
	v_cndmask_b32_e32 v24, v24, v15, vcc
	v_cmp_le_f32_e32 vcc, 0, v11
                                        ; implicit-def: $vgpr15
	s_and_saveexec_b64 s[4:5], vcc
	s_xor_b64 s[4:5], exec, s[4:5]
	s_cbranch_execz .LBB38_164
; %bb.163:
	v_add_f32_e32 v11, v11, v24
	v_add_f32_e64 v15, |v18|, |v18|
	v_div_scale_f32 v18, s[12:13], v15, v15, v11
	v_rcp_f32_e32 v21, v18
	v_fma_f32 v24, -v18, v21, 1.0
	v_fmac_f32_e32 v21, v24, v21
	v_div_scale_f32 v24, vcc, v11, v15, v11
	v_mul_f32_e32 v25, v24, v21
	v_fma_f32 v26, -v18, v25, v24
	v_fmac_f32_e32 v25, v26, v21
	v_fma_f32 v18, -v18, v25, v24
	v_div_fmas_f32 v18, v18, v21, v25
	v_div_fixup_f32 v15, v18, v15, v11
                                        ; implicit-def: $vgpr21
                                        ; implicit-def: $vgpr11
                                        ; implicit-def: $vgpr24
.LBB38_164:
	s_andn2_saveexec_b64 s[4:5], s[4:5]
	s_cbranch_execz .LBB38_166
; %bb.165:
	v_add_f32_e32 v15, v21, v21
	v_sub_f32_e32 v11, v11, v24
	v_div_scale_f32 v18, s[12:13], v11, v11, v15
	v_rcp_f32_e32 v21, v18
	v_fma_f32 v24, -v18, v21, 1.0
	v_fmac_f32_e32 v21, v24, v21
	v_div_scale_f32 v24, vcc, v15, v11, v15
	v_mul_f32_e32 v25, v24, v21
	v_fma_f32 v26, -v18, v25, v24
	v_fmac_f32_e32 v25, v26, v21
	v_fma_f32 v18, -v18, v25, v24
	v_div_fmas_f32 v18, v18, v21, v25
	v_div_fixup_f32 v15, v18, v11, v15
.LBB38_166:
	s_or_b64 exec, exec, s[4:5]
.LBB38_167:
	s_or_saveexec_b64 s[4:5], s[10:11]
	v_cndmask_b32_e64 v11, v29, v23, s[2:3]
	s_xor_b64 exec, exec, s[4:5]
; %bb.168:
	v_sub_f32_e32 v15, v11, v23
; %bb.169:
	s_or_b64 exec, exec, s[4:5]
	v_mul_f32_e32 v18, v19, v15
	v_cmp_lt_f32_e32 vcc, 0, v18
	s_and_saveexec_b64 s[2:3], vcc
; %bb.170:
	v_div_scale_f32 v15, s[4:5], v20, v20, -v19
	v_rcp_f32_e32 v18, v15
	v_div_scale_f32 v21, vcc, -v19, v20, -v19
	v_fma_f32 v24, -v15, v18, 1.0
	v_fmac_f32_e32 v18, v24, v18
	v_mul_f32_e32 v24, v21, v18
	v_fma_f32 v25, -v15, v24, v21
	v_fmac_f32_e32 v24, v25, v18
	v_fma_f32 v15, -v15, v24, v21
	v_div_fmas_f32 v15, v15, v18, v24
	v_div_fixup_f32 v15, v15, v20, -v19
; %bb.171:
	s_or_b64 exec, exec, s[2:3]
	v_cmp_lt_f32_e32 vcc, v28, v23
	v_cndmask_b32_e32 v18, v28, v23, vcc
	v_cmp_nge_f32_e32 vcc, 0, v19
	v_cndmask_b32_e32 v26, v18, v28, vcc
	v_add_f32_e32 v18, v23, v15
	v_cmp_gt_f32_e32 vcc, v18, v11
	v_cmp_lt_f32_e64 s[2:3], v18, v26
	s_or_b64 s[4:5], vcc, s[2:3]
	s_and_saveexec_b64 s[2:3], s[4:5]
	s_cbranch_execz .LBB38_177
; %bb.172:
	v_cmp_ngt_f32_e32 vcc, 0, v19
                                        ; implicit-def: $vgpr15
	s_and_saveexec_b64 s[4:5], vcc
	s_xor_b64 s[4:5], exec, s[4:5]
; %bb.173:
	v_sub_f32_e32 v15, v26, v23
	v_mul_f32_e32 v15, 0.5, v15
; %bb.174:
	s_andn2_saveexec_b64 s[4:5], s[4:5]
; %bb.175:
	v_sub_f32_e32 v15, v11, v23
	v_mul_f32_e32 v15, 0.5, v15
; %bb.176:
	s_or_b64 exec, exec, s[4:5]
.LBB38_177:
	s_or_b64 exec, exec, s[2:3]
	v_mov_b32_e32 v28, 0
	v_mov_b32_e32 v19, 0
	;; [unrolled: 1-line block ×3, first 2 shown]
	s_and_saveexec_b64 s[2:3], s[0:1]
	s_cbranch_execz .LBB38_181
; %bb.178:
	s_mov_b64 s[4:5], 0
	v_mov_b32_e32 v28, 0
	v_pk_mov_b32 v[20:21], v[6:7], v[6:7] op_sel:[0,1]
	v_pk_mov_b32 v[24:25], v[2:3], v[2:3] op_sel:[0,1]
	v_mov_b32_e32 v16, v22
	v_mov_b32_e32 v19, 0
	;; [unrolled: 1-line block ×3, first 2 shown]
.LBB38_179:                             ; =>This Inner Loop Header: Depth=1
	global_load_dword v27, v[24:25], off
	v_add_u32_e32 v16, -1, v16
	v_cmp_eq_u32_e32 vcc, 0, v16
	s_or_b64 s[4:5], vcc, s[4:5]
	s_waitcnt vmcnt(0)
	v_sub_f32_e32 v27, v27, v15
	global_store_dword v[24:25], v27, off
	global_load_dword v29, v[20:21], off
	v_add_co_u32_e32 v24, vcc, 4, v24
	v_addc_co_u32_e32 v25, vcc, 0, v25, vcc
	v_add_co_u32_e32 v20, vcc, 4, v20
	v_addc_co_u32_e32 v21, vcc, 0, v21, vcc
	s_waitcnt vmcnt(0)
	v_div_scale_f32 v30, s[10:11], v27, v27, v29
	v_rcp_f32_e32 v31, v30
	v_div_scale_f32 v32, vcc, v29, v27, v29
	v_fma_f32 v33, -v30, v31, 1.0
	v_fmac_f32_e32 v31, v33, v31
	v_mul_f32_e32 v33, v32, v31
	v_fma_f32 v34, -v30, v33, v32
	v_fmac_f32_e32 v33, v34, v31
	v_fma_f32 v30, -v30, v33, v32
	v_div_fmas_f32 v30, v30, v31, v33
	v_div_fixup_f32 v27, v30, v27, v29
	v_fmac_f32_e32 v18, v29, v27
	v_fmac_f32_e32 v28, v27, v27
	v_add_f32_e32 v19, v19, v18
	s_andn2_b64 exec, exec, s[4:5]
	s_cbranch_execnz .LBB38_179
; %bb.180:
	s_or_b64 exec, exec, s[4:5]
	global_load_dword v16, v[4:5], off
.LBB38_181:
	s_or_b64 exec, exec, s[2:3]
	s_waitcnt vmcnt(0)
	v_sub_f32_e32 v20, v16, v15
	global_store_dword v[4:5], v20, off
	global_load_dword v24, v[12:13], off
	v_add_f32_e32 v23, v23, v15
	v_and_b32_e32 v16, 0x7fffffff, v19
	v_mov_b32_e32 v19, 0
	s_waitcnt vmcnt(0)
	v_div_scale_f32 v15, s[2:3], v20, v20, v24
	v_rcp_f32_e32 v21, v15
	v_div_scale_f32 v25, vcc, v24, v20, v24
	v_fma_f32 v27, -v15, v21, 1.0
	v_fmac_f32_e32 v21, v27, v21
	v_mul_f32_e32 v27, v25, v21
	v_fma_f32 v29, -v15, v27, v25
	v_fmac_f32_e32 v27, v29, v21
	v_fma_f32 v15, -v15, v27, v25
	v_div_fmas_f32 v15, v15, v21, v27
	v_div_fixup_f32 v21, v15, v20, v24
	v_mul_f32_e32 v15, v24, v21
	v_pk_add_f32 v[24:25], v[14:15], v[18:19]
	v_add_f32_e32 v18, v18, v25
	v_fma_f32 v27, v21, v21, v28
	v_mul_f32_e32 v18, 0xc1000000, v18
	v_fma_f32 v18, |v23|, v27, v18
	v_sub_f32_e32 v31, v18, v25
	v_mov_b32_e32 v30, v25
	v_add_f32_e32 v15, v24, v25
	v_pk_add_f32 v[24:25], v[16:17], v[30:31]
	v_add_f32_e32 v16, v24, v25
	v_mul_f32_e32 v16, s39, v16
	v_cmp_nle_f32_e64 s[2:3], |v15|, v16
	s_and_saveexec_b64 s[4:5], s[2:3]
	s_cbranch_execz .LBB38_201
; %bb.182:
	v_mul_f32_e32 v21, v21, v21
	s_mov_b32 s16, 1
	s_mov_b64 s[10:11], 0
	s_mov_b32 s14, 0xf800000
	s_mov_b32 s15, 0x4f800000
	v_mov_b32_e32 v27, 0x260
	s_branch .LBB38_184
.LBB38_183:                             ;   in Loop: Header=BB38_184 Depth=1
	s_or_b64 exec, exec, s[2:3]
	s_waitcnt vmcnt(0)
	v_sub_f32_e32 v20, v20, v16
	global_store_dword v[4:5], v20, off
	global_load_dword v21, v[12:13], off
	v_add_f32_e32 v23, v23, v16
	v_and_b32_e32 v16, 0x7fffffff, v15
	s_add_i32 s12, s16, 1
	s_cmp_gt_u32 s16, 48
	s_mov_b32 s16, s12
	s_waitcnt vmcnt(0)
	v_div_scale_f32 v15, s[2:3], v20, v20, v21
	v_rcp_f32_e32 v24, v15
	v_div_scale_f32 v25, vcc, v21, v20, v21
	s_cselect_b64 s[2:3], -1, 0
	v_fma_f32 v29, -v15, v24, 1.0
	v_fmac_f32_e32 v24, v29, v24
	v_mul_f32_e32 v29, v25, v24
	v_fma_f32 v30, -v15, v29, v25
	v_fmac_f32_e32 v29, v30, v24
	v_fma_f32 v15, -v15, v29, v25
	v_div_fmas_f32 v15, v15, v24, v29
	v_div_fixup_f32 v24, v15, v20, v21
	v_mul_f32_e32 v15, v21, v24
	v_mul_f32_e32 v21, v24, v24
	v_fma_f32 v29, v24, v24, v28
	v_pk_add_f32 v[24:25], v[14:15], v[18:19]
	v_add_f32_e32 v18, v18, v25
	v_mul_f32_e32 v18, 0xc1000000, v18
	v_fma_f32 v18, |v23|, v29, v18
	v_add_f32_e32 v15, v24, v25
	v_mov_b32_e32 v24, v25
	v_sub_f32_e32 v25, v18, v25
	v_pk_add_f32 v[24:25], v[16:17], v[24:25]
	v_add_f32_e32 v16, v24, v25
	v_and_b32_e32 v18, 0x7fffffff, v15
	v_mul_f32_e32 v16, s39, v16
	v_cmp_le_f32_e32 vcc, v18, v16
	s_or_b64 s[2:3], s[2:3], vcc
	s_and_b64 s[2:3], exec, s[2:3]
	s_or_b64 s[10:11], s[2:3], s[10:11]
	s_andn2_b64 exec, exec, s[10:11]
	s_cbranch_execz .LBB38_200
.LBB38_184:                             ; =>This Loop Header: Depth=1
                                        ;     Child Loop BB38_198 Depth 2
	global_load_dword v16, v[8:9], off offset:-8
	v_add_f32_e32 v18, v21, v28
	s_waitcnt vmcnt(0)
	v_fma_f32 v24, -v28, v16, v15
	v_add_f32_e32 v28, v20, v16
	v_mul_f32_e32 v16, v20, v16
	v_fma_f32 v25, -v20, v21, v24
	v_mul_f32_e32 v24, v15, v16
	v_mul_f32_e32 v21, v18, v16
	v_mul_f32_e32 v16, -4.0, v24
	v_fma_f32 v21, v15, v28, -v21
	v_mul_f32_e32 v16, v16, v25
	v_fmac_f32_e32 v16, v21, v21
	v_mul_f32_e64 v28, |v16|, s15
	v_cmp_lt_f32_e64 vcc, |v16|, s14
	v_cndmask_b32_e64 v16, |v16|, v28, vcc
	v_sqrt_f32_e32 v28, v16
	v_add_u32_e32 v29, -1, v28
	v_add_u32_e32 v30, 1, v28
	v_fma_f32 v31, -v29, v28, v16
	v_fma_f32 v32, -v30, v28, v16
	v_cmp_ge_f32_e64 s[2:3], 0, v31
	v_cndmask_b32_e64 v28, v28, v29, s[2:3]
	v_cmp_lt_f32_e64 s[2:3], 0, v32
	v_cndmask_b32_e64 v28, v28, v30, s[2:3]
	v_mul_f32_e32 v29, 0x37800000, v28
	v_cndmask_b32_e32 v28, v28, v29, vcc
	v_cmp_class_f32_e32 vcc, v16, v27
	v_cndmask_b32_e32 v28, v28, v16, vcc
	v_cmp_le_f32_e32 vcc, 0, v21
                                        ; implicit-def: $vgpr16
	s_and_saveexec_b64 s[2:3], vcc
	s_xor_b64 s[2:3], exec, s[2:3]
	s_cbranch_execz .LBB38_186
; %bb.185:                              ;   in Loop: Header=BB38_184 Depth=1
	v_add_f32_e32 v16, v21, v28
	v_add_f32_e32 v21, v25, v25
	v_div_scale_f32 v24, s[12:13], v21, v21, v16
	v_rcp_f32_e32 v25, v24
	v_fma_f32 v28, -v24, v25, 1.0
	v_fmac_f32_e32 v25, v28, v25
	v_div_scale_f32 v28, vcc, v16, v21, v16
	v_mul_f32_e32 v29, v28, v25
	v_fma_f32 v30, -v24, v29, v28
	v_fmac_f32_e32 v29, v30, v25
	v_fma_f32 v24, -v24, v29, v28
	v_div_fmas_f32 v24, v24, v25, v29
	v_div_fixup_f32 v16, v24, v21, v16
                                        ; implicit-def: $vgpr24
                                        ; implicit-def: $vgpr21
                                        ; implicit-def: $vgpr28
.LBB38_186:                             ;   in Loop: Header=BB38_184 Depth=1
	s_andn2_saveexec_b64 s[2:3], s[2:3]
	s_cbranch_execz .LBB38_188
; %bb.187:                              ;   in Loop: Header=BB38_184 Depth=1
	v_add_f32_e32 v16, v24, v24
	v_sub_f32_e32 v21, v21, v28
	v_div_scale_f32 v24, s[12:13], v21, v21, v16
	v_rcp_f32_e32 v25, v24
	v_fma_f32 v28, -v24, v25, 1.0
	v_fmac_f32_e32 v25, v28, v25
	v_div_scale_f32 v28, vcc, v16, v21, v16
	v_mul_f32_e32 v29, v28, v25
	v_fma_f32 v30, -v24, v29, v28
	v_fmac_f32_e32 v29, v30, v25
	v_fma_f32 v24, -v24, v29, v28
	v_div_fmas_f32 v24, v24, v25, v29
	v_div_fixup_f32 v16, v24, v21, v16
.LBB38_188:                             ;   in Loop: Header=BB38_184 Depth=1
	s_or_b64 exec, exec, s[2:3]
	v_mul_f32_e32 v21, v15, v16
	v_cmp_lt_f32_e32 vcc, 0, v21
	s_and_saveexec_b64 s[2:3], vcc
; %bb.189:                              ;   in Loop: Header=BB38_184 Depth=1
	v_div_scale_f32 v16, s[12:13], v18, v18, -v15
	v_rcp_f32_e32 v21, v16
	v_div_scale_f32 v24, vcc, -v15, v18, -v15
	v_fma_f32 v25, -v16, v21, 1.0
	v_fmac_f32_e32 v21, v25, v21
	v_mul_f32_e32 v25, v24, v21
	v_fma_f32 v28, -v16, v25, v24
	v_fmac_f32_e32 v25, v28, v21
	v_fma_f32 v16, -v16, v25, v24
	v_div_fmas_f32 v16, v16, v21, v25
	v_div_fixup_f32 v16, v16, v18, -v15
; %bb.190:                              ;   in Loop: Header=BB38_184 Depth=1
	s_or_b64 exec, exec, s[2:3]
	v_cmp_lt_f32_e32 vcc, v26, v23
	v_cndmask_b32_e32 v18, v26, v23, vcc
	v_cmp_nge_f32_e32 vcc, 0, v15
	v_cndmask_b32_e32 v26, v18, v26, vcc
	v_cmp_lt_f32_e32 vcc, 0, v15
	v_cmp_lt_f32_e64 s[2:3], v23, v11
	s_and_b64 vcc, vcc, s[2:3]
	v_cndmask_b32_e32 v11, v11, v23, vcc
	v_add_f32_e32 v18, v23, v16
	v_cmp_gt_f32_e32 vcc, v18, v11
	v_cmp_lt_f32_e64 s[2:3], v18, v26
	s_or_b64 s[12:13], vcc, s[2:3]
	s_and_saveexec_b64 s[2:3], s[12:13]
	s_cbranch_execz .LBB38_196
; %bb.191:                              ;   in Loop: Header=BB38_184 Depth=1
	v_cmp_ngt_f32_e32 vcc, 0, v15
                                        ; implicit-def: $vgpr16
	s_and_saveexec_b64 s[12:13], vcc
	s_xor_b64 s[12:13], exec, s[12:13]
; %bb.192:                              ;   in Loop: Header=BB38_184 Depth=1
	v_sub_f32_e32 v15, v26, v23
	v_mul_f32_e32 v16, 0.5, v15
; %bb.193:                              ;   in Loop: Header=BB38_184 Depth=1
	s_andn2_saveexec_b64 s[12:13], s[12:13]
; %bb.194:                              ;   in Loop: Header=BB38_184 Depth=1
	v_sub_f32_e32 v15, v11, v23
	v_mul_f32_e32 v16, 0.5, v15
; %bb.195:                              ;   in Loop: Header=BB38_184 Depth=1
	s_or_b64 exec, exec, s[12:13]
.LBB38_196:                             ;   in Loop: Header=BB38_184 Depth=1
	s_or_b64 exec, exec, s[2:3]
	v_mov_b32_e32 v28, 0
	v_mov_b32_e32 v15, 0
	;; [unrolled: 1-line block ×3, first 2 shown]
	s_and_saveexec_b64 s[2:3], s[0:1]
	s_cbranch_execz .LBB38_183
; %bb.197:                              ;   in Loop: Header=BB38_184 Depth=1
	v_mov_b32_e32 v28, 0
	s_mov_b64 s[12:13], 0
	v_pk_mov_b32 v[20:21], v[6:7], v[6:7] op_sel:[0,1]
	v_pk_mov_b32 v[24:25], v[2:3], v[2:3] op_sel:[0,1]
	v_mov_b32_e32 v29, v22
	v_mov_b32_e32 v15, 0
	;; [unrolled: 1-line block ×3, first 2 shown]
.LBB38_198:                             ;   Parent Loop BB38_184 Depth=1
                                        ; =>  This Inner Loop Header: Depth=2
	global_load_dword v30, v[24:25], off
	v_add_u32_e32 v29, -1, v29
	v_cmp_eq_u32_e32 vcc, 0, v29
	s_or_b64 s[12:13], vcc, s[12:13]
	s_waitcnt vmcnt(0)
	v_sub_f32_e32 v30, v30, v16
	global_store_dword v[24:25], v30, off
	global_load_dword v31, v[20:21], off
	v_add_co_u32_e32 v24, vcc, 4, v24
	v_addc_co_u32_e32 v25, vcc, 0, v25, vcc
	v_add_co_u32_e32 v20, vcc, 4, v20
	v_addc_co_u32_e32 v21, vcc, 0, v21, vcc
	s_waitcnt vmcnt(0)
	v_div_scale_f32 v32, s[18:19], v30, v30, v31
	v_rcp_f32_e32 v33, v32
	v_div_scale_f32 v34, vcc, v31, v30, v31
	v_fma_f32 v35, -v32, v33, 1.0
	v_fmac_f32_e32 v33, v35, v33
	v_mul_f32_e32 v35, v34, v33
	v_fma_f32 v37, -v32, v35, v34
	v_fmac_f32_e32 v35, v37, v33
	v_fma_f32 v32, -v32, v35, v34
	v_div_fmas_f32 v32, v32, v33, v35
	v_div_fixup_f32 v30, v32, v30, v31
	v_fmac_f32_e32 v18, v31, v30
	v_fmac_f32_e32 v28, v30, v30
	v_add_f32_e32 v15, v15, v18
	s_andn2_b64 exec, exec, s[12:13]
	s_cbranch_execnz .LBB38_198
; %bb.199:                              ;   in Loop: Header=BB38_184 Depth=1
	s_or_b64 exec, exec, s[12:13]
	global_load_dword v20, v[4:5], off
	s_branch .LBB38_183
.LBB38_200:
	s_or_b64 exec, exec, s[10:11]
.LBB38_201:
	s_or_b64 exec, exec, s[4:5]
.LBB38_202:
	s_or_b64 exec, exec, s[8:9]
	v_add_f32_e32 v35, v10, v23
.LBB38_203:
	s_or_b64 exec, exec, s[6:7]
	v_mov_b32_e32 v2, s38
	v_add_co_u32_e32 v0, vcc, s33, v0
	v_addc_co_u32_e32 v1, vcc, v2, v1, vcc
	s_waitcnt vmcnt(1)
	v_cmp_gt_f32_e32 vcc, 0, v36
	global_store_dword v[0:1], v35, off
	s_and_b64 exec, exec, vcc
	s_cbranch_execz .LBB38_205
; %bb.204:
	v_xor_b32_e32 v2, 0x80000000, v35
	global_store_dword v[0:1], v2, off
.LBB38_205:
	s_endpgm
	.section	.rodata,"a",@progbits
	.p2align	6, 0x0
	.amdhsa_kernel _ZN9rocsolver6v33100L30stedc_mergeValues_Solve_kernelIfEEviiPT_lS3_lS3_S3_PiS2_S2_S2_
		.amdhsa_group_segment_fixed_size 0
		.amdhsa_private_segment_fixed_size 0
		.amdhsa_kernarg_size 336
		.amdhsa_user_sgpr_count 6
		.amdhsa_user_sgpr_private_segment_buffer 1
		.amdhsa_user_sgpr_dispatch_ptr 0
		.amdhsa_user_sgpr_queue_ptr 0
		.amdhsa_user_sgpr_kernarg_segment_ptr 1
		.amdhsa_user_sgpr_dispatch_id 0
		.amdhsa_user_sgpr_flat_scratch_init 0
		.amdhsa_user_sgpr_kernarg_preload_length 0
		.amdhsa_user_sgpr_kernarg_preload_offset 0
		.amdhsa_user_sgpr_private_segment_size 0
		.amdhsa_uses_dynamic_stack 0
		.amdhsa_system_sgpr_private_segment_wavefront_offset 0
		.amdhsa_system_sgpr_workgroup_id_x 1
		.amdhsa_system_sgpr_workgroup_id_y 1
		.amdhsa_system_sgpr_workgroup_id_z 0
		.amdhsa_system_sgpr_workgroup_info 0
		.amdhsa_system_vgpr_workitem_id 0
		.amdhsa_next_free_vgpr 49
		.amdhsa_next_free_sgpr 45
		.amdhsa_accum_offset 52
		.amdhsa_reserve_vcc 1
		.amdhsa_reserve_flat_scratch 0
		.amdhsa_float_round_mode_32 0
		.amdhsa_float_round_mode_16_64 0
		.amdhsa_float_denorm_mode_32 3
		.amdhsa_float_denorm_mode_16_64 3
		.amdhsa_dx10_clamp 1
		.amdhsa_ieee_mode 1
		.amdhsa_fp16_overflow 0
		.amdhsa_tg_split 0
		.amdhsa_exception_fp_ieee_invalid_op 0
		.amdhsa_exception_fp_denorm_src 0
		.amdhsa_exception_fp_ieee_div_zero 0
		.amdhsa_exception_fp_ieee_overflow 0
		.amdhsa_exception_fp_ieee_underflow 0
		.amdhsa_exception_fp_ieee_inexact 0
		.amdhsa_exception_int_div_zero 0
	.end_amdhsa_kernel
	.section	.text._ZN9rocsolver6v33100L30stedc_mergeValues_Solve_kernelIfEEviiPT_lS3_lS3_S3_PiS2_S2_S2_,"axG",@progbits,_ZN9rocsolver6v33100L30stedc_mergeValues_Solve_kernelIfEEviiPT_lS3_lS3_S3_PiS2_S2_S2_,comdat
.Lfunc_end38:
	.size	_ZN9rocsolver6v33100L30stedc_mergeValues_Solve_kernelIfEEviiPT_lS3_lS3_S3_PiS2_S2_S2_, .Lfunc_end38-_ZN9rocsolver6v33100L30stedc_mergeValues_Solve_kernelIfEEviiPT_lS3_lS3_S3_PiS2_S2_S2_
                                        ; -- End function
	.section	.AMDGPU.csdata,"",@progbits
; Kernel info:
; codeLenInByte = 11476
; NumSgprs: 49
; NumVgprs: 49
; NumAgprs: 0
; TotalNumVgprs: 49
; ScratchSize: 0
; MemoryBound: 0
; FloatMode: 240
; IeeeMode: 1
; LDSByteSize: 0 bytes/workgroup (compile time only)
; SGPRBlocks: 6
; VGPRBlocks: 6
; NumSGPRsForWavesPerEU: 49
; NumVGPRsForWavesPerEU: 49
; AccumOffset: 52
; Occupancy: 8
; WaveLimiterHint : 1
; COMPUTE_PGM_RSRC2:SCRATCH_EN: 0
; COMPUTE_PGM_RSRC2:USER_SGPR: 6
; COMPUTE_PGM_RSRC2:TRAP_HANDLER: 0
; COMPUTE_PGM_RSRC2:TGID_X_EN: 1
; COMPUTE_PGM_RSRC2:TGID_Y_EN: 1
; COMPUTE_PGM_RSRC2:TGID_Z_EN: 0
; COMPUTE_PGM_RSRC2:TIDIG_COMP_CNT: 0
; COMPUTE_PGM_RSRC3_GFX90A:ACCUM_OFFSET: 12
; COMPUTE_PGM_RSRC3_GFX90A:TG_SPLIT: 0
	.section	.text._ZN9rocsolver6v33100L32stedc_mergeValues_Rescale_kernelIfEEviiPT_lS3_lS3_S3_PiS2_S2_S2_,"axG",@progbits,_ZN9rocsolver6v33100L32stedc_mergeValues_Rescale_kernelIfEEviiPT_lS3_lS3_S3_PiS2_S2_S2_,comdat
	.globl	_ZN9rocsolver6v33100L32stedc_mergeValues_Rescale_kernelIfEEviiPT_lS3_lS3_S3_PiS2_S2_S2_ ; -- Begin function _ZN9rocsolver6v33100L32stedc_mergeValues_Rescale_kernelIfEEviiPT_lS3_lS3_S3_PiS2_S2_S2_
	.p2align	8
	.type	_ZN9rocsolver6v33100L32stedc_mergeValues_Rescale_kernelIfEEviiPT_lS3_lS3_S3_PiS2_S2_S2_,@function
_ZN9rocsolver6v33100L32stedc_mergeValues_Rescale_kernelIfEEviiPT_lS3_lS3_S3_PiS2_S2_S2_: ; @_ZN9rocsolver6v33100L32stedc_mergeValues_Rescale_kernelIfEEviiPT_lS3_lS3_S3_PiS2_S2_S2_
; %bb.0:
	s_load_dword s12, s[4:5], 0x4
	s_load_dwordx2 s[2:3], s[4:5], 0x38
	s_mov_b32 s0, s7
	s_waitcnt lgkmcnt(0)
	s_mul_i32 s16, s7, s12
	s_mul_i32 s8, s16, 13
	s_ashr_i32 s9, s8, 31
	s_ashr_i32 s13, s12, 31
	s_lshl_b64 s[8:9], s[8:9], 2
	s_add_u32 s1, s2, s8
	s_mul_i32 s2, s12, 6
	s_addc_u32 s7, s3, s9
	s_ashr_i32 s3, s2, 31
	s_lshl_b64 s[2:3], s[2:3], 2
	s_add_u32 s1, s1, s2
	s_addc_u32 s11, s7, s3
	s_ashr_i32 s7, s6, 31
	s_lshl_b64 s[8:9], s[12:13], 2
	s_lshl_b64 s[2:3], s[6:7], 2
	s_add_u32 s10, s1, s2
	s_addc_u32 s11, s11, s3
	s_add_u32 s8, s10, s8
	s_addc_u32 s9, s11, s9
	s_load_dword s13, s[10:11], 0x0
	s_load_dword s17, s[8:9], 0x0
	s_waitcnt lgkmcnt(0)
	s_sub_i32 s1, s6, s13
	s_cmp_ge_i32 s1, s17
	s_cbranch_scc1 .LBB39_17
; %bb.1:
	s_load_dwordx4 s[8:11], s[4:5], 0x28
	v_cmp_le_i32_e32 vcc, s17, v0
                                        ; implicit-def: $sgpr7
                                        ; implicit-def: $sgpr1
	s_and_saveexec_b64 s[14:15], vcc
	s_xor_b64 s[14:15], exec, s[14:15]
	s_cbranch_execz .LBB39_3
; %bb.2:
	s_load_dword s1, s[4:5], 0x5c
	s_mov_b32 s7, 1.0
.LBB39_3:
	s_or_saveexec_b64 s[14:15], s[14:15]
	v_mov_b32_e32 v1, s7
	s_waitcnt lgkmcnt(0)
	v_mov_b32_e32 v3, s1
	s_xor_b64 exec, exec, s[14:15]
	s_cbranch_execz .LBB39_9
; %bb.4:
	s_load_dwordx4 s[20:23], s[4:5], 0x8
	s_load_dword s18, s[4:5], 0x5c
	s_ashr_i32 s1, s0, 31
	v_add_u32_e32 v1, s13, v0
	v_mul_lo_u32 v1, s12, v1
	s_waitcnt lgkmcnt(0)
	s_mul_i32 s4, s0, s23
	s_mul_hi_u32 s5, s0, s22
	s_mul_i32 s1, s1, s22
	s_add_i32 s4, s5, s4
	s_add_i32 s1, s4, s1
	s_mul_i32 s0, s0, s22
	s_lshl_b64 s[0:1], s[0:1], 2
	s_add_u32 s19, s20, s0
	s_mul_i32 s0, s16, s12
	s_addc_u32 s20, s21, s1
	s_lshl_b32 s0, s0, 1
	s_ashr_i32 s1, s0, 31
	s_lshl_b64 s[0:1], s[0:1], 2
	s_add_u32 s4, s10, s0
	s_addc_u32 s5, s11, s1
	s_mul_i32 s0, s12, s12
	s_mov_b32 s1, 0
	s_lshl_b64 s[0:1], s[0:1], 2
	s_add_u32 s10, s4, s0
	s_addc_u32 s7, s5, s1
	s_add_u32 s0, s19, s2
	s_addc_u32 s1, s20, s3
	s_and_b32 s11, s18, 0xffff
	v_add_u32_e32 v1, s6, v1
	s_sub_i32 s21, s13, s6
	v_subrev_u32_e32 v2, s13, v1
	s_mul_i32 s22, s12, s11
	s_mov_b64 s[4:5], 0
	v_mov_b32_e32 v1, 1.0
	v_mov_b32_e32 v4, s7
	v_mov_b32_e32 v5, v0
	s_branch .LBB39_6
.LBB39_5:                               ;   in Loop: Header=BB39_6 Depth=1
	s_or_b64 exec, exec, s[6:7]
	v_add_u32_e32 v5, s11, v5
	v_cmp_le_i32_e32 vcc, s17, v5
	s_waitcnt vmcnt(0)
	v_mul_f32_e32 v1, v1, v3
	s_or_b64 s[4:5], vcc, s[4:5]
	v_add_u32_e32 v2, s22, v2
	s_andn2_b64 exec, exec, s[4:5]
	s_cbranch_execz .LBB39_8
.LBB39_6:                               ; =>This Inner Loop Header: Depth=1
	v_ashrrev_i32_e32 v3, 31, v2
	v_lshlrev_b64 v[6:7], 2, v[2:3]
	v_add_co_u32_e32 v6, vcc, s10, v6
	v_addc_co_u32_e32 v7, vcc, v4, v7, vcc
	global_load_dword v3, v[6:7], off
	v_add_u32_e32 v6, s21, v5
	v_cmp_ne_u32_e32 vcc, 0, v6
	s_and_saveexec_b64 s[6:7], vcc
	s_cbranch_execz .LBB39_5
; %bb.7:                                ;   in Loop: Header=BB39_6 Depth=1
	v_add_u32_e32 v6, s13, v5
	v_ashrrev_i32_e32 v7, 31, v6
	v_lshlrev_b64 v[6:7], 2, v[6:7]
	v_mov_b32_e32 v8, s20
	v_add_co_u32_e32 v6, vcc, s19, v6
	v_addc_co_u32_e32 v7, vcc, v8, v7, vcc
	global_load_dword v6, v[6:7], off
	s_load_dword s23, s[0:1], 0x0
	s_waitcnt vmcnt(0) lgkmcnt(0)
	v_sub_f32_e32 v6, s23, v6
	v_div_scale_f32 v7, s[24:25], v6, v6, v3
	v_rcp_f32_e32 v8, v7
	v_div_scale_f32 v9, vcc, v3, v6, v3
	v_fma_f32 v10, -v7, v8, 1.0
	v_fmac_f32_e32 v8, v10, v8
	v_mul_f32_e32 v10, v9, v8
	v_fma_f32 v11, -v7, v10, v9
	v_fmac_f32_e32 v10, v11, v8
	v_fma_f32 v7, -v7, v10, v9
	v_div_fmas_f32 v7, v7, v8, v10
	v_div_fixup_f32 v3, v7, v6, v3
	s_branch .LBB39_5
.LBB39_8:
	s_or_b64 exec, exec, s[4:5]
	v_mov_b32_e32 v3, s18
.LBB39_9:
	s_or_b64 exec, exec, s[14:15]
	v_lshlrev_b32_e32 v2, 2, v0
	v_cmp_lt_u16_e32 vcc, 1, v3
	ds_write_b32 v2, v1
	s_waitcnt lgkmcnt(0)
	s_barrier
	s_and_saveexec_b64 s[0:1], vcc
	s_cbranch_execz .LBB39_15
; %bb.10:
	v_lshrrev_b16_e32 v3, 1, v3
	s_mov_b64 s[4:5], 0
	s_branch .LBB39_12
.LBB39_11:                              ;   in Loop: Header=BB39_12 Depth=1
	s_or_b64 exec, exec, s[6:7]
	v_lshrrev_b32_e32 v4, 1, v3
	v_cmp_gt_u32_e32 vcc, 2, v3
	s_or_b64 s[4:5], vcc, s[4:5]
	v_mov_b32_e32 v3, v4
	s_waitcnt lgkmcnt(0)
	s_barrier
	s_andn2_b64 exec, exec, s[4:5]
	s_cbranch_execz .LBB39_14
.LBB39_12:                              ; =>This Inner Loop Header: Depth=1
	v_cmp_lt_u32_e32 vcc, v0, v3
	s_and_saveexec_b64 s[6:7], vcc
	s_cbranch_execz .LBB39_11
; %bb.13:                               ;   in Loop: Header=BB39_12 Depth=1
	v_lshl_add_u32 v4, v3, 2, v2
	ds_read_b32 v4, v4
	s_waitcnt lgkmcnt(0)
	v_mul_f32_e32 v1, v1, v4
	ds_write_b32 v2, v1
	s_branch .LBB39_11
.LBB39_14:
	s_or_b64 exec, exec, s[4:5]
.LBB39_15:
	s_or_b64 exec, exec, s[0:1]
	v_cmp_eq_u32_e32 vcc, 0, v0
	s_and_saveexec_b64 s[0:1], vcc
	s_cbranch_execz .LBB39_17
; %bb.16:
	s_mov_b32 s6, 0xf800000
	s_mov_b32 s7, 0x4f800000
	s_mul_i32 s0, s16, 10
	v_mul_f32_e64 v0, |v1|, s7
	v_cmp_lt_f32_e64 vcc, |v1|, s6
	s_ashr_i32 s1, s0, 31
	v_cndmask_b32_e64 v0, |v1|, v0, vcc
	s_lshl_b64 s[0:1], s[0:1], 2
	v_sqrt_f32_e32 v1, v0
	s_add_u32 s4, s8, s0
	s_addc_u32 s5, s9, s1
	s_lshl_b32 s0, s12, 3
	s_ashr_i32 s1, s0, 31
	s_lshl_b64 s[0:1], s[0:1], 2
	v_add_u32_e32 v2, -1, v1
	s_add_u32 s4, s4, s0
	v_fma_f32 v3, -v2, v1, v0
	s_addc_u32 s5, s5, s1
	v_cmp_ge_f32_e64 s[0:1], 0, v3
	v_add_u32_e32 v3, 1, v1
	v_cndmask_b32_e64 v2, v1, v2, s[0:1]
	v_fma_f32 v1, -v3, v1, v0
	v_cmp_lt_f32_e64 s[0:1], 0, v1
	v_cndmask_b32_e64 v1, v2, v3, s[0:1]
	s_add_u32 s0, s4, s2
	s_addc_u32 s1, s5, s3
	s_load_dword s2, s[0:1], 0x0
	v_mul_f32_e32 v2, 0x37800000, v1
	v_cndmask_b32_e32 v1, v1, v2, vcc
	v_mov_b32_e32 v2, 0x260
	v_cmp_class_f32_e32 vcc, v0, v2
	v_cndmask_b32_e32 v0, v1, v0, vcc
	s_waitcnt lgkmcnt(0)
	v_cmp_lt_f32_e64 s[2:3], s2, 0
	v_mov_b32_e32 v1, 0
	v_cndmask_b32_e64 v0, v0, -v0, s[2:3]
	global_store_dword v1, v0, s[0:1]
.LBB39_17:
	s_endpgm
	.section	.rodata,"a",@progbits
	.p2align	6, 0x0
	.amdhsa_kernel _ZN9rocsolver6v33100L32stedc_mergeValues_Rescale_kernelIfEEviiPT_lS3_lS3_S3_PiS2_S2_S2_
		.amdhsa_group_segment_fixed_size 2048
		.amdhsa_private_segment_fixed_size 0
		.amdhsa_kernarg_size 336
		.amdhsa_user_sgpr_count 6
		.amdhsa_user_sgpr_private_segment_buffer 1
		.amdhsa_user_sgpr_dispatch_ptr 0
		.amdhsa_user_sgpr_queue_ptr 0
		.amdhsa_user_sgpr_kernarg_segment_ptr 1
		.amdhsa_user_sgpr_dispatch_id 0
		.amdhsa_user_sgpr_flat_scratch_init 0
		.amdhsa_user_sgpr_kernarg_preload_length 0
		.amdhsa_user_sgpr_kernarg_preload_offset 0
		.amdhsa_user_sgpr_private_segment_size 0
		.amdhsa_uses_dynamic_stack 0
		.amdhsa_system_sgpr_private_segment_wavefront_offset 0
		.amdhsa_system_sgpr_workgroup_id_x 1
		.amdhsa_system_sgpr_workgroup_id_y 1
		.amdhsa_system_sgpr_workgroup_id_z 0
		.amdhsa_system_sgpr_workgroup_info 0
		.amdhsa_system_vgpr_workitem_id 0
		.amdhsa_next_free_vgpr 12
		.amdhsa_next_free_sgpr 26
		.amdhsa_accum_offset 12
		.amdhsa_reserve_vcc 1
		.amdhsa_reserve_flat_scratch 0
		.amdhsa_float_round_mode_32 0
		.amdhsa_float_round_mode_16_64 0
		.amdhsa_float_denorm_mode_32 3
		.amdhsa_float_denorm_mode_16_64 3
		.amdhsa_dx10_clamp 1
		.amdhsa_ieee_mode 1
		.amdhsa_fp16_overflow 0
		.amdhsa_tg_split 0
		.amdhsa_exception_fp_ieee_invalid_op 0
		.amdhsa_exception_fp_denorm_src 0
		.amdhsa_exception_fp_ieee_div_zero 0
		.amdhsa_exception_fp_ieee_overflow 0
		.amdhsa_exception_fp_ieee_underflow 0
		.amdhsa_exception_fp_ieee_inexact 0
		.amdhsa_exception_int_div_zero 0
	.end_amdhsa_kernel
	.section	.text._ZN9rocsolver6v33100L32stedc_mergeValues_Rescale_kernelIfEEviiPT_lS3_lS3_S3_PiS2_S2_S2_,"axG",@progbits,_ZN9rocsolver6v33100L32stedc_mergeValues_Rescale_kernelIfEEviiPT_lS3_lS3_S3_PiS2_S2_S2_,comdat
.Lfunc_end39:
	.size	_ZN9rocsolver6v33100L32stedc_mergeValues_Rescale_kernelIfEEviiPT_lS3_lS3_S3_PiS2_S2_S2_, .Lfunc_end39-_ZN9rocsolver6v33100L32stedc_mergeValues_Rescale_kernelIfEEviiPT_lS3_lS3_S3_PiS2_S2_S2_
                                        ; -- End function
	.section	.AMDGPU.csdata,"",@progbits
; Kernel info:
; codeLenInByte = 948
; NumSgprs: 30
; NumVgprs: 12
; NumAgprs: 0
; TotalNumVgprs: 12
; ScratchSize: 0
; MemoryBound: 0
; FloatMode: 240
; IeeeMode: 1
; LDSByteSize: 2048 bytes/workgroup (compile time only)
; SGPRBlocks: 3
; VGPRBlocks: 1
; NumSGPRsForWavesPerEU: 30
; NumVGPRsForWavesPerEU: 12
; AccumOffset: 12
; Occupancy: 8
; WaveLimiterHint : 1
; COMPUTE_PGM_RSRC2:SCRATCH_EN: 0
; COMPUTE_PGM_RSRC2:USER_SGPR: 6
; COMPUTE_PGM_RSRC2:TRAP_HANDLER: 0
; COMPUTE_PGM_RSRC2:TGID_X_EN: 1
; COMPUTE_PGM_RSRC2:TGID_Y_EN: 1
; COMPUTE_PGM_RSRC2:TGID_Z_EN: 0
; COMPUTE_PGM_RSRC2:TIDIG_COMP_CNT: 0
; COMPUTE_PGM_RSRC3_GFX90A:ACCUM_OFFSET: 2
; COMPUTE_PGM_RSRC3_GFX90A:TG_SPLIT: 0
	.section	.text._ZN9rocsolver6v33100L25stedc_mergeVectors_kernelILb1EfEEviiPT0_iilS3_S3_Pi,"axG",@progbits,_ZN9rocsolver6v33100L25stedc_mergeVectors_kernelILb1EfEEviiPT0_iilS3_S3_Pi,comdat
	.globl	_ZN9rocsolver6v33100L25stedc_mergeVectors_kernelILb1EfEEviiPT0_iilS3_S3_Pi ; -- Begin function _ZN9rocsolver6v33100L25stedc_mergeVectors_kernelILb1EfEEviiPT0_iilS3_S3_Pi
	.p2align	8
	.type	_ZN9rocsolver6v33100L25stedc_mergeVectors_kernelILb1EfEEviiPT0_iilS3_S3_Pi,@function
_ZN9rocsolver6v33100L25stedc_mergeVectors_kernelILb1EfEEviiPT0_iilS3_S3_Pi: ; @_ZN9rocsolver6v33100L25stedc_mergeVectors_kernelILb1EfEEviiPT0_iilS3_S3_Pi
; %bb.0:
	s_load_dword s8, s[4:5], 0x4
	s_load_dword s12, s[4:5], 0x44
	s_load_dwordx2 s[10:11], s[4:5], 0x30
	s_load_dwordx4 s[0:3], s[4:5], 0x20
	s_waitcnt lgkmcnt(0)
	s_mul_i32 s16, s7, s8
	s_mul_i32 s4, s16, 13
	s_ashr_i32 s5, s4, 31
	s_ashr_i32 s9, s8, 31
	s_and_b32 s20, s12, 0xffff
	s_lshl_b64 s[4:5], s[4:5], 2
	s_add_u32 s7, s10, s4
	s_mul_i32 s4, s8, 5
	s_addc_u32 s10, s11, s5
	s_ashr_i32 s5, s4, 31
	s_lshl_b64 s[4:5], s[4:5], 2
	s_add_u32 s17, s7, s4
	s_mul_i32 s4, s16, s8
	s_addc_u32 s18, s10, s5
	s_lshl_b32 s4, s4, 1
	s_ashr_i32 s7, s6, 31
	s_lshl_b64 s[12:13], s[8:9], 2
	s_ashr_i32 s5, s4, 31
	s_lshl_b64 s[14:15], s[6:7], 2
	s_add_u32 s14, s17, s14
	s_addc_u32 s15, s18, s15
	s_add_u32 s18, s14, s12
	s_addc_u32 s19, s15, s13
	s_add_u32 s12, s18, s12
	s_addc_u32 s13, s19, s13
	s_load_dword s9, s[12:13], 0x0
	s_load_dword s21, s[18:19], 0x0
	;; [unrolled: 1-line block ×3, first 2 shown]
	s_mul_i32 s10, s8, s8
	s_mov_b32 s11, 0
	s_waitcnt lgkmcnt(0)
	s_sub_i32 s12, s6, s21
	s_cmp_ge_i32 s12, s9
	s_cselect_b64 s[12:13], -1, 0
	s_and_b64 vcc, exec, s[12:13]
	s_barrier
	s_cbranch_vccnz .LBB40_10
; %bb.1:
	v_cmp_gt_i32_e32 vcc, s9, v0
	v_mov_b32_e32 v1, 0
	s_and_saveexec_b64 s[14:15], vcc
	s_cbranch_execz .LBB40_5
; %bb.2:
	s_mul_i32 s24, s6, s8
	v_add_u32_e32 v2, s24, v0
	v_ashrrev_i32_e32 v3, 31, v2
	s_mul_i32 s16, s16, 10
	s_lshl_b32 s18, s8, 3
	s_lshl_b64 s[22:23], s[4:5], 2
	v_lshlrev_b64 v[2:3], 2, v[2:3]
	s_ashr_i32 s17, s16, 31
	s_ashr_i32 s19, s18, 31
	v_mov_b32_e32 v1, s23
	v_add_co_u32_e32 v4, vcc, s22, v2
	s_lshl_b64 s[22:23], s[10:11], 2
	v_addc_co_u32_e32 v1, vcc, v1, v3, vcc
	s_add_u32 s22, s2, s22
	s_addc_u32 s23, s3, s23
	v_add_co_u32_e32 v2, vcc, s22, v4
	s_lshl_b32 s22, s20, 2
	s_lshl_b64 s[16:17], s[16:17], 2
	s_lshl_b64 s[18:19], s[18:19], 2
	v_mov_b32_e32 v3, s23
	s_add_u32 s16, s16, s18
	v_addc_co_u32_e32 v3, vcc, v3, v1, vcc
	s_addc_u32 s17, s17, s19
	v_add_u32_e32 v6, s21, v0
	v_mov_b32_e32 v5, s3
	v_add_co_u32_e32 v4, vcc, s2, v4
	v_ashrrev_i32_e32 v7, 31, v6
	s_add_u32 s0, s0, s16
	v_addc_co_u32_e32 v5, vcc, v5, v1, vcc
	v_lshlrev_b64 v[6:7], 2, v[6:7]
	s_addc_u32 s1, s1, s17
	v_mov_b32_e32 v1, s1
	v_add_co_u32_e32 v6, vcc, s0, v6
	v_addc_co_u32_e32 v7, vcc, v1, v7, vcc
	s_mov_b64 s[16:17], 0
	v_mov_b32_e32 v1, 0
	s_mov_b64 s[18:19], 0
	v_mov_b32_e32 v8, v0
.LBB40_3:                               ; =>This Inner Loop Header: Depth=1
	v_mov_b32_e32 v9, s19
	v_add_co_u32_e64 v12, s[0:1], s18, v6
	v_add_co_u32_e32 v10, vcc, s18, v2
	v_addc_co_u32_e64 v13, s[0:1], v7, v9, s[0:1]
	v_addc_co_u32_e32 v11, vcc, v3, v9, vcc
	global_load_dword v14, v[12:13], off
	global_load_dword v15, v[10:11], off
	v_add_co_u32_e32 v10, vcc, s18, v4
	v_addc_co_u32_e32 v11, vcc, v5, v9, vcc
	v_add_u32_e32 v8, s20, v8
	s_add_u32 s18, s18, s22
	s_addc_u32 s19, s19, 0
	v_cmp_le_i32_e32 vcc, s9, v8
	s_or_b64 s[16:17], vcc, s[16:17]
	s_waitcnt vmcnt(0)
	v_div_scale_f32 v9, s[0:1], v15, v15, v14
	v_rcp_f32_e32 v12, v9
	v_div_scale_f32 v13, vcc, v14, v15, v14
	v_fma_f32 v16, -v9, v12, 1.0
	v_fmac_f32_e32 v12, v16, v12
	v_mul_f32_e32 v16, v13, v12
	v_fma_f32 v17, -v9, v16, v13
	v_fmac_f32_e32 v16, v17, v12
	v_fma_f32 v9, -v9, v16, v13
	v_div_fmas_f32 v9, v9, v12, v16
	v_div_fixup_f32 v9, v9, v15, v14
	v_fmac_f32_e32 v1, v9, v9
	global_store_dword v[10:11], v9, off
	s_andn2_b64 exec, exec, s[16:17]
	s_cbranch_execnz .LBB40_3
; %bb.4:
	s_or_b64 exec, exec, s[16:17]
.LBB40_5:
	s_or_b64 exec, exec, s[14:15]
	v_lshlrev_b32_e32 v2, 2, v0
	s_cmp_lt_u32 s20, 2
	ds_write_b32 v2, v1
	s_cbranch_scc1 .LBB40_11
; %bb.6:
	s_mov_b32 s14, s20
	s_branch .LBB40_8
.LBB40_7:                               ;   in Loop: Header=BB40_8 Depth=1
	s_or_b64 exec, exec, s[0:1]
	s_cmp_lt_u32 s14, 4
	s_mov_b32 s14, s15
	s_cbranch_scc1 .LBB40_11
.LBB40_8:                               ; =>This Inner Loop Header: Depth=1
	s_lshr_b32 s15, s14, 1
	v_cmp_gt_u32_e32 vcc, s15, v0
	s_waitcnt lgkmcnt(0)
	s_barrier
	s_and_saveexec_b64 s[0:1], vcc
	s_cbranch_execz .LBB40_7
; %bb.9:                                ;   in Loop: Header=BB40_8 Depth=1
	v_lshl_add_u32 v3, s15, 2, v2
	ds_read_b32 v3, v3
	s_waitcnt lgkmcnt(0)
	v_add_f32_e32 v1, v1, v3
	ds_write_b32 v2, v1
	s_branch .LBB40_7
.LBB40_10:
                                        ; implicit-def: $vgpr1
	s_add_i32 s14, s7, s21
	v_cmp_gt_i32_e32 vcc, s14, v0
	s_and_saveexec_b64 s[0:1], vcc
	s_cbranch_execnz .LBB40_12
	s_branch .LBB40_18
.LBB40_11:
	v_mov_b32_e32 v1, 0
	s_waitcnt lgkmcnt(0)
	s_barrier
	ds_read_b32 v1, v1
	s_mov_b32 s0, 0xf800000
	s_waitcnt lgkmcnt(0)
	v_mul_f32_e32 v2, 0x4f800000, v1
	v_cmp_gt_f32_e32 vcc, s0, v1
	v_cndmask_b32_e32 v1, v1, v2, vcc
	v_sqrt_f32_e32 v2, v1
	v_add_u32_e32 v3, -1, v2
	v_fma_f32 v5, -v3, v2, v1
	v_add_u32_e32 v4, 1, v2
	v_cmp_ge_f32_e64 s[0:1], 0, v5
	v_cndmask_b32_e64 v3, v2, v3, s[0:1]
	v_fma_f32 v2, -v4, v2, v1
	v_cmp_lt_f32_e64 s[0:1], 0, v2
	v_cndmask_b32_e64 v2, v3, v4, s[0:1]
	v_mul_f32_e32 v3, 0x37800000, v2
	v_cndmask_b32_e32 v2, v2, v3, vcc
	v_mov_b32_e32 v3, 0x260
	v_cmp_class_f32_e32 vcc, v1, v3
	v_cndmask_b32_e32 v1, v2, v1, vcc
	s_add_i32 s14, s7, s21
	v_cmp_gt_i32_e32 vcc, s14, v0
	s_and_saveexec_b64 s[0:1], vcc
	s_cbranch_execz .LBB40_18
.LBB40_12:
	s_lshl_b64 s[0:1], s[4:5], 2
	s_add_u32 s15, s2, s0
	s_addc_u32 s16, s3, s1
	s_lshl_b64 s[0:1], s[10:11], 2
	s_add_u32 s10, s15, s0
	s_addc_u32 s4, s16, s1
	s_mul_i32 s8, s6, s8
	s_sub_i32 s11, 0, s21
	s_sub_i32 s17, s8, s21
	s_mov_b64 s[0:1], 0
	s_xor_b64 s[2:3], s[12:13], -1
	v_mov_b32_e32 v2, s4
	s_branch .LBB40_15
.LBB40_13:                              ;   in Loop: Header=BB40_15 Depth=1
	s_or_b64 exec, exec, s[6:7]
.LBB40_14:                              ;   in Loop: Header=BB40_15 Depth=1
	s_or_b64 exec, exec, s[4:5]
	v_add_u32_e32 v4, s8, v0
	v_ashrrev_i32_e32 v5, 31, v4
	v_lshlrev_b64 v[4:5], 2, v[4:5]
	v_add_co_u32_e32 v4, vcc, s10, v4
	v_addc_co_u32_e32 v5, vcc, v2, v5, vcc
	v_add_u32_e32 v0, s20, v0
	v_cmp_le_i32_e32 vcc, s14, v0
	s_or_b64 s[0:1], vcc, s[0:1]
	global_store_dword v[4:5], v3, off
	s_andn2_b64 exec, exec, s[0:1]
	s_cbranch_execz .LBB40_18
.LBB40_15:                              ; =>This Inner Loop Header: Depth=1
	v_cmp_le_i32_e32 vcc, s21, v0
	s_and_b64 s[6:7], s[2:3], vcc
	v_mov_b32_e32 v3, 0
	s_and_saveexec_b64 s[4:5], s[6:7]
	s_cbranch_execz .LBB40_14
; %bb.16:                               ;   in Loop: Header=BB40_15 Depth=1
	v_add_u32_e32 v3, s11, v0
	v_cmp_gt_i32_e32 vcc, s9, v3
	v_mov_b32_e32 v3, 0
	s_and_saveexec_b64 s[6:7], vcc
	s_cbranch_execz .LBB40_13
; %bb.17:                               ;   in Loop: Header=BB40_15 Depth=1
	v_add_u32_e32 v4, s17, v0
	v_ashrrev_i32_e32 v5, 31, v4
	v_lshlrev_b64 v[4:5], 2, v[4:5]
	v_mov_b32_e32 v3, s16
	v_add_co_u32_e32 v4, vcc, s15, v4
	v_addc_co_u32_e32 v5, vcc, v3, v5, vcc
	global_load_dword v3, v[4:5], off
	s_waitcnt vmcnt(0)
	v_div_scale_f32 v4, s[12:13], v1, v1, v3
	v_rcp_f32_e32 v5, v4
	v_div_scale_f32 v6, vcc, v3, v1, v3
	v_fma_f32 v7, -v4, v5, 1.0
	v_fmac_f32_e32 v5, v7, v5
	v_mul_f32_e32 v7, v6, v5
	v_fma_f32 v8, -v4, v7, v6
	v_fmac_f32_e32 v7, v8, v5
	v_fma_f32 v4, -v4, v7, v6
	v_div_fmas_f32 v4, v4, v5, v7
	v_div_fixup_f32 v3, v4, v1, v3
	s_branch .LBB40_13
.LBB40_18:
	s_endpgm
	.section	.rodata,"a",@progbits
	.p2align	6, 0x0
	.amdhsa_kernel _ZN9rocsolver6v33100L25stedc_mergeVectors_kernelILb1EfEEviiPT0_iilS3_S3_Pi
		.amdhsa_group_segment_fixed_size 2048
		.amdhsa_private_segment_fixed_size 0
		.amdhsa_kernarg_size 312
		.amdhsa_user_sgpr_count 6
		.amdhsa_user_sgpr_private_segment_buffer 1
		.amdhsa_user_sgpr_dispatch_ptr 0
		.amdhsa_user_sgpr_queue_ptr 0
		.amdhsa_user_sgpr_kernarg_segment_ptr 1
		.amdhsa_user_sgpr_dispatch_id 0
		.amdhsa_user_sgpr_flat_scratch_init 0
		.amdhsa_user_sgpr_kernarg_preload_length 0
		.amdhsa_user_sgpr_kernarg_preload_offset 0
		.amdhsa_user_sgpr_private_segment_size 0
		.amdhsa_uses_dynamic_stack 0
		.amdhsa_system_sgpr_private_segment_wavefront_offset 0
		.amdhsa_system_sgpr_workgroup_id_x 1
		.amdhsa_system_sgpr_workgroup_id_y 1
		.amdhsa_system_sgpr_workgroup_id_z 0
		.amdhsa_system_sgpr_workgroup_info 0
		.amdhsa_system_vgpr_workitem_id 0
		.amdhsa_next_free_vgpr 18
		.amdhsa_next_free_sgpr 25
		.amdhsa_accum_offset 20
		.amdhsa_reserve_vcc 1
		.amdhsa_reserve_flat_scratch 0
		.amdhsa_float_round_mode_32 0
		.amdhsa_float_round_mode_16_64 0
		.amdhsa_float_denorm_mode_32 3
		.amdhsa_float_denorm_mode_16_64 3
		.amdhsa_dx10_clamp 1
		.amdhsa_ieee_mode 1
		.amdhsa_fp16_overflow 0
		.amdhsa_tg_split 0
		.amdhsa_exception_fp_ieee_invalid_op 0
		.amdhsa_exception_fp_denorm_src 0
		.amdhsa_exception_fp_ieee_div_zero 0
		.amdhsa_exception_fp_ieee_overflow 0
		.amdhsa_exception_fp_ieee_underflow 0
		.amdhsa_exception_fp_ieee_inexact 0
		.amdhsa_exception_int_div_zero 0
	.end_amdhsa_kernel
	.section	.text._ZN9rocsolver6v33100L25stedc_mergeVectors_kernelILb1EfEEviiPT0_iilS3_S3_Pi,"axG",@progbits,_ZN9rocsolver6v33100L25stedc_mergeVectors_kernelILb1EfEEviiPT0_iilS3_S3_Pi,comdat
.Lfunc_end40:
	.size	_ZN9rocsolver6v33100L25stedc_mergeVectors_kernelILb1EfEEviiPT0_iilS3_S3_Pi, .Lfunc_end40-_ZN9rocsolver6v33100L25stedc_mergeVectors_kernelILb1EfEEviiPT0_iilS3_S3_Pi
                                        ; -- End function
	.section	.AMDGPU.csdata,"",@progbits
; Kernel info:
; codeLenInByte = 1100
; NumSgprs: 29
; NumVgprs: 18
; NumAgprs: 0
; TotalNumVgprs: 18
; ScratchSize: 0
; MemoryBound: 0
; FloatMode: 240
; IeeeMode: 1
; LDSByteSize: 2048 bytes/workgroup (compile time only)
; SGPRBlocks: 3
; VGPRBlocks: 2
; NumSGPRsForWavesPerEU: 29
; NumVGPRsForWavesPerEU: 18
; AccumOffset: 20
; Occupancy: 8
; WaveLimiterHint : 1
; COMPUTE_PGM_RSRC2:SCRATCH_EN: 0
; COMPUTE_PGM_RSRC2:USER_SGPR: 6
; COMPUTE_PGM_RSRC2:TRAP_HANDLER: 0
; COMPUTE_PGM_RSRC2:TGID_X_EN: 1
; COMPUTE_PGM_RSRC2:TGID_Y_EN: 1
; COMPUTE_PGM_RSRC2:TGID_Z_EN: 0
; COMPUTE_PGM_RSRC2:TIDIG_COMP_CNT: 0
; COMPUTE_PGM_RSRC3_GFX90A:ACCUM_OFFSET: 4
; COMPUTE_PGM_RSRC3_GFX90A:TG_SPLIT: 0
	.section	.text._ZN9rocsolver6v33100L24stedc_mergeUpdate_kernelIfEEviiPT_lS3_iilS3_S3_Pi,"axG",@progbits,_ZN9rocsolver6v33100L24stedc_mergeUpdate_kernelIfEEviiPT_lS3_iilS3_S3_Pi,comdat
	.globl	_ZN9rocsolver6v33100L24stedc_mergeUpdate_kernelIfEEviiPT_lS3_iilS3_S3_Pi ; -- Begin function _ZN9rocsolver6v33100L24stedc_mergeUpdate_kernelIfEEviiPT_lS3_iilS3_S3_Pi
	.p2align	8
	.type	_ZN9rocsolver6v33100L24stedc_mergeUpdate_kernelIfEEviiPT_lS3_iilS3_S3_Pi,@function
_ZN9rocsolver6v33100L24stedc_mergeUpdate_kernelIfEEviiPT_lS3_iilS3_S3_Pi: ; @_ZN9rocsolver6v33100L24stedc_mergeUpdate_kernelIfEEviiPT_lS3_iilS3_S3_Pi
; %bb.0:
	s_load_dword s2, s[4:5], 0x4
	s_load_dwordx8 s[8:15], s[4:5], 0x28
	s_mov_b32 s0, s7
	s_waitcnt lgkmcnt(0)
	s_mul_i32 s1, s7, s2
	s_mul_i32 s16, s1, 13
	s_ashr_i32 s17, s16, 31
	s_lshl_b64 s[16:17], s[16:17], 2
	s_add_u32 s3, s14, s16
	s_mul_i32 s14, s2, 7
	s_addc_u32 s7, s15, s17
	s_ashr_i32 s15, s14, 31
	s_lshl_b64 s[14:15], s[14:15], 2
	s_add_u32 s16, s3, s14
	s_addc_u32 s17, s7, s15
	s_ashr_i32 s3, s2, 31
	s_lshl_b64 s[14:15], s[2:3], 3
	s_sub_u32 s24, s16, s14
	s_subb_u32 s25, s17, s15
	s_lshl_b64 s[20:21], s[2:3], 2
	s_add_u32 s3, s24, s20
	s_addc_u32 s15, s25, s21
	s_ashr_i32 s7, s6, 31
	s_lshl_b64 s[22:23], s[6:7], 2
	s_add_u32 s14, s3, s22
	s_addc_u32 s15, s15, s23
	s_add_u32 s16, s16, s22
	s_addc_u32 s17, s17, s23
	s_load_dword s3, s[14:15], 0x0
	s_load_dword s7, s[16:17], 0x0
	s_waitcnt lgkmcnt(0)
	s_sub_i32 s14, s6, s3
	s_cmp_ge_i32 s14, s7
	s_cbranch_scc1 .LBB41_6
; %bb.1:
	s_ashr_i32 s7, s0, 31
	s_add_u32 s24, s24, s22
	s_addc_u32 s25, s25, s23
	s_load_dwordx4 s[16:19], s[4:5], 0x8
	s_load_dwordx2 s[14:15], s[4:5], 0x18
	s_load_dword s26, s[24:25], 0x0
	v_cmp_eq_u32_e32 vcc, 0, v0
	s_and_saveexec_b64 s[24:25], vcc
	s_cbranch_execz .LBB41_3
; %bb.2:
	s_waitcnt lgkmcnt(0)
	s_mul_i32 s19, s0, s19
	s_mul_hi_u32 s27, s0, s18
	s_add_i32 s19, s27, s19
	s_mul_i32 s27, s7, s18
	s_add_i32 s19, s19, s27
	s_mul_i32 s18, s0, s18
	s_lshl_b64 s[18:19], s[18:19], 2
	s_add_u32 s16, s16, s18
	s_addc_u32 s17, s17, s19
	s_add_u32 s16, s16, s22
	s_mul_i32 s18, s1, 10
	s_addc_u32 s17, s17, s23
	s_ashr_i32 s19, s18, 31
	s_lshl_b64 s[18:19], s[18:19], 2
	s_add_u32 s10, s10, s18
	s_addc_u32 s11, s11, s19
	s_add_u32 s10, s10, s20
	s_addc_u32 s11, s11, s21
	;; [unrolled: 2-line block ×3, first 2 shown]
	s_load_dword s10, s[10:11], 0x0
	v_mov_b32_e32 v1, 0
	s_waitcnt lgkmcnt(0)
	v_mov_b32_e32 v2, s10
	global_store_dword v1, v2, s[16:17]
.LBB41_3:
	s_or_b64 exec, exec, s[24:25]
	v_add_u32_e32 v0, s3, v0
	s_waitcnt lgkmcnt(0)
	s_add_i32 s3, s26, s3
	v_cmp_gt_i32_e32 vcc, s3, v0
	s_and_saveexec_b64 s[10:11], vcc
	s_cbranch_execz .LBB41_6
; %bb.4:
	s_load_dwordx2 s[10:11], s[4:5], 0x20
	s_load_dword s17, s[4:5], 0x54
	s_mul_i32 s9, s0, s9
	s_mul_hi_u32 s16, s0, s8
	s_add_i32 s9, s16, s9
	s_mul_i32 s7, s7, s8
	s_add_i32 s9, s9, s7
	s_mul_i32 s8, s0, s8
	s_waitcnt lgkmcnt(0)
	s_ashr_i32 s5, s10, 31
	s_lshl_b64 s[8:9], s[8:9], 2
	s_mov_b32 s4, s10
	s_add_u32 s0, s14, s8
	s_addc_u32 s7, s15, s9
	s_lshl_b64 s[4:5], s[4:5], 2
	s_add_u32 s4, s0, s4
	s_mul_i32 s1, s1, s2
	s_addc_u32 s8, s7, s5
	s_lshl_b32 s0, s1, 1
	s_ashr_i32 s1, s0, 31
	s_lshl_b64 s[0:1], s[0:1], 2
	s_add_u32 s5, s12, s0
	s_addc_u32 s9, s13, s1
	s_mul_i32 s2, s6, s2
	s_mul_i32 s6, s6, s11
	s_and_b32 s7, s17, 0xffff
	s_mov_b64 s[0:1], 0
	v_mov_b32_e32 v1, s9
	v_mov_b32_e32 v2, s8
.LBB41_5:                               ; =>This Inner Loop Header: Depth=1
	v_add_u32_e32 v4, s2, v0
	v_ashrrev_i32_e32 v5, 31, v4
	v_lshlrev_b64 v[4:5], 2, v[4:5]
	v_add_co_u32_e32 v4, vcc, s5, v4
	v_addc_co_u32_e32 v5, vcc, v1, v5, vcc
	global_load_dword v3, v[4:5], off
	v_add_u32_e32 v4, s6, v0
	v_add_u32_e32 v0, s7, v0
	v_ashrrev_i32_e32 v5, 31, v4
	v_cmp_le_i32_e32 vcc, s3, v0
	v_lshlrev_b64 v[4:5], 2, v[4:5]
	s_or_b64 s[0:1], vcc, s[0:1]
	v_add_co_u32_e32 v4, vcc, s4, v4
	v_addc_co_u32_e32 v5, vcc, v2, v5, vcc
	s_waitcnt vmcnt(0)
	global_store_dword v[4:5], v3, off
	s_andn2_b64 exec, exec, s[0:1]
	s_cbranch_execnz .LBB41_5
.LBB41_6:
	s_endpgm
	.section	.rodata,"a",@progbits
	.p2align	6, 0x0
	.amdhsa_kernel _ZN9rocsolver6v33100L24stedc_mergeUpdate_kernelIfEEviiPT_lS3_iilS3_S3_Pi
		.amdhsa_group_segment_fixed_size 0
		.amdhsa_private_segment_fixed_size 0
		.amdhsa_kernarg_size 328
		.amdhsa_user_sgpr_count 6
		.amdhsa_user_sgpr_private_segment_buffer 1
		.amdhsa_user_sgpr_dispatch_ptr 0
		.amdhsa_user_sgpr_queue_ptr 0
		.amdhsa_user_sgpr_kernarg_segment_ptr 1
		.amdhsa_user_sgpr_dispatch_id 0
		.amdhsa_user_sgpr_flat_scratch_init 0
		.amdhsa_user_sgpr_kernarg_preload_length 0
		.amdhsa_user_sgpr_kernarg_preload_offset 0
		.amdhsa_user_sgpr_private_segment_size 0
		.amdhsa_uses_dynamic_stack 0
		.amdhsa_system_sgpr_private_segment_wavefront_offset 0
		.amdhsa_system_sgpr_workgroup_id_x 1
		.amdhsa_system_sgpr_workgroup_id_y 1
		.amdhsa_system_sgpr_workgroup_id_z 0
		.amdhsa_system_sgpr_workgroup_info 0
		.amdhsa_system_vgpr_workitem_id 0
		.amdhsa_next_free_vgpr 6
		.amdhsa_next_free_sgpr 28
		.amdhsa_accum_offset 8
		.amdhsa_reserve_vcc 1
		.amdhsa_reserve_flat_scratch 0
		.amdhsa_float_round_mode_32 0
		.amdhsa_float_round_mode_16_64 0
		.amdhsa_float_denorm_mode_32 3
		.amdhsa_float_denorm_mode_16_64 3
		.amdhsa_dx10_clamp 1
		.amdhsa_ieee_mode 1
		.amdhsa_fp16_overflow 0
		.amdhsa_tg_split 0
		.amdhsa_exception_fp_ieee_invalid_op 0
		.amdhsa_exception_fp_denorm_src 0
		.amdhsa_exception_fp_ieee_div_zero 0
		.amdhsa_exception_fp_ieee_overflow 0
		.amdhsa_exception_fp_ieee_underflow 0
		.amdhsa_exception_fp_ieee_inexact 0
		.amdhsa_exception_int_div_zero 0
	.end_amdhsa_kernel
	.section	.text._ZN9rocsolver6v33100L24stedc_mergeUpdate_kernelIfEEviiPT_lS3_iilS3_S3_Pi,"axG",@progbits,_ZN9rocsolver6v33100L24stedc_mergeUpdate_kernelIfEEviiPT_lS3_iilS3_S3_Pi,comdat
.Lfunc_end41:
	.size	_ZN9rocsolver6v33100L24stedc_mergeUpdate_kernelIfEEviiPT_lS3_iilS3_S3_Pi, .Lfunc_end41-_ZN9rocsolver6v33100L24stedc_mergeUpdate_kernelIfEEviiPT_lS3_iilS3_S3_Pi
                                        ; -- End function
	.section	.AMDGPU.csdata,"",@progbits
; Kernel info:
; codeLenInByte = 560
; NumSgprs: 32
; NumVgprs: 6
; NumAgprs: 0
; TotalNumVgprs: 6
; ScratchSize: 0
; MemoryBound: 0
; FloatMode: 240
; IeeeMode: 1
; LDSByteSize: 0 bytes/workgroup (compile time only)
; SGPRBlocks: 3
; VGPRBlocks: 0
; NumSGPRsForWavesPerEU: 32
; NumVGPRsForWavesPerEU: 6
; AccumOffset: 8
; Occupancy: 8
; WaveLimiterHint : 0
; COMPUTE_PGM_RSRC2:SCRATCH_EN: 0
; COMPUTE_PGM_RSRC2:USER_SGPR: 6
; COMPUTE_PGM_RSRC2:TRAP_HANDLER: 0
; COMPUTE_PGM_RSRC2:TGID_X_EN: 1
; COMPUTE_PGM_RSRC2:TGID_Y_EN: 1
; COMPUTE_PGM_RSRC2:TGID_Z_EN: 0
; COMPUTE_PGM_RSRC2:TIDIG_COMP_CNT: 0
; COMPUTE_PGM_RSRC3_GFX90A:ACCUM_OFFSET: 1
; COMPUTE_PGM_RSRC3_GFX90A:TG_SPLIT: 0
	.section	.text._ZN9rocsolver6v33100L11stedc_copyDIfEEviPT_lS3_l,"axG",@progbits,_ZN9rocsolver6v33100L11stedc_copyDIfEEviPT_lS3_l,comdat
	.globl	_ZN9rocsolver6v33100L11stedc_copyDIfEEviPT_lS3_l ; -- Begin function _ZN9rocsolver6v33100L11stedc_copyDIfEEviPT_lS3_l
	.p2align	8
	.type	_ZN9rocsolver6v33100L11stedc_copyDIfEEviPT_lS3_l,@function
_ZN9rocsolver6v33100L11stedc_copyDIfEEviPT_lS3_l: ; @_ZN9rocsolver6v33100L11stedc_copyDIfEEviPT_lS3_l
; %bb.0:
	s_load_dword s0, s[4:5], 0x34
	s_load_dword s37, s[4:5], 0x0
	s_waitcnt lgkmcnt(0)
	s_and_b32 s33, s0, 0xffff
	s_lshl_b32 s36, s33, 4
	v_cvt_f32_u32_e32 v1, s36
	s_sub_i32 s2, 0, s36
	s_add_i32 s0, s37, -1
	s_ashr_i32 s1, s0, 31
	v_rcp_iflag_f32_e32 v1, v1
	s_abs_i32 s0, s0
	v_mul_f32_e32 v1, 0x4f7ffffe, v1
	v_cvt_u32_f32_e32 v1, v1
	v_readfirstlane_b32 s3, v1
	s_mul_i32 s2, s2, s3
	s_mul_hi_u32 s2, s3, s2
	s_add_i32 s3, s3, s2
	s_mul_hi_u32 s2, s0, s3
	s_mul_i32 s3, s2, s36
	s_sub_i32 s0, s0, s3
	s_add_i32 s6, s2, 1
	s_sub_i32 s3, s0, s36
	s_cmp_ge_u32 s0, s36
	s_cselect_b32 s2, s6, s2
	s_cselect_b32 s0, s3, s0
	s_add_i32 s3, s2, 1
	s_cmp_ge_u32 s0, s36
	s_cselect_b32 s0, s3, s2
	s_xor_b32 s0, s0, s1
	s_sub_i32 s0, s0, s1
	s_cmp_lt_i32 s0, 0
	s_cbranch_scc1 .LBB42_67
; %bb.1:
	s_load_dwordx8 s[8:15], s[4:5], 0x8
	s_ashr_i32 s1, s7, 31
	s_mul_i32 s44, s33, 3
	s_mul_i32 s46, s33, 5
	;; [unrolled: 1-line block ×3, first 2 shown]
	s_waitcnt lgkmcnt(0)
	s_mul_i32 s3, s7, s11
	s_mul_hi_u32 s4, s7, s10
	s_mul_i32 s5, s1, s10
	s_add_i32 s3, s4, s3
	s_mul_i32 s2, s7, s10
	s_add_i32 s3, s3, s5
	s_lshl_b64 s[2:3], s[2:3], 2
	s_add_u32 s38, s8, s2
	s_addc_u32 s39, s9, s3
	s_mul_i32 s2, s7, s15
	s_mul_hi_u32 s3, s7, s14
	s_add_i32 s2, s3, s2
	s_mul_i32 s1, s1, s14
	s_add_i32 s3, s2, s1
	s_mul_i32 s2, s7, s14
	s_lshl_b64 s[2:3], s[2:3], 2
	s_add_u32 s40, s12, s2
	s_addc_u32 s41, s13, s3
	s_add_i32 s42, s0, 1
	s_lshl_b32 s43, s33, 1
	s_lshl_b32 s45, s33, 2
	s_mul_i32 s48, s33, 7
	s_lshl_b32 s49, s33, 3
	s_mul_i32 s50, s33, 9
	s_mul_i32 s51, s33, 10
	;; [unrolled: 1-line block ×7, first 2 shown]
                                        ; implicit-def: $vgpr2_vgpr3_vgpr4_vgpr5_vgpr6_vgpr7_vgpr8_vgpr9_vgpr10_vgpr11_vgpr12_vgpr13_vgpr14_vgpr15_vgpr16_vgpr17
	s_branch .LBB42_3
.LBB42_2:                               ;   in Loop: Header=BB42_3 Depth=1
	s_or_b64 exec, exec, s[0:1]
	s_add_i32 s42, s42, -1
	s_cmp_eq_u32 s42, 0
	v_add_u32_e32 v0, s36, v0
	s_cbranch_scc1 .LBB42_67
.LBB42_3:                               ; =>This Inner Loop Header: Depth=1
	v_cmp_gt_i32_e32 vcc, s37, v0
	v_ashrrev_i32_e32 v1, 31, v0
	s_and_saveexec_b64 s[2:3], vcc
	s_cbranch_execz .LBB42_5
; %bb.4:                                ;   in Loop: Header=BB42_3 Depth=1
	v_lshlrev_b64 v[18:19], 2, v[0:1]
	s_waitcnt vmcnt(0)
	v_mov_b32_e32 v2, s39
	v_add_co_u32_e64 v18, s[0:1], s38, v18
	v_addc_co_u32_e64 v19, s[0:1], v2, v19, s[0:1]
	global_load_dword v2, v[18:19], off
.LBB42_5:                               ;   in Loop: Header=BB42_3 Depth=1
	s_or_b64 exec, exec, s[2:3]
	v_add_u32_e32 v18, s33, v0
	v_cmp_gt_i32_e64 s[0:1], s37, v18
	v_ashrrev_i32_e32 v19, 31, v18
	s_and_saveexec_b64 s[4:5], s[0:1]
	s_cbranch_execz .LBB42_7
; %bb.6:                                ;   in Loop: Header=BB42_3 Depth=1
	v_lshlrev_b64 v[20:21], 2, v[18:19]
	s_waitcnt vmcnt(0)
	v_mov_b32_e32 v3, s39
	v_add_co_u32_e64 v20, s[2:3], s38, v20
	v_addc_co_u32_e64 v21, s[2:3], v3, v21, s[2:3]
	global_load_dword v3, v[20:21], off
.LBB42_7:                               ;   in Loop: Header=BB42_3 Depth=1
	s_or_b64 exec, exec, s[4:5]
	v_add_u32_e32 v20, s43, v0
	v_add_u32_e32 v23, s33, v18
	v_cmp_gt_i32_e64 s[2:3], s37, v23
	v_ashrrev_i32_e32 v21, 31, v20
	s_and_saveexec_b64 s[6:7], s[2:3]
	s_cbranch_execz .LBB42_9
; %bb.8:                                ;   in Loop: Header=BB42_3 Depth=1
	v_lshlrev_b64 v[24:25], 2, v[20:21]
	s_waitcnt vmcnt(0)
	v_mov_b32_e32 v4, s39
	v_add_co_u32_e64 v24, s[4:5], s38, v24
	v_addc_co_u32_e64 v25, s[4:5], v4, v25, s[4:5]
	global_load_dword v4, v[24:25], off
.LBB42_9:                               ;   in Loop: Header=BB42_3 Depth=1
	s_or_b64 exec, exec, s[6:7]
	v_add_u32_e32 v22, s44, v0
	v_add_u32_e32 v25, s33, v23
	v_cmp_gt_i32_e64 s[4:5], s37, v25
	v_ashrrev_i32_e32 v23, 31, v22
	s_and_saveexec_b64 s[8:9], s[4:5]
	s_cbranch_execz .LBB42_11
; %bb.10:                               ;   in Loop: Header=BB42_3 Depth=1
	v_lshlrev_b64 v[26:27], 2, v[22:23]
	s_waitcnt vmcnt(0)
	v_mov_b32_e32 v5, s39
	v_add_co_u32_e64 v26, s[6:7], s38, v26
	v_addc_co_u32_e64 v27, s[6:7], v5, v27, s[6:7]
	global_load_dword v5, v[26:27], off
.LBB42_11:                              ;   in Loop: Header=BB42_3 Depth=1
	s_or_b64 exec, exec, s[8:9]
	v_add_u32_e32 v24, s45, v0
	v_add_u32_e32 v27, s33, v25
	v_cmp_gt_i32_e64 s[6:7], s37, v27
	v_ashrrev_i32_e32 v25, 31, v24
	s_and_saveexec_b64 s[10:11], s[6:7]
	s_cbranch_execz .LBB42_13
; %bb.12:                               ;   in Loop: Header=BB42_3 Depth=1
	v_lshlrev_b64 v[28:29], 2, v[24:25]
	s_waitcnt vmcnt(0)
	v_mov_b32_e32 v6, s39
	v_add_co_u32_e64 v28, s[8:9], s38, v28
	v_addc_co_u32_e64 v29, s[8:9], v6, v29, s[8:9]
	global_load_dword v6, v[28:29], off
.LBB42_13:                              ;   in Loop: Header=BB42_3 Depth=1
	s_or_b64 exec, exec, s[10:11]
	v_add_u32_e32 v26, s46, v0
	v_add_u32_e32 v29, s33, v27
	v_cmp_gt_i32_e64 s[8:9], s37, v29
	v_ashrrev_i32_e32 v27, 31, v26
	s_and_saveexec_b64 s[12:13], s[8:9]
	s_cbranch_execz .LBB42_15
; %bb.14:                               ;   in Loop: Header=BB42_3 Depth=1
	v_lshlrev_b64 v[30:31], 2, v[26:27]
	s_waitcnt vmcnt(0)
	v_mov_b32_e32 v7, s39
	v_add_co_u32_e64 v30, s[10:11], s38, v30
	v_addc_co_u32_e64 v31, s[10:11], v7, v31, s[10:11]
	global_load_dword v7, v[30:31], off
.LBB42_15:                              ;   in Loop: Header=BB42_3 Depth=1
	s_or_b64 exec, exec, s[12:13]
	v_add_u32_e32 v28, s47, v0
	v_add_u32_e32 v31, s33, v29
	v_cmp_gt_i32_e64 s[10:11], s37, v31
	v_ashrrev_i32_e32 v29, 31, v28
	s_and_saveexec_b64 s[14:15], s[10:11]
	s_cbranch_execz .LBB42_17
; %bb.16:                               ;   in Loop: Header=BB42_3 Depth=1
	v_lshlrev_b64 v[32:33], 2, v[28:29]
	s_waitcnt vmcnt(0)
	v_mov_b32_e32 v8, s39
	v_add_co_u32_e64 v32, s[12:13], s38, v32
	v_addc_co_u32_e64 v33, s[12:13], v8, v33, s[12:13]
	global_load_dword v8, v[32:33], off
.LBB42_17:                              ;   in Loop: Header=BB42_3 Depth=1
	s_or_b64 exec, exec, s[14:15]
	v_add_u32_e32 v30, s48, v0
	v_add_u32_e32 v33, s33, v31
	v_cmp_gt_i32_e64 s[12:13], s37, v33
	v_ashrrev_i32_e32 v31, 31, v30
	s_and_saveexec_b64 s[16:17], s[12:13]
	s_cbranch_execz .LBB42_19
; %bb.18:                               ;   in Loop: Header=BB42_3 Depth=1
	v_lshlrev_b64 v[34:35], 2, v[30:31]
	s_waitcnt vmcnt(0)
	v_mov_b32_e32 v9, s39
	v_add_co_u32_e64 v34, s[14:15], s38, v34
	v_addc_co_u32_e64 v35, s[14:15], v9, v35, s[14:15]
	global_load_dword v9, v[34:35], off
.LBB42_19:                              ;   in Loop: Header=BB42_3 Depth=1
	s_or_b64 exec, exec, s[16:17]
	v_add_u32_e32 v32, s49, v0
	v_add_u32_e32 v35, s33, v33
	v_cmp_gt_i32_e64 s[14:15], s37, v35
	v_ashrrev_i32_e32 v33, 31, v32
	s_and_saveexec_b64 s[18:19], s[14:15]
	s_cbranch_execz .LBB42_21
; %bb.20:                               ;   in Loop: Header=BB42_3 Depth=1
	v_lshlrev_b64 v[36:37], 2, v[32:33]
	s_waitcnt vmcnt(0)
	v_mov_b32_e32 v10, s39
	v_add_co_u32_e64 v36, s[16:17], s38, v36
	v_addc_co_u32_e64 v37, s[16:17], v10, v37, s[16:17]
	global_load_dword v10, v[36:37], off
.LBB42_21:                              ;   in Loop: Header=BB42_3 Depth=1
	s_or_b64 exec, exec, s[18:19]
	v_add_u32_e32 v34, s50, v0
	v_add_u32_e32 v37, s33, v35
	v_cmp_gt_i32_e64 s[16:17], s37, v37
	v_ashrrev_i32_e32 v35, 31, v34
	s_and_saveexec_b64 s[20:21], s[16:17]
	s_cbranch_execz .LBB42_23
; %bb.22:                               ;   in Loop: Header=BB42_3 Depth=1
	v_lshlrev_b64 v[38:39], 2, v[34:35]
	s_waitcnt vmcnt(0)
	v_mov_b32_e32 v11, s39
	v_add_co_u32_e64 v38, s[18:19], s38, v38
	v_addc_co_u32_e64 v39, s[18:19], v11, v39, s[18:19]
	global_load_dword v11, v[38:39], off
.LBB42_23:                              ;   in Loop: Header=BB42_3 Depth=1
	s_or_b64 exec, exec, s[20:21]
	v_add_u32_e32 v36, s51, v0
	v_add_u32_e32 v39, s33, v37
	v_cmp_gt_i32_e64 s[18:19], s37, v39
	v_ashrrev_i32_e32 v37, 31, v36
	s_and_saveexec_b64 s[22:23], s[18:19]
	s_cbranch_execz .LBB42_25
; %bb.24:                               ;   in Loop: Header=BB42_3 Depth=1
	v_lshlrev_b64 v[40:41], 2, v[36:37]
	s_waitcnt vmcnt(0)
	v_mov_b32_e32 v12, s39
	v_add_co_u32_e64 v40, s[20:21], s38, v40
	v_addc_co_u32_e64 v41, s[20:21], v12, v41, s[20:21]
	global_load_dword v12, v[40:41], off
.LBB42_25:                              ;   in Loop: Header=BB42_3 Depth=1
	s_or_b64 exec, exec, s[22:23]
	v_add_u32_e32 v38, s52, v0
	v_add_u32_e32 v41, s33, v39
	v_cmp_gt_i32_e64 s[20:21], s37, v41
	v_ashrrev_i32_e32 v39, 31, v38
	s_and_saveexec_b64 s[24:25], s[20:21]
	s_cbranch_execz .LBB42_27
; %bb.26:                               ;   in Loop: Header=BB42_3 Depth=1
	v_lshlrev_b64 v[42:43], 2, v[38:39]
	s_waitcnt vmcnt(0)
	v_mov_b32_e32 v13, s39
	v_add_co_u32_e64 v42, s[22:23], s38, v42
	v_addc_co_u32_e64 v43, s[22:23], v13, v43, s[22:23]
	global_load_dword v13, v[42:43], off
.LBB42_27:                              ;   in Loop: Header=BB42_3 Depth=1
	s_or_b64 exec, exec, s[24:25]
	v_add_u32_e32 v40, s53, v0
	v_add_u32_e32 v43, s33, v41
	v_cmp_gt_i32_e64 s[22:23], s37, v43
	v_ashrrev_i32_e32 v41, 31, v40
	s_and_saveexec_b64 s[26:27], s[22:23]
	s_cbranch_execz .LBB42_29
; %bb.28:                               ;   in Loop: Header=BB42_3 Depth=1
	v_lshlrev_b64 v[44:45], 2, v[40:41]
	s_waitcnt vmcnt(0)
	v_mov_b32_e32 v14, s39
	v_add_co_u32_e64 v44, s[24:25], s38, v44
	v_addc_co_u32_e64 v45, s[24:25], v14, v45, s[24:25]
	global_load_dword v14, v[44:45], off
.LBB42_29:                              ;   in Loop: Header=BB42_3 Depth=1
	s_or_b64 exec, exec, s[26:27]
	v_add_u32_e32 v42, s54, v0
	v_add_u32_e32 v45, s33, v43
	v_cmp_gt_i32_e64 s[24:25], s37, v45
	v_ashrrev_i32_e32 v43, 31, v42
	s_and_saveexec_b64 s[28:29], s[24:25]
	s_cbranch_execz .LBB42_31
; %bb.30:                               ;   in Loop: Header=BB42_3 Depth=1
	v_lshlrev_b64 v[46:47], 2, v[42:43]
	s_waitcnt vmcnt(0)
	v_mov_b32_e32 v15, s39
	v_add_co_u32_e64 v46, s[26:27], s38, v46
	v_addc_co_u32_e64 v47, s[26:27], v15, v47, s[26:27]
	global_load_dword v15, v[46:47], off
.LBB42_31:                              ;   in Loop: Header=BB42_3 Depth=1
	s_or_b64 exec, exec, s[28:29]
	v_add_u32_e32 v44, s55, v0
	v_add_u32_e32 v47, s33, v45
	v_cmp_gt_i32_e64 s[26:27], s37, v47
	v_ashrrev_i32_e32 v45, 31, v44
	s_and_saveexec_b64 s[30:31], s[26:27]
	s_cbranch_execz .LBB42_33
; %bb.32:                               ;   in Loop: Header=BB42_3 Depth=1
	v_lshlrev_b64 v[48:49], 2, v[44:45]
	s_waitcnt vmcnt(0)
	v_mov_b32_e32 v16, s39
	v_add_co_u32_e64 v48, s[28:29], s38, v48
	v_addc_co_u32_e64 v49, s[28:29], v16, v49, s[28:29]
	global_load_dword v16, v[48:49], off
.LBB42_33:                              ;   in Loop: Header=BB42_3 Depth=1
	s_or_b64 exec, exec, s[30:31]
	v_add_u32_e32 v46, s56, v0
	v_add_u32_e32 v47, s33, v47
	v_cmp_gt_i32_e64 s[28:29], s37, v47
	v_ashrrev_i32_e32 v47, 31, v46
	s_and_saveexec_b64 s[34:35], s[28:29]
	s_cbranch_execnz .LBB42_50
; %bb.34:                               ;   in Loop: Header=BB42_3 Depth=1
	s_or_b64 exec, exec, s[34:35]
	s_and_saveexec_b64 s[30:31], vcc
	s_cbranch_execnz .LBB42_51
.LBB42_35:                              ;   in Loop: Header=BB42_3 Depth=1
	s_or_b64 exec, exec, s[30:31]
	s_and_saveexec_b64 s[30:31], s[0:1]
	s_cbranch_execnz .LBB42_52
.LBB42_36:                              ;   in Loop: Header=BB42_3 Depth=1
	s_or_b64 exec, exec, s[30:31]
	s_and_saveexec_b64 s[0:1], s[2:3]
	s_cbranch_execnz .LBB42_53
.LBB42_37:                              ;   in Loop: Header=BB42_3 Depth=1
	s_or_b64 exec, exec, s[0:1]
	s_and_saveexec_b64 s[0:1], s[4:5]
	s_cbranch_execnz .LBB42_54
.LBB42_38:                              ;   in Loop: Header=BB42_3 Depth=1
	s_or_b64 exec, exec, s[0:1]
	s_and_saveexec_b64 s[0:1], s[6:7]
	s_cbranch_execnz .LBB42_55
.LBB42_39:                              ;   in Loop: Header=BB42_3 Depth=1
	s_or_b64 exec, exec, s[0:1]
	s_and_saveexec_b64 s[0:1], s[8:9]
	s_cbranch_execnz .LBB42_56
.LBB42_40:                              ;   in Loop: Header=BB42_3 Depth=1
	s_or_b64 exec, exec, s[0:1]
	s_and_saveexec_b64 s[0:1], s[10:11]
	s_cbranch_execnz .LBB42_57
.LBB42_41:                              ;   in Loop: Header=BB42_3 Depth=1
	s_or_b64 exec, exec, s[0:1]
	s_and_saveexec_b64 s[0:1], s[12:13]
	s_cbranch_execnz .LBB42_58
.LBB42_42:                              ;   in Loop: Header=BB42_3 Depth=1
	s_or_b64 exec, exec, s[0:1]
	s_and_saveexec_b64 s[0:1], s[14:15]
	s_cbranch_execnz .LBB42_59
.LBB42_43:                              ;   in Loop: Header=BB42_3 Depth=1
	s_or_b64 exec, exec, s[0:1]
	s_and_saveexec_b64 s[0:1], s[16:17]
	s_cbranch_execnz .LBB42_60
.LBB42_44:                              ;   in Loop: Header=BB42_3 Depth=1
	s_or_b64 exec, exec, s[0:1]
	s_and_saveexec_b64 s[0:1], s[18:19]
	s_cbranch_execnz .LBB42_61
.LBB42_45:                              ;   in Loop: Header=BB42_3 Depth=1
	s_or_b64 exec, exec, s[0:1]
	s_and_saveexec_b64 s[0:1], s[20:21]
	s_cbranch_execnz .LBB42_62
.LBB42_46:                              ;   in Loop: Header=BB42_3 Depth=1
	s_or_b64 exec, exec, s[0:1]
	s_and_saveexec_b64 s[0:1], s[22:23]
	s_cbranch_execnz .LBB42_63
.LBB42_47:                              ;   in Loop: Header=BB42_3 Depth=1
	s_or_b64 exec, exec, s[0:1]
	s_and_saveexec_b64 s[0:1], s[24:25]
	s_cbranch_execnz .LBB42_64
.LBB42_48:                              ;   in Loop: Header=BB42_3 Depth=1
	s_or_b64 exec, exec, s[0:1]
	s_and_saveexec_b64 s[0:1], s[26:27]
	s_cbranch_execnz .LBB42_65
.LBB42_49:                              ;   in Loop: Header=BB42_3 Depth=1
	s_or_b64 exec, exec, s[0:1]
	s_and_saveexec_b64 s[0:1], s[28:29]
	s_cbranch_execz .LBB42_2
	s_branch .LBB42_66
.LBB42_50:                              ;   in Loop: Header=BB42_3 Depth=1
	v_lshlrev_b64 v[48:49], 2, v[46:47]
	s_waitcnt vmcnt(0)
	v_mov_b32_e32 v17, s39
	v_add_co_u32_e64 v48, s[30:31], s38, v48
	v_addc_co_u32_e64 v49, s[30:31], v17, v49, s[30:31]
	global_load_dword v17, v[48:49], off
	s_or_b64 exec, exec, s[34:35]
	s_and_saveexec_b64 s[30:31], vcc
	s_cbranch_execz .LBB42_35
.LBB42_51:                              ;   in Loop: Header=BB42_3 Depth=1
	v_lshlrev_b64 v[48:49], 2, v[0:1]
	v_mov_b32_e32 v1, s41
	v_add_co_u32_e32 v48, vcc, s40, v48
	v_addc_co_u32_e32 v49, vcc, v1, v49, vcc
	s_waitcnt vmcnt(0)
	global_store_dword v[48:49], v2, off
	s_or_b64 exec, exec, s[30:31]
	s_and_saveexec_b64 s[30:31], s[0:1]
	s_cbranch_execz .LBB42_36
.LBB42_52:                              ;   in Loop: Header=BB42_3 Depth=1
	v_lshlrev_b64 v[18:19], 2, v[18:19]
	v_mov_b32_e32 v1, s41
	v_add_co_u32_e32 v18, vcc, s40, v18
	v_addc_co_u32_e32 v19, vcc, v1, v19, vcc
	s_waitcnt vmcnt(0)
	global_store_dword v[18:19], v3, off
	s_or_b64 exec, exec, s[30:31]
	s_and_saveexec_b64 s[0:1], s[2:3]
	s_cbranch_execz .LBB42_37
.LBB42_53:                              ;   in Loop: Header=BB42_3 Depth=1
	v_lshlrev_b64 v[18:19], 2, v[20:21]
	v_mov_b32_e32 v1, s41
	v_add_co_u32_e32 v18, vcc, s40, v18
	v_addc_co_u32_e32 v19, vcc, v1, v19, vcc
	s_waitcnt vmcnt(0)
	global_store_dword v[18:19], v4, off
	s_or_b64 exec, exec, s[0:1]
	s_and_saveexec_b64 s[0:1], s[4:5]
	s_cbranch_execz .LBB42_38
.LBB42_54:                              ;   in Loop: Header=BB42_3 Depth=1
	v_lshlrev_b64 v[18:19], 2, v[22:23]
	v_mov_b32_e32 v1, s41
	v_add_co_u32_e32 v18, vcc, s40, v18
	v_addc_co_u32_e32 v19, vcc, v1, v19, vcc
	s_waitcnt vmcnt(0)
	global_store_dword v[18:19], v5, off
	s_or_b64 exec, exec, s[0:1]
	s_and_saveexec_b64 s[0:1], s[6:7]
	s_cbranch_execz .LBB42_39
.LBB42_55:                              ;   in Loop: Header=BB42_3 Depth=1
	v_lshlrev_b64 v[18:19], 2, v[24:25]
	v_mov_b32_e32 v1, s41
	v_add_co_u32_e32 v18, vcc, s40, v18
	v_addc_co_u32_e32 v19, vcc, v1, v19, vcc
	s_waitcnt vmcnt(0)
	global_store_dword v[18:19], v6, off
	s_or_b64 exec, exec, s[0:1]
	s_and_saveexec_b64 s[0:1], s[8:9]
	s_cbranch_execz .LBB42_40
.LBB42_56:                              ;   in Loop: Header=BB42_3 Depth=1
	v_lshlrev_b64 v[18:19], 2, v[26:27]
	v_mov_b32_e32 v1, s41
	v_add_co_u32_e32 v18, vcc, s40, v18
	v_addc_co_u32_e32 v19, vcc, v1, v19, vcc
	s_waitcnt vmcnt(0)
	global_store_dword v[18:19], v7, off
	s_or_b64 exec, exec, s[0:1]
	s_and_saveexec_b64 s[0:1], s[10:11]
	s_cbranch_execz .LBB42_41
.LBB42_57:                              ;   in Loop: Header=BB42_3 Depth=1
	v_lshlrev_b64 v[18:19], 2, v[28:29]
	v_mov_b32_e32 v1, s41
	v_add_co_u32_e32 v18, vcc, s40, v18
	v_addc_co_u32_e32 v19, vcc, v1, v19, vcc
	s_waitcnt vmcnt(0)
	global_store_dword v[18:19], v8, off
	s_or_b64 exec, exec, s[0:1]
	s_and_saveexec_b64 s[0:1], s[12:13]
	s_cbranch_execz .LBB42_42
.LBB42_58:                              ;   in Loop: Header=BB42_3 Depth=1
	v_lshlrev_b64 v[18:19], 2, v[30:31]
	v_mov_b32_e32 v1, s41
	v_add_co_u32_e32 v18, vcc, s40, v18
	v_addc_co_u32_e32 v19, vcc, v1, v19, vcc
	s_waitcnt vmcnt(0)
	global_store_dword v[18:19], v9, off
	s_or_b64 exec, exec, s[0:1]
	s_and_saveexec_b64 s[0:1], s[14:15]
	s_cbranch_execz .LBB42_43
.LBB42_59:                              ;   in Loop: Header=BB42_3 Depth=1
	v_lshlrev_b64 v[18:19], 2, v[32:33]
	v_mov_b32_e32 v1, s41
	v_add_co_u32_e32 v18, vcc, s40, v18
	v_addc_co_u32_e32 v19, vcc, v1, v19, vcc
	s_waitcnt vmcnt(0)
	global_store_dword v[18:19], v10, off
	s_or_b64 exec, exec, s[0:1]
	s_and_saveexec_b64 s[0:1], s[16:17]
	s_cbranch_execz .LBB42_44
.LBB42_60:                              ;   in Loop: Header=BB42_3 Depth=1
	v_lshlrev_b64 v[18:19], 2, v[34:35]
	v_mov_b32_e32 v1, s41
	v_add_co_u32_e32 v18, vcc, s40, v18
	v_addc_co_u32_e32 v19, vcc, v1, v19, vcc
	s_waitcnt vmcnt(0)
	global_store_dword v[18:19], v11, off
	s_or_b64 exec, exec, s[0:1]
	s_and_saveexec_b64 s[0:1], s[18:19]
	s_cbranch_execz .LBB42_45
.LBB42_61:                              ;   in Loop: Header=BB42_3 Depth=1
	v_lshlrev_b64 v[18:19], 2, v[36:37]
	v_mov_b32_e32 v1, s41
	v_add_co_u32_e32 v18, vcc, s40, v18
	v_addc_co_u32_e32 v19, vcc, v1, v19, vcc
	s_waitcnt vmcnt(0)
	global_store_dword v[18:19], v12, off
	s_or_b64 exec, exec, s[0:1]
	s_and_saveexec_b64 s[0:1], s[20:21]
	s_cbranch_execz .LBB42_46
.LBB42_62:                              ;   in Loop: Header=BB42_3 Depth=1
	v_lshlrev_b64 v[18:19], 2, v[38:39]
	v_mov_b32_e32 v1, s41
	v_add_co_u32_e32 v18, vcc, s40, v18
	v_addc_co_u32_e32 v19, vcc, v1, v19, vcc
	s_waitcnt vmcnt(0)
	global_store_dword v[18:19], v13, off
	s_or_b64 exec, exec, s[0:1]
	s_and_saveexec_b64 s[0:1], s[22:23]
	s_cbranch_execz .LBB42_47
.LBB42_63:                              ;   in Loop: Header=BB42_3 Depth=1
	v_lshlrev_b64 v[18:19], 2, v[40:41]
	v_mov_b32_e32 v1, s41
	v_add_co_u32_e32 v18, vcc, s40, v18
	v_addc_co_u32_e32 v19, vcc, v1, v19, vcc
	s_waitcnt vmcnt(0)
	global_store_dword v[18:19], v14, off
	s_or_b64 exec, exec, s[0:1]
	s_and_saveexec_b64 s[0:1], s[24:25]
	s_cbranch_execz .LBB42_48
.LBB42_64:                              ;   in Loop: Header=BB42_3 Depth=1
	v_lshlrev_b64 v[18:19], 2, v[42:43]
	v_mov_b32_e32 v1, s41
	v_add_co_u32_e32 v18, vcc, s40, v18
	v_addc_co_u32_e32 v19, vcc, v1, v19, vcc
	s_waitcnt vmcnt(0)
	global_store_dword v[18:19], v15, off
	s_or_b64 exec, exec, s[0:1]
	s_and_saveexec_b64 s[0:1], s[26:27]
	s_cbranch_execz .LBB42_49
.LBB42_65:                              ;   in Loop: Header=BB42_3 Depth=1
	v_lshlrev_b64 v[18:19], 2, v[44:45]
	v_mov_b32_e32 v1, s41
	v_add_co_u32_e32 v18, vcc, s40, v18
	v_addc_co_u32_e32 v19, vcc, v1, v19, vcc
	s_waitcnt vmcnt(0)
	global_store_dword v[18:19], v16, off
	s_or_b64 exec, exec, s[0:1]
	s_and_saveexec_b64 s[0:1], s[28:29]
	s_cbranch_execz .LBB42_2
.LBB42_66:                              ;   in Loop: Header=BB42_3 Depth=1
	v_lshlrev_b64 v[18:19], 2, v[46:47]
	v_mov_b32_e32 v1, s41
	v_add_co_u32_e32 v18, vcc, s40, v18
	v_addc_co_u32_e32 v19, vcc, v1, v19, vcc
	s_waitcnt vmcnt(0)
	global_store_dword v[18:19], v17, off
	s_branch .LBB42_2
.LBB42_67:
	s_endpgm
	.section	.rodata,"a",@progbits
	.p2align	6, 0x0
	.amdhsa_kernel _ZN9rocsolver6v33100L11stedc_copyDIfEEviPT_lS3_l
		.amdhsa_group_segment_fixed_size 0
		.amdhsa_private_segment_fixed_size 0
		.amdhsa_kernarg_size 296
		.amdhsa_user_sgpr_count 6
		.amdhsa_user_sgpr_private_segment_buffer 1
		.amdhsa_user_sgpr_dispatch_ptr 0
		.amdhsa_user_sgpr_queue_ptr 0
		.amdhsa_user_sgpr_kernarg_segment_ptr 1
		.amdhsa_user_sgpr_dispatch_id 0
		.amdhsa_user_sgpr_flat_scratch_init 0
		.amdhsa_user_sgpr_kernarg_preload_length 0
		.amdhsa_user_sgpr_kernarg_preload_offset 0
		.amdhsa_user_sgpr_private_segment_size 0
		.amdhsa_uses_dynamic_stack 0
		.amdhsa_system_sgpr_private_segment_wavefront_offset 0
		.amdhsa_system_sgpr_workgroup_id_x 1
		.amdhsa_system_sgpr_workgroup_id_y 1
		.amdhsa_system_sgpr_workgroup_id_z 0
		.amdhsa_system_sgpr_workgroup_info 0
		.amdhsa_system_vgpr_workitem_id 0
		.amdhsa_next_free_vgpr 50
		.amdhsa_next_free_sgpr 57
		.amdhsa_accum_offset 52
		.amdhsa_reserve_vcc 1
		.amdhsa_reserve_flat_scratch 0
		.amdhsa_float_round_mode_32 0
		.amdhsa_float_round_mode_16_64 0
		.amdhsa_float_denorm_mode_32 3
		.amdhsa_float_denorm_mode_16_64 3
		.amdhsa_dx10_clamp 1
		.amdhsa_ieee_mode 1
		.amdhsa_fp16_overflow 0
		.amdhsa_tg_split 0
		.amdhsa_exception_fp_ieee_invalid_op 0
		.amdhsa_exception_fp_denorm_src 0
		.amdhsa_exception_fp_ieee_div_zero 0
		.amdhsa_exception_fp_ieee_overflow 0
		.amdhsa_exception_fp_ieee_underflow 0
		.amdhsa_exception_fp_ieee_inexact 0
		.amdhsa_exception_int_div_zero 0
	.end_amdhsa_kernel
	.section	.text._ZN9rocsolver6v33100L11stedc_copyDIfEEviPT_lS3_l,"axG",@progbits,_ZN9rocsolver6v33100L11stedc_copyDIfEEviPT_lS3_l,comdat
.Lfunc_end42:
	.size	_ZN9rocsolver6v33100L11stedc_copyDIfEEviPT_lS3_l, .Lfunc_end42-_ZN9rocsolver6v33100L11stedc_copyDIfEEviPT_lS3_l
                                        ; -- End function
	.section	.AMDGPU.csdata,"",@progbits
; Kernel info:
; codeLenInByte = 2356
; NumSgprs: 61
; NumVgprs: 50
; NumAgprs: 0
; TotalNumVgprs: 50
; ScratchSize: 0
; MemoryBound: 0
; FloatMode: 240
; IeeeMode: 1
; LDSByteSize: 0 bytes/workgroup (compile time only)
; SGPRBlocks: 7
; VGPRBlocks: 6
; NumSGPRsForWavesPerEU: 61
; NumVGPRsForWavesPerEU: 50
; AccumOffset: 52
; Occupancy: 8
; WaveLimiterHint : 0
; COMPUTE_PGM_RSRC2:SCRATCH_EN: 0
; COMPUTE_PGM_RSRC2:USER_SGPR: 6
; COMPUTE_PGM_RSRC2:TRAP_HANDLER: 0
; COMPUTE_PGM_RSRC2:TGID_X_EN: 1
; COMPUTE_PGM_RSRC2:TGID_Y_EN: 1
; COMPUTE_PGM_RSRC2:TGID_Z_EN: 0
; COMPUTE_PGM_RSRC2:TIDIG_COMP_CNT: 0
; COMPUTE_PGM_RSRC3_GFX90A:ACCUM_OFFSET: 12
; COMPUTE_PGM_RSRC3_GFX90A:TG_SPLIT: 0
	.section	.text._ZN9rocsolver6v33100L10stedc_sortIffPfS2_EEviPT0_lS4_lT1_iilT2_iil,"axG",@progbits,_ZN9rocsolver6v33100L10stedc_sortIffPfS2_EEviPT0_lS4_lT1_iilT2_iil,comdat
	.globl	_ZN9rocsolver6v33100L10stedc_sortIffPfS2_EEviPT0_lS4_lT1_iilT2_iil ; -- Begin function _ZN9rocsolver6v33100L10stedc_sortIffPfS2_EEviPT0_lS4_lT1_iilT2_iil
	.p2align	8
	.type	_ZN9rocsolver6v33100L10stedc_sortIffPfS2_EEviPT0_lS4_lT1_iilT2_iil,@function
_ZN9rocsolver6v33100L10stedc_sortIffPfS2_EEviPT0_lS4_lT1_iilT2_iil: ; @_ZN9rocsolver6v33100L10stedc_sortIffPfS2_EEviPT0_lS4_lT1_iilT2_iil
; %bb.0:
	s_load_dwordx8 s[36:43], s[4:5], 0x8
	s_ashr_i32 s64, s7, 31
	s_load_dword s2, s[4:5], 0x64
	s_mov_b32 s33, s7
	s_load_dword s52, s[4:5], 0x0
	s_waitcnt lgkmcnt(0)
	s_mul_i32 s0, s7, s39
	s_mul_hi_u32 s1, s7, s38
	s_add_i32 s0, s1, s0
	s_mul_i32 s1, s64, s38
	s_add_i32 s1, s0, s1
	s_mul_i32 s0, s7, s38
	s_lshl_b64 s[0:1], s[0:1], 2
	s_add_u32 s66, s36, s0
	s_addc_u32 s67, s37, s1
	s_ashr_i32 s7, s6, 31
	s_lshl_b64 s[44:45], s[6:7], 2
	s_add_u32 s0, s66, s44
	s_addc_u32 s1, s67, s45
	s_and_b32 s50, s2, 0xffff
	s_lshl_b32 s51, s50, 4
	v_cvt_f32_u32_e32 v1, s51
	s_sub_i32 s2, 0, s51
	s_load_dwordx2 s[38:39], s[4:5], 0x28
	s_load_dword s65, s[0:1], 0x0
	s_add_i32 s0, s52, -1
	v_rcp_iflag_f32_e32 v1, v1
	s_ashr_i32 s1, s0, 31
	s_abs_i32 s0, s0
	v_mov_b32_e32 v18, 0
	v_mul_f32_e32 v1, 0x4f7ffffe, v1
	v_cvt_u32_f32_e32 v1, v1
	s_mul_i32 s53, s50, 3
	s_mul_i32 s54, s50, 5
	;; [unrolled: 1-line block ×3, first 2 shown]
	v_readfirstlane_b32 s3, v1
	s_mul_i32 s2, s2, s3
	s_mul_hi_u32 s2, s3, s2
	s_add_i32 s3, s3, s2
	s_mul_hi_u32 s2, s0, s3
	s_mul_i32 s3, s2, s51
	s_sub_i32 s0, s0, s3
	s_add_i32 s3, s2, 1
	s_sub_i32 s7, s0, s51
	s_cmp_ge_u32 s0, s51
	s_cselect_b32 s2, s3, s2
	s_cselect_b32 s0, s7, s0
	s_add_i32 s3, s2, 1
	s_cmp_ge_u32 s0, s51
	s_cselect_b32 s0, s3, s2
	s_xor_b32 s0, s0, s1
	s_sub_i32 s7, s0, s1
	s_cmp_gt_i32 s7, -1
	s_cselect_b64 s[46:47], -1, 0
	s_cmp_lt_i32 s7, 0
	s_mul_i32 s56, s50, 7
	s_mul_i32 s57, s50, 9
	;; [unrolled: 1-line block ×8, first 2 shown]
	s_cbranch_scc1 .LBB43_67
; %bb.1:
	s_add_i32 s68, s7, 1
	s_lshl_b32 s69, s50, 1
	s_lshl_b32 s70, s50, 2
	;; [unrolled: 1-line block ×3, first 2 shown]
	v_mov_b32_e32 v1, 0
	v_mov_b32_e32 v18, v0
	;; [unrolled: 1-line block ×4, first 2 shown]
                                        ; implicit-def: $vgpr2_vgpr3_vgpr4_vgpr5_vgpr6_vgpr7_vgpr8_vgpr9_vgpr10_vgpr11_vgpr12_vgpr13_vgpr14_vgpr15_vgpr16_vgpr17
	s_branch .LBB43_3
.LBB43_2:                               ;   in Loop: Header=BB43_3 Depth=1
	s_or_b64 exec, exec, s[2:3]
	s_add_i32 s68, s68, -1
	s_cmp_eq_u32 s68, 0
	v_add_u32_e32 v18, s51, v18
	s_cbranch_scc1 .LBB43_68
.LBB43_3:                               ; =>This Inner Loop Header: Depth=1
	v_cmp_gt_i32_e32 vcc, s52, v18
	s_and_saveexec_b64 s[2:3], vcc
	s_cbranch_execz .LBB43_5
; %bb.4:                                ;   in Loop: Header=BB43_3 Depth=1
	v_ashrrev_i32_e32 v19, 31, v18
	v_lshlrev_b64 v[20:21], 2, v[18:19]
	s_waitcnt vmcnt(0)
	v_mov_b32_e32 v2, s67
	v_add_co_u32_e64 v20, s[0:1], s66, v20
	v_addc_co_u32_e64 v21, s[0:1], v2, v21, s[0:1]
	global_load_dword v2, v[20:21], off
.LBB43_5:                               ;   in Loop: Header=BB43_3 Depth=1
	s_or_b64 exec, exec, s[2:3]
	v_add_u32_e32 v20, s50, v18
	v_cmp_gt_i32_e64 s[0:1], s52, v20
	s_and_saveexec_b64 s[8:9], s[0:1]
	s_cbranch_execz .LBB43_7
; %bb.6:                                ;   in Loop: Header=BB43_3 Depth=1
	v_ashrrev_i32_e32 v21, 31, v20
	v_lshlrev_b64 v[22:23], 2, v[20:21]
	s_waitcnt vmcnt(0)
	v_mov_b32_e32 v3, s67
	v_add_co_u32_e64 v22, s[2:3], s66, v22
	v_addc_co_u32_e64 v23, s[2:3], v3, v23, s[2:3]
	global_load_dword v3, v[22:23], off
.LBB43_7:                               ;   in Loop: Header=BB43_3 Depth=1
	s_or_b64 exec, exec, s[8:9]
	v_add_u32_e32 v22, s69, v18
	v_cmp_gt_i32_e64 s[2:3], s52, v22
	s_and_saveexec_b64 s[10:11], s[2:3]
	s_cbranch_execz .LBB43_9
; %bb.8:                                ;   in Loop: Header=BB43_3 Depth=1
	v_ashrrev_i32_e32 v23, 31, v22
	v_lshlrev_b64 v[24:25], 2, v[22:23]
	s_waitcnt vmcnt(0)
	v_mov_b32_e32 v4, s67
	v_add_co_u32_e64 v24, s[8:9], s66, v24
	v_addc_co_u32_e64 v25, s[8:9], v4, v25, s[8:9]
	global_load_dword v4, v[24:25], off
.LBB43_9:                               ;   in Loop: Header=BB43_3 Depth=1
	s_or_b64 exec, exec, s[10:11]
	v_add_u32_e32 v24, s53, v18
	v_cmp_gt_i32_e64 s[8:9], s52, v24
	s_and_saveexec_b64 s[12:13], s[8:9]
	s_cbranch_execz .LBB43_11
; %bb.10:                               ;   in Loop: Header=BB43_3 Depth=1
	v_ashrrev_i32_e32 v25, 31, v24
	v_lshlrev_b64 v[26:27], 2, v[24:25]
	s_waitcnt vmcnt(0)
	v_mov_b32_e32 v5, s67
	v_add_co_u32_e64 v26, s[10:11], s66, v26
	v_addc_co_u32_e64 v27, s[10:11], v5, v27, s[10:11]
	global_load_dword v5, v[26:27], off
.LBB43_11:                              ;   in Loop: Header=BB43_3 Depth=1
	s_or_b64 exec, exec, s[12:13]
	v_add_u32_e32 v26, s70, v18
	v_cmp_gt_i32_e64 s[10:11], s52, v26
	s_and_saveexec_b64 s[14:15], s[10:11]
	s_cbranch_execz .LBB43_13
; %bb.12:                               ;   in Loop: Header=BB43_3 Depth=1
	v_ashrrev_i32_e32 v27, 31, v26
	v_lshlrev_b64 v[28:29], 2, v[26:27]
	s_waitcnt vmcnt(0)
	v_mov_b32_e32 v6, s67
	v_add_co_u32_e64 v28, s[12:13], s66, v28
	v_addc_co_u32_e64 v29, s[12:13], v6, v29, s[12:13]
	global_load_dword v6, v[28:29], off
.LBB43_13:                              ;   in Loop: Header=BB43_3 Depth=1
	s_or_b64 exec, exec, s[14:15]
	v_add_u32_e32 v28, s54, v18
	v_cmp_gt_i32_e64 s[12:13], s52, v28
	s_and_saveexec_b64 s[16:17], s[12:13]
	;; [unrolled: 14-line block ×12, first 2 shown]
	s_cbranch_execnz .LBB43_50
; %bb.34:                               ;   in Loop: Header=BB43_3 Depth=1
	s_or_b64 exec, exec, s[48:49]
	s_and_saveexec_b64 s[48:49], vcc
	s_cbranch_execnz .LBB43_51
.LBB43_35:                              ;   in Loop: Header=BB43_3 Depth=1
	s_or_b64 exec, exec, s[48:49]
	s_and_saveexec_b64 s[36:37], s[0:1]
	s_cbranch_execnz .LBB43_52
.LBB43_36:                              ;   in Loop: Header=BB43_3 Depth=1
	s_or_b64 exec, exec, s[36:37]
	s_and_saveexec_b64 s[36:37], s[2:3]
	s_cbranch_execnz .LBB43_53
.LBB43_37:                              ;   in Loop: Header=BB43_3 Depth=1
	s_or_b64 exec, exec, s[36:37]
	s_and_saveexec_b64 s[2:3], s[8:9]
	s_cbranch_execnz .LBB43_54
.LBB43_38:                              ;   in Loop: Header=BB43_3 Depth=1
	s_or_b64 exec, exec, s[2:3]
	s_and_saveexec_b64 s[2:3], s[10:11]
	s_cbranch_execnz .LBB43_55
.LBB43_39:                              ;   in Loop: Header=BB43_3 Depth=1
	s_or_b64 exec, exec, s[2:3]
	s_and_saveexec_b64 s[2:3], s[12:13]
	s_cbranch_execnz .LBB43_56
.LBB43_40:                              ;   in Loop: Header=BB43_3 Depth=1
	s_or_b64 exec, exec, s[2:3]
	s_and_saveexec_b64 s[2:3], s[14:15]
	s_cbranch_execnz .LBB43_57
.LBB43_41:                              ;   in Loop: Header=BB43_3 Depth=1
	s_or_b64 exec, exec, s[2:3]
	s_and_saveexec_b64 s[2:3], s[16:17]
	s_cbranch_execnz .LBB43_58
.LBB43_42:                              ;   in Loop: Header=BB43_3 Depth=1
	s_or_b64 exec, exec, s[2:3]
	s_and_saveexec_b64 s[2:3], s[18:19]
	s_cbranch_execnz .LBB43_59
.LBB43_43:                              ;   in Loop: Header=BB43_3 Depth=1
	s_or_b64 exec, exec, s[2:3]
	s_and_saveexec_b64 s[2:3], s[20:21]
	s_cbranch_execnz .LBB43_60
.LBB43_44:                              ;   in Loop: Header=BB43_3 Depth=1
	s_or_b64 exec, exec, s[2:3]
	s_and_saveexec_b64 s[2:3], s[22:23]
	s_cbranch_execnz .LBB43_61
.LBB43_45:                              ;   in Loop: Header=BB43_3 Depth=1
	s_or_b64 exec, exec, s[2:3]
	s_and_saveexec_b64 s[2:3], s[24:25]
	s_cbranch_execnz .LBB43_62
.LBB43_46:                              ;   in Loop: Header=BB43_3 Depth=1
	s_or_b64 exec, exec, s[2:3]
	s_and_saveexec_b64 s[2:3], s[26:27]
	s_cbranch_execnz .LBB43_63
.LBB43_47:                              ;   in Loop: Header=BB43_3 Depth=1
	s_or_b64 exec, exec, s[2:3]
	s_and_saveexec_b64 s[2:3], s[28:29]
	s_cbranch_execnz .LBB43_64
.LBB43_48:                              ;   in Loop: Header=BB43_3 Depth=1
	s_or_b64 exec, exec, s[2:3]
	s_and_saveexec_b64 s[2:3], s[30:31]
	s_cbranch_execnz .LBB43_65
.LBB43_49:                              ;   in Loop: Header=BB43_3 Depth=1
	s_or_b64 exec, exec, s[2:3]
	s_and_saveexec_b64 s[2:3], s[34:35]
	s_cbranch_execz .LBB43_2
	s_branch .LBB43_66
.LBB43_50:                              ;   in Loop: Header=BB43_3 Depth=1
	v_ashrrev_i32_e32 v49, 31, v48
	v_lshlrev_b64 v[52:53], 2, v[48:49]
	s_waitcnt vmcnt(0)
	v_mov_b32_e32 v17, s67
	v_add_co_u32_e64 v52, s[36:37], s66, v52
	v_addc_co_u32_e64 v53, s[36:37], v17, v53, s[36:37]
	global_load_dword v17, v[52:53], off
	s_or_b64 exec, exec, s[48:49]
	s_and_saveexec_b64 s[48:49], vcc
	s_cbranch_execz .LBB43_35
.LBB43_51:                              ;   in Loop: Header=BB43_3 Depth=1
	s_waitcnt vmcnt(0)
	v_cmp_u_f32_e32 vcc, v2, v2
	v_addc_co_u32_e32 v1, vcc, 0, v1, vcc
	s_waitcnt lgkmcnt(0)
	v_cmp_gt_f32_e32 vcc, s65, v2
	v_addc_co_u32_e32 v50, vcc, 0, v50, vcc
	v_cmp_eq_f32_e32 vcc, s65, v2
	v_cmp_gt_i32_e64 s[36:37], s6, v18
	s_and_b64 vcc, vcc, s[36:37]
	v_addc_co_u32_e32 v51, vcc, 0, v51, vcc
	s_or_b64 exec, exec, s[48:49]
	s_and_saveexec_b64 s[36:37], s[0:1]
	s_cbranch_execz .LBB43_36
.LBB43_52:                              ;   in Loop: Header=BB43_3 Depth=1
	s_waitcnt vmcnt(0)
	v_cmp_u_f32_e32 vcc, v3, v3
	v_addc_co_u32_e32 v1, vcc, 0, v1, vcc
	s_waitcnt lgkmcnt(0)
	v_cmp_gt_f32_e32 vcc, s65, v3
	v_addc_co_u32_e32 v50, vcc, 0, v50, vcc
	v_cmp_eq_f32_e32 vcc, s65, v3
	v_cmp_gt_i32_e64 s[0:1], s6, v20
	s_and_b64 vcc, vcc, s[0:1]
	v_addc_co_u32_e32 v51, vcc, 0, v51, vcc
	s_or_b64 exec, exec, s[36:37]
	s_and_saveexec_b64 s[36:37], s[2:3]
	s_cbranch_execz .LBB43_37
.LBB43_53:                              ;   in Loop: Header=BB43_3 Depth=1
	s_waitcnt vmcnt(0)
	v_cmp_u_f32_e32 vcc, v4, v4
	v_addc_co_u32_e32 v1, vcc, 0, v1, vcc
	s_waitcnt lgkmcnt(0)
	v_cmp_gt_f32_e32 vcc, s65, v4
	v_addc_co_u32_e32 v50, vcc, 0, v50, vcc
	v_cmp_eq_f32_e32 vcc, s65, v4
	v_cmp_gt_i32_e64 s[0:1], s6, v22
	s_and_b64 vcc, vcc, s[0:1]
	v_addc_co_u32_e32 v51, vcc, 0, v51, vcc
	s_or_b64 exec, exec, s[36:37]
	s_and_saveexec_b64 s[2:3], s[8:9]
	s_cbranch_execz .LBB43_38
.LBB43_54:                              ;   in Loop: Header=BB43_3 Depth=1
	s_waitcnt vmcnt(0)
	v_cmp_u_f32_e32 vcc, v5, v5
	v_addc_co_u32_e32 v1, vcc, 0, v1, vcc
	s_waitcnt lgkmcnt(0)
	v_cmp_gt_f32_e32 vcc, s65, v5
	v_addc_co_u32_e32 v50, vcc, 0, v50, vcc
	v_cmp_eq_f32_e32 vcc, s65, v5
	v_cmp_gt_i32_e64 s[0:1], s6, v24
	s_and_b64 vcc, vcc, s[0:1]
	v_addc_co_u32_e32 v51, vcc, 0, v51, vcc
	s_or_b64 exec, exec, s[2:3]
	s_and_saveexec_b64 s[2:3], s[10:11]
	s_cbranch_execz .LBB43_39
.LBB43_55:                              ;   in Loop: Header=BB43_3 Depth=1
	s_waitcnt vmcnt(0)
	v_cmp_u_f32_e32 vcc, v6, v6
	v_addc_co_u32_e32 v1, vcc, 0, v1, vcc
	s_waitcnt lgkmcnt(0)
	v_cmp_gt_f32_e32 vcc, s65, v6
	v_addc_co_u32_e32 v50, vcc, 0, v50, vcc
	v_cmp_eq_f32_e32 vcc, s65, v6
	v_cmp_gt_i32_e64 s[0:1], s6, v26
	s_and_b64 vcc, vcc, s[0:1]
	v_addc_co_u32_e32 v51, vcc, 0, v51, vcc
	s_or_b64 exec, exec, s[2:3]
	s_and_saveexec_b64 s[2:3], s[12:13]
	s_cbranch_execz .LBB43_40
.LBB43_56:                              ;   in Loop: Header=BB43_3 Depth=1
	s_waitcnt vmcnt(0)
	v_cmp_u_f32_e32 vcc, v7, v7
	v_addc_co_u32_e32 v1, vcc, 0, v1, vcc
	s_waitcnt lgkmcnt(0)
	v_cmp_gt_f32_e32 vcc, s65, v7
	v_addc_co_u32_e32 v50, vcc, 0, v50, vcc
	v_cmp_eq_f32_e32 vcc, s65, v7
	v_cmp_gt_i32_e64 s[0:1], s6, v28
	s_and_b64 vcc, vcc, s[0:1]
	v_addc_co_u32_e32 v51, vcc, 0, v51, vcc
	s_or_b64 exec, exec, s[2:3]
	s_and_saveexec_b64 s[2:3], s[14:15]
	s_cbranch_execz .LBB43_41
.LBB43_57:                              ;   in Loop: Header=BB43_3 Depth=1
	s_waitcnt vmcnt(0)
	v_cmp_u_f32_e32 vcc, v8, v8
	v_addc_co_u32_e32 v1, vcc, 0, v1, vcc
	s_waitcnt lgkmcnt(0)
	v_cmp_gt_f32_e32 vcc, s65, v8
	v_addc_co_u32_e32 v50, vcc, 0, v50, vcc
	v_cmp_eq_f32_e32 vcc, s65, v8
	v_cmp_gt_i32_e64 s[0:1], s6, v30
	s_and_b64 vcc, vcc, s[0:1]
	v_addc_co_u32_e32 v51, vcc, 0, v51, vcc
	s_or_b64 exec, exec, s[2:3]
	s_and_saveexec_b64 s[2:3], s[16:17]
	s_cbranch_execz .LBB43_42
.LBB43_58:                              ;   in Loop: Header=BB43_3 Depth=1
	s_waitcnt vmcnt(0)
	v_cmp_u_f32_e32 vcc, v9, v9
	v_addc_co_u32_e32 v1, vcc, 0, v1, vcc
	s_waitcnt lgkmcnt(0)
	v_cmp_gt_f32_e32 vcc, s65, v9
	v_addc_co_u32_e32 v50, vcc, 0, v50, vcc
	v_cmp_eq_f32_e32 vcc, s65, v9
	v_cmp_gt_i32_e64 s[0:1], s6, v32
	s_and_b64 vcc, vcc, s[0:1]
	v_addc_co_u32_e32 v51, vcc, 0, v51, vcc
	s_or_b64 exec, exec, s[2:3]
	s_and_saveexec_b64 s[2:3], s[18:19]
	s_cbranch_execz .LBB43_43
.LBB43_59:                              ;   in Loop: Header=BB43_3 Depth=1
	s_waitcnt vmcnt(0)
	v_cmp_u_f32_e32 vcc, v10, v10
	v_addc_co_u32_e32 v1, vcc, 0, v1, vcc
	s_waitcnt lgkmcnt(0)
	v_cmp_gt_f32_e32 vcc, s65, v10
	v_addc_co_u32_e32 v50, vcc, 0, v50, vcc
	v_cmp_eq_f32_e32 vcc, s65, v10
	v_cmp_gt_i32_e64 s[0:1], s6, v34
	s_and_b64 vcc, vcc, s[0:1]
	v_addc_co_u32_e32 v51, vcc, 0, v51, vcc
	s_or_b64 exec, exec, s[2:3]
	s_and_saveexec_b64 s[2:3], s[20:21]
	s_cbranch_execz .LBB43_44
.LBB43_60:                              ;   in Loop: Header=BB43_3 Depth=1
	s_waitcnt vmcnt(0)
	v_cmp_u_f32_e32 vcc, v11, v11
	v_addc_co_u32_e32 v1, vcc, 0, v1, vcc
	s_waitcnt lgkmcnt(0)
	v_cmp_gt_f32_e32 vcc, s65, v11
	v_addc_co_u32_e32 v50, vcc, 0, v50, vcc
	v_cmp_eq_f32_e32 vcc, s65, v11
	v_cmp_gt_i32_e64 s[0:1], s6, v36
	s_and_b64 vcc, vcc, s[0:1]
	v_addc_co_u32_e32 v51, vcc, 0, v51, vcc
	s_or_b64 exec, exec, s[2:3]
	s_and_saveexec_b64 s[2:3], s[22:23]
	s_cbranch_execz .LBB43_45
.LBB43_61:                              ;   in Loop: Header=BB43_3 Depth=1
	s_waitcnt vmcnt(0)
	v_cmp_u_f32_e32 vcc, v12, v12
	v_addc_co_u32_e32 v1, vcc, 0, v1, vcc
	s_waitcnt lgkmcnt(0)
	v_cmp_gt_f32_e32 vcc, s65, v12
	v_addc_co_u32_e32 v50, vcc, 0, v50, vcc
	v_cmp_eq_f32_e32 vcc, s65, v12
	v_cmp_gt_i32_e64 s[0:1], s6, v38
	s_and_b64 vcc, vcc, s[0:1]
	v_addc_co_u32_e32 v51, vcc, 0, v51, vcc
	s_or_b64 exec, exec, s[2:3]
	s_and_saveexec_b64 s[2:3], s[24:25]
	s_cbranch_execz .LBB43_46
.LBB43_62:                              ;   in Loop: Header=BB43_3 Depth=1
	s_waitcnt vmcnt(0)
	v_cmp_u_f32_e32 vcc, v13, v13
	v_addc_co_u32_e32 v1, vcc, 0, v1, vcc
	s_waitcnt lgkmcnt(0)
	v_cmp_gt_f32_e32 vcc, s65, v13
	v_addc_co_u32_e32 v50, vcc, 0, v50, vcc
	v_cmp_eq_f32_e32 vcc, s65, v13
	v_cmp_gt_i32_e64 s[0:1], s6, v40
	s_and_b64 vcc, vcc, s[0:1]
	v_addc_co_u32_e32 v51, vcc, 0, v51, vcc
	s_or_b64 exec, exec, s[2:3]
	s_and_saveexec_b64 s[2:3], s[26:27]
	s_cbranch_execz .LBB43_47
.LBB43_63:                              ;   in Loop: Header=BB43_3 Depth=1
	s_waitcnt vmcnt(0)
	v_cmp_u_f32_e32 vcc, v14, v14
	v_addc_co_u32_e32 v1, vcc, 0, v1, vcc
	s_waitcnt lgkmcnt(0)
	v_cmp_gt_f32_e32 vcc, s65, v14
	v_addc_co_u32_e32 v50, vcc, 0, v50, vcc
	v_cmp_eq_f32_e32 vcc, s65, v14
	v_cmp_gt_i32_e64 s[0:1], s6, v42
	s_and_b64 vcc, vcc, s[0:1]
	v_addc_co_u32_e32 v51, vcc, 0, v51, vcc
	s_or_b64 exec, exec, s[2:3]
	s_and_saveexec_b64 s[2:3], s[28:29]
	s_cbranch_execz .LBB43_48
.LBB43_64:                              ;   in Loop: Header=BB43_3 Depth=1
	s_waitcnt vmcnt(0)
	v_cmp_u_f32_e32 vcc, v15, v15
	v_addc_co_u32_e32 v1, vcc, 0, v1, vcc
	s_waitcnt lgkmcnt(0)
	v_cmp_gt_f32_e32 vcc, s65, v15
	v_addc_co_u32_e32 v50, vcc, 0, v50, vcc
	v_cmp_eq_f32_e32 vcc, s65, v15
	v_cmp_gt_i32_e64 s[0:1], s6, v44
	s_and_b64 vcc, vcc, s[0:1]
	v_addc_co_u32_e32 v51, vcc, 0, v51, vcc
	s_or_b64 exec, exec, s[2:3]
	s_and_saveexec_b64 s[2:3], s[30:31]
	s_cbranch_execz .LBB43_49
.LBB43_65:                              ;   in Loop: Header=BB43_3 Depth=1
	s_waitcnt vmcnt(0)
	v_cmp_u_f32_e32 vcc, v16, v16
	v_addc_co_u32_e32 v1, vcc, 0, v1, vcc
	s_waitcnt lgkmcnt(0)
	v_cmp_gt_f32_e32 vcc, s65, v16
	v_addc_co_u32_e32 v50, vcc, 0, v50, vcc
	v_cmp_eq_f32_e32 vcc, s65, v16
	v_cmp_gt_i32_e64 s[0:1], s6, v46
	s_and_b64 vcc, vcc, s[0:1]
	v_addc_co_u32_e32 v51, vcc, 0, v51, vcc
	s_or_b64 exec, exec, s[2:3]
	s_and_saveexec_b64 s[2:3], s[34:35]
	s_cbranch_execz .LBB43_2
.LBB43_66:                              ;   in Loop: Header=BB43_3 Depth=1
	s_waitcnt vmcnt(0)
	v_cmp_u_f32_e32 vcc, v17, v17
	v_addc_co_u32_e32 v1, vcc, 0, v1, vcc
	s_waitcnt lgkmcnt(0)
	v_cmp_gt_f32_e32 vcc, s65, v17
	v_addc_co_u32_e32 v50, vcc, 0, v50, vcc
	v_cmp_eq_f32_e32 vcc, s65, v17
	v_cmp_gt_i32_e64 s[0:1], s6, v48
	s_and_b64 vcc, vcc, s[0:1]
	v_addc_co_u32_e32 v51, vcc, 0, v51, vcc
	s_branch .LBB43_2
.LBB43_67:
	s_mov_b64 s[0:1], -1
                                        ; implicit-def: $vgpr2_vgpr3_vgpr4_vgpr5_vgpr6_vgpr7_vgpr8_vgpr9_vgpr10_vgpr11_vgpr12_vgpr13_vgpr14_vgpr15_vgpr16_vgpr17
	v_lshlrev_b32_e32 v1, 2, v0
	s_cmp_lt_u32 s50, 2
	ds_write_b32 v1, v18
	s_cbranch_scc0 .LBB43_69
	s_branch .LBB43_73
.LBB43_68:
	v_add_u32_e32 v18, v50, v51
	v_cmp_eq_u32_e64 s[0:1], 0, v1
	v_lshlrev_b32_e32 v1, 2, v0
	s_cmp_lt_u32 s50, 2
	ds_write_b32 v1, v18
	s_cbranch_scc1 .LBB43_73
.LBB43_69:
	s_mov_b32 s8, s50
	s_branch .LBB43_71
.LBB43_70:                              ;   in Loop: Header=BB43_71 Depth=1
	s_or_b64 exec, exec, s[2:3]
	s_cmp_lt_u32 s8, 4
	s_mov_b32 s8, s9
	s_cbranch_scc1 .LBB43_73
.LBB43_71:                              ; =>This Inner Loop Header: Depth=1
	s_lshr_b32 s9, s8, 1
	v_cmp_gt_u32_e32 vcc, s9, v0
	s_waitcnt lgkmcnt(0)
	s_barrier
	s_and_saveexec_b64 s[2:3], vcc
	s_cbranch_execz .LBB43_70
; %bb.72:                               ;   in Loop: Header=BB43_71 Depth=1
	v_lshl_add_u32 v19, s9, 2, v1
	ds_read_b32 v19, v19
	s_waitcnt lgkmcnt(0)
	v_add_u32_e32 v18, v19, v18
	ds_write_b32 v1, v18
	s_branch .LBB43_70
.LBB43_73:
	v_mov_b32_e32 v1, 0
	s_xor_b64 s[2:3], s[0:1], -1
	s_mul_i32 s0, s33, s43
	s_mul_hi_u32 s1, s33, s42
	s_waitcnt lgkmcnt(0)
	s_barrier
	ds_read_b32 v18, v1
	s_add_i32 s0, s1, s0
	s_mul_i32 s1, s64, s42
	s_add_i32 s1, s0, s1
	s_mul_i32 s0, s33, s42
	s_lshl_b64 s[0:1], s[0:1], 2
	s_add_u32 s10, s40, s0
	s_addc_u32 s11, s41, s1
	s_waitcnt lgkmcnt(0)
	v_readfirstlane_b32 s0, v18
	v_cmp_eq_u32_e32 vcc, 0, v0
	s_and_saveexec_b64 s[8:9], vcc
	s_cbranch_execnz .LBB43_76
; %bb.74:
	s_or_b64 exec, exec, s[8:9]
	s_and_saveexec_b64 s[8:9], s[2:3]
	s_cbranch_execnz .LBB43_77
.LBB43_75:
	s_or_b64 exec, exec, s[8:9]
	s_andn2_b64 vcc, exec, s[46:47]
	s_cbranch_vccz .LBB43_78
	s_branch .LBB43_144
.LBB43_76:
	s_ashr_i32 s1, s0, 31
	s_lshl_b64 s[12:13], s[0:1], 2
	s_add_u32 s12, s10, s12
	s_addc_u32 s13, s11, s13
	v_mov_b32_e32 v18, s65
	global_store_dword v1, v18, s[12:13]
	s_or_b64 exec, exec, s[8:9]
	s_and_saveexec_b64 s[8:9], s[2:3]
	s_cbranch_execz .LBB43_75
.LBB43_77:
	s_add_u32 s2, s10, s44
	s_addc_u32 s3, s11, s45
	v_mov_b32_e32 v1, 0
	v_mov_b32_e32 v18, 0x7fc00000
	global_store_dword v1, v18, s[2:3]
	s_or_b64 exec, exec, s[8:9]
	s_andn2_b64 vcc, exec, s[46:47]
	s_cbranch_vccnz .LBB43_144
.LBB43_78:
	s_load_dwordx2 s[2:3], s[4:5], 0x30
	s_load_dwordx8 s[8:15], s[4:5], 0x38
	s_waitcnt lgkmcnt(0)
	s_ashr_i32 s5, s2, 31
	s_mov_b32 s4, s2
	s_mul_i32 s1, s33, s9
	s_mul_hi_u32 s2, s33, s8
	s_add_i32 s1, s2, s1
	s_mul_i32 s2, s64, s8
	s_add_i32 s9, s1, s2
	s_mul_i32 s8, s33, s8
	s_lshl_b64 s[8:9], s[8:9], 2
	s_add_u32 s1, s38, s8
	s_addc_u32 s2, s39, s9
	s_lshl_b64 s[4:5], s[4:5], 2
	s_add_u32 s1, s1, s4
	s_addc_u32 s16, s2, s5
	s_mul_i32 s2, s33, s15
	s_mul_hi_u32 s8, s33, s14
	s_add_i32 s2, s8, s2
	s_mul_i32 s8, s64, s14
	s_add_i32 s9, s2, s8
	s_mul_i32 s8, s33, s14
	s_ashr_i32 s5, s12, 31
	s_lshl_b64 s[8:9], s[8:9], 2
	s_mov_b32 s4, s12
	s_add_u32 s2, s10, s8
	s_addc_u32 s8, s11, s9
	s_lshl_b64 s[4:5], s[4:5], 2
	s_add_u32 s4, s2, s4
	s_mul_i32 s2, s6, s3
	s_addc_u32 s5, s8, s5
	s_ashr_i32 s3, s2, 31
	s_lshl_b64 s[2:3], s[2:3], 2
	s_add_u32 s33, s1, s2
	s_mul_i32 s0, s0, s13
	s_addc_u32 s36, s16, s3
	s_ashr_i32 s1, s0, 31
	s_lshl_b64 s[0:1], s[0:1], 2
	s_add_u32 s37, s4, s0
	s_addc_u32 s38, s5, s1
	s_add_i32 s39, s7, 1
	s_lshl_b32 s40, s50, 1
	s_lshl_b32 s41, s50, 2
	;; [unrolled: 1-line block ×3, first 2 shown]
	s_branch .LBB43_80
.LBB43_79:                              ;   in Loop: Header=BB43_80 Depth=1
	s_or_b64 exec, exec, s[0:1]
	s_add_i32 s39, s39, -1
	s_cmp_eq_u32 s39, 0
	v_add_u32_e32 v0, s51, v0
	s_cbranch_scc1 .LBB43_144
.LBB43_80:                              ; =>This Inner Loop Header: Depth=1
	v_cmp_gt_i32_e32 vcc, s52, v0
	v_ashrrev_i32_e32 v1, 31, v0
	s_and_saveexec_b64 s[2:3], vcc
	s_cbranch_execz .LBB43_82
; %bb.81:                               ;   in Loop: Header=BB43_80 Depth=1
	v_lshlrev_b64 v[18:19], 2, v[0:1]
	s_waitcnt vmcnt(0)
	v_mov_b32_e32 v2, s36
	v_add_co_u32_e64 v18, s[0:1], s33, v18
	v_addc_co_u32_e64 v19, s[0:1], v2, v19, s[0:1]
	global_load_dword v2, v[18:19], off
.LBB43_82:                              ;   in Loop: Header=BB43_80 Depth=1
	s_or_b64 exec, exec, s[2:3]
	v_add_u32_e32 v18, s50, v0
	v_cmp_gt_i32_e64 s[0:1], s52, v18
	v_ashrrev_i32_e32 v19, 31, v18
	s_and_saveexec_b64 s[4:5], s[0:1]
	s_cbranch_execz .LBB43_84
; %bb.83:                               ;   in Loop: Header=BB43_80 Depth=1
	v_lshlrev_b64 v[20:21], 2, v[18:19]
	s_waitcnt vmcnt(0)
	v_mov_b32_e32 v3, s36
	v_add_co_u32_e64 v20, s[2:3], s33, v20
	v_addc_co_u32_e64 v21, s[2:3], v3, v21, s[2:3]
	global_load_dword v3, v[20:21], off
.LBB43_84:                              ;   in Loop: Header=BB43_80 Depth=1
	s_or_b64 exec, exec, s[4:5]
	v_add_u32_e32 v20, s40, v0
	v_add_u32_e32 v23, s50, v18
	v_cmp_gt_i32_e64 s[2:3], s52, v23
	v_ashrrev_i32_e32 v21, 31, v20
	s_and_saveexec_b64 s[6:7], s[2:3]
	s_cbranch_execz .LBB43_86
; %bb.85:                               ;   in Loop: Header=BB43_80 Depth=1
	v_lshlrev_b64 v[24:25], 2, v[20:21]
	s_waitcnt vmcnt(0)
	v_mov_b32_e32 v4, s36
	v_add_co_u32_e64 v24, s[4:5], s33, v24
	v_addc_co_u32_e64 v25, s[4:5], v4, v25, s[4:5]
	global_load_dword v4, v[24:25], off
.LBB43_86:                              ;   in Loop: Header=BB43_80 Depth=1
	s_or_b64 exec, exec, s[6:7]
	v_add_u32_e32 v22, s53, v0
	;; [unrolled: 15-line block ×8, first 2 shown]
	v_add_u32_e32 v37, s50, v35
	v_cmp_gt_i32_e64 s[16:17], s52, v37
	v_ashrrev_i32_e32 v35, 31, v34
	s_and_saveexec_b64 s[20:21], s[16:17]
	s_cbranch_execz .LBB43_100
; %bb.99:                               ;   in Loop: Header=BB43_80 Depth=1
	v_lshlrev_b64 v[38:39], 2, v[34:35]
	s_waitcnt vmcnt(0)
	v_mov_b32_e32 v11, s36
	v_add_co_u32_e64 v38, s[18:19], s33, v38
	v_addc_co_u32_e64 v39, s[18:19], v11, v39, s[18:19]
	global_load_dword v11, v[38:39], off
.LBB43_100:                             ;   in Loop: Header=BB43_80 Depth=1
	s_or_b64 exec, exec, s[20:21]
	v_add_u32_e32 v36, s58, v0
	v_add_u32_e32 v39, s50, v37
	v_cmp_gt_i32_e64 s[18:19], s52, v39
	v_ashrrev_i32_e32 v37, 31, v36
	s_and_saveexec_b64 s[22:23], s[18:19]
	s_cbranch_execz .LBB43_102
; %bb.101:                              ;   in Loop: Header=BB43_80 Depth=1
	v_lshlrev_b64 v[40:41], 2, v[36:37]
	s_waitcnt vmcnt(0)
	v_mov_b32_e32 v12, s36
	v_add_co_u32_e64 v40, s[20:21], s33, v40
	v_addc_co_u32_e64 v41, s[20:21], v12, v41, s[20:21]
	global_load_dword v12, v[40:41], off
.LBB43_102:                             ;   in Loop: Header=BB43_80 Depth=1
	s_or_b64 exec, exec, s[22:23]
	v_add_u32_e32 v38, s59, v0
	v_add_u32_e32 v41, s50, v39
	v_cmp_gt_i32_e64 s[20:21], s52, v41
	v_ashrrev_i32_e32 v39, 31, v38
	s_and_saveexec_b64 s[24:25], s[20:21]
	s_cbranch_execz .LBB43_104
; %bb.103:                              ;   in Loop: Header=BB43_80 Depth=1
	v_lshlrev_b64 v[42:43], 2, v[38:39]
	s_waitcnt vmcnt(0)
	v_mov_b32_e32 v13, s36
	v_add_co_u32_e64 v42, s[22:23], s33, v42
	v_addc_co_u32_e64 v43, s[22:23], v13, v43, s[22:23]
	global_load_dword v13, v[42:43], off
.LBB43_104:                             ;   in Loop: Header=BB43_80 Depth=1
	;; [unrolled: 15-line block ×5, first 2 shown]
	s_or_b64 exec, exec, s[30:31]
	v_add_u32_e32 v46, s63, v0
	v_add_u32_e32 v47, s50, v47
	v_cmp_gt_i32_e64 s[28:29], s52, v47
	v_ashrrev_i32_e32 v47, 31, v46
	s_and_saveexec_b64 s[34:35], s[28:29]
	s_cbranch_execnz .LBB43_127
; %bb.111:                              ;   in Loop: Header=BB43_80 Depth=1
	s_or_b64 exec, exec, s[34:35]
	s_and_saveexec_b64 s[30:31], vcc
	s_cbranch_execnz .LBB43_128
.LBB43_112:                             ;   in Loop: Header=BB43_80 Depth=1
	s_or_b64 exec, exec, s[30:31]
	s_and_saveexec_b64 s[30:31], s[0:1]
	s_cbranch_execnz .LBB43_129
.LBB43_113:                             ;   in Loop: Header=BB43_80 Depth=1
	s_or_b64 exec, exec, s[30:31]
	s_and_saveexec_b64 s[0:1], s[2:3]
	s_cbranch_execnz .LBB43_130
.LBB43_114:                             ;   in Loop: Header=BB43_80 Depth=1
	s_or_b64 exec, exec, s[0:1]
	s_and_saveexec_b64 s[0:1], s[4:5]
	s_cbranch_execnz .LBB43_131
.LBB43_115:                             ;   in Loop: Header=BB43_80 Depth=1
	s_or_b64 exec, exec, s[0:1]
	s_and_saveexec_b64 s[0:1], s[6:7]
	s_cbranch_execnz .LBB43_132
.LBB43_116:                             ;   in Loop: Header=BB43_80 Depth=1
	s_or_b64 exec, exec, s[0:1]
	s_and_saveexec_b64 s[0:1], s[8:9]
	s_cbranch_execnz .LBB43_133
.LBB43_117:                             ;   in Loop: Header=BB43_80 Depth=1
	s_or_b64 exec, exec, s[0:1]
	s_and_saveexec_b64 s[0:1], s[10:11]
	s_cbranch_execnz .LBB43_134
.LBB43_118:                             ;   in Loop: Header=BB43_80 Depth=1
	s_or_b64 exec, exec, s[0:1]
	s_and_saveexec_b64 s[0:1], s[12:13]
	s_cbranch_execnz .LBB43_135
.LBB43_119:                             ;   in Loop: Header=BB43_80 Depth=1
	s_or_b64 exec, exec, s[0:1]
	s_and_saveexec_b64 s[0:1], s[14:15]
	s_cbranch_execnz .LBB43_136
.LBB43_120:                             ;   in Loop: Header=BB43_80 Depth=1
	s_or_b64 exec, exec, s[0:1]
	s_and_saveexec_b64 s[0:1], s[16:17]
	s_cbranch_execnz .LBB43_137
.LBB43_121:                             ;   in Loop: Header=BB43_80 Depth=1
	s_or_b64 exec, exec, s[0:1]
	s_and_saveexec_b64 s[0:1], s[18:19]
	s_cbranch_execnz .LBB43_138
.LBB43_122:                             ;   in Loop: Header=BB43_80 Depth=1
	s_or_b64 exec, exec, s[0:1]
	s_and_saveexec_b64 s[0:1], s[20:21]
	s_cbranch_execnz .LBB43_139
.LBB43_123:                             ;   in Loop: Header=BB43_80 Depth=1
	s_or_b64 exec, exec, s[0:1]
	s_and_saveexec_b64 s[0:1], s[22:23]
	s_cbranch_execnz .LBB43_140
.LBB43_124:                             ;   in Loop: Header=BB43_80 Depth=1
	s_or_b64 exec, exec, s[0:1]
	s_and_saveexec_b64 s[0:1], s[24:25]
	s_cbranch_execnz .LBB43_141
.LBB43_125:                             ;   in Loop: Header=BB43_80 Depth=1
	s_or_b64 exec, exec, s[0:1]
	s_and_saveexec_b64 s[0:1], s[26:27]
	s_cbranch_execnz .LBB43_142
.LBB43_126:                             ;   in Loop: Header=BB43_80 Depth=1
	s_or_b64 exec, exec, s[0:1]
	s_and_saveexec_b64 s[0:1], s[28:29]
	s_cbranch_execz .LBB43_79
	s_branch .LBB43_143
.LBB43_127:                             ;   in Loop: Header=BB43_80 Depth=1
	v_lshlrev_b64 v[48:49], 2, v[46:47]
	s_waitcnt vmcnt(0)
	v_mov_b32_e32 v17, s36
	v_add_co_u32_e64 v48, s[30:31], s33, v48
	v_addc_co_u32_e64 v49, s[30:31], v17, v49, s[30:31]
	global_load_dword v17, v[48:49], off
	s_or_b64 exec, exec, s[34:35]
	s_and_saveexec_b64 s[30:31], vcc
	s_cbranch_execz .LBB43_112
.LBB43_128:                             ;   in Loop: Header=BB43_80 Depth=1
	v_lshlrev_b64 v[48:49], 2, v[0:1]
	v_mov_b32_e32 v1, s38
	v_add_co_u32_e32 v48, vcc, s37, v48
	v_addc_co_u32_e32 v49, vcc, v1, v49, vcc
	s_waitcnt vmcnt(0)
	global_store_dword v[48:49], v2, off
	s_or_b64 exec, exec, s[30:31]
	s_and_saveexec_b64 s[30:31], s[0:1]
	s_cbranch_execz .LBB43_113
.LBB43_129:                             ;   in Loop: Header=BB43_80 Depth=1
	v_lshlrev_b64 v[18:19], 2, v[18:19]
	v_mov_b32_e32 v1, s38
	v_add_co_u32_e32 v18, vcc, s37, v18
	v_addc_co_u32_e32 v19, vcc, v1, v19, vcc
	s_waitcnt vmcnt(0)
	global_store_dword v[18:19], v3, off
	s_or_b64 exec, exec, s[30:31]
	s_and_saveexec_b64 s[0:1], s[2:3]
	s_cbranch_execz .LBB43_114
.LBB43_130:                             ;   in Loop: Header=BB43_80 Depth=1
	v_lshlrev_b64 v[18:19], 2, v[20:21]
	v_mov_b32_e32 v1, s38
	v_add_co_u32_e32 v18, vcc, s37, v18
	v_addc_co_u32_e32 v19, vcc, v1, v19, vcc
	s_waitcnt vmcnt(0)
	global_store_dword v[18:19], v4, off
	s_or_b64 exec, exec, s[0:1]
	s_and_saveexec_b64 s[0:1], s[4:5]
	s_cbranch_execz .LBB43_115
.LBB43_131:                             ;   in Loop: Header=BB43_80 Depth=1
	v_lshlrev_b64 v[18:19], 2, v[22:23]
	v_mov_b32_e32 v1, s38
	v_add_co_u32_e32 v18, vcc, s37, v18
	v_addc_co_u32_e32 v19, vcc, v1, v19, vcc
	s_waitcnt vmcnt(0)
	global_store_dword v[18:19], v5, off
	s_or_b64 exec, exec, s[0:1]
	s_and_saveexec_b64 s[0:1], s[6:7]
	s_cbranch_execz .LBB43_116
.LBB43_132:                             ;   in Loop: Header=BB43_80 Depth=1
	v_lshlrev_b64 v[18:19], 2, v[24:25]
	v_mov_b32_e32 v1, s38
	v_add_co_u32_e32 v18, vcc, s37, v18
	v_addc_co_u32_e32 v19, vcc, v1, v19, vcc
	s_waitcnt vmcnt(0)
	global_store_dword v[18:19], v6, off
	s_or_b64 exec, exec, s[0:1]
	s_and_saveexec_b64 s[0:1], s[8:9]
	s_cbranch_execz .LBB43_117
.LBB43_133:                             ;   in Loop: Header=BB43_80 Depth=1
	v_lshlrev_b64 v[18:19], 2, v[26:27]
	v_mov_b32_e32 v1, s38
	v_add_co_u32_e32 v18, vcc, s37, v18
	v_addc_co_u32_e32 v19, vcc, v1, v19, vcc
	s_waitcnt vmcnt(0)
	global_store_dword v[18:19], v7, off
	s_or_b64 exec, exec, s[0:1]
	s_and_saveexec_b64 s[0:1], s[10:11]
	s_cbranch_execz .LBB43_118
.LBB43_134:                             ;   in Loop: Header=BB43_80 Depth=1
	v_lshlrev_b64 v[18:19], 2, v[28:29]
	v_mov_b32_e32 v1, s38
	v_add_co_u32_e32 v18, vcc, s37, v18
	v_addc_co_u32_e32 v19, vcc, v1, v19, vcc
	s_waitcnt vmcnt(0)
	global_store_dword v[18:19], v8, off
	s_or_b64 exec, exec, s[0:1]
	s_and_saveexec_b64 s[0:1], s[12:13]
	s_cbranch_execz .LBB43_119
.LBB43_135:                             ;   in Loop: Header=BB43_80 Depth=1
	v_lshlrev_b64 v[18:19], 2, v[30:31]
	v_mov_b32_e32 v1, s38
	v_add_co_u32_e32 v18, vcc, s37, v18
	v_addc_co_u32_e32 v19, vcc, v1, v19, vcc
	s_waitcnt vmcnt(0)
	global_store_dword v[18:19], v9, off
	s_or_b64 exec, exec, s[0:1]
	s_and_saveexec_b64 s[0:1], s[14:15]
	s_cbranch_execz .LBB43_120
.LBB43_136:                             ;   in Loop: Header=BB43_80 Depth=1
	v_lshlrev_b64 v[18:19], 2, v[32:33]
	v_mov_b32_e32 v1, s38
	v_add_co_u32_e32 v18, vcc, s37, v18
	v_addc_co_u32_e32 v19, vcc, v1, v19, vcc
	s_waitcnt vmcnt(0)
	global_store_dword v[18:19], v10, off
	s_or_b64 exec, exec, s[0:1]
	s_and_saveexec_b64 s[0:1], s[16:17]
	s_cbranch_execz .LBB43_121
.LBB43_137:                             ;   in Loop: Header=BB43_80 Depth=1
	v_lshlrev_b64 v[18:19], 2, v[34:35]
	v_mov_b32_e32 v1, s38
	v_add_co_u32_e32 v18, vcc, s37, v18
	v_addc_co_u32_e32 v19, vcc, v1, v19, vcc
	s_waitcnt vmcnt(0)
	global_store_dword v[18:19], v11, off
	s_or_b64 exec, exec, s[0:1]
	s_and_saveexec_b64 s[0:1], s[18:19]
	s_cbranch_execz .LBB43_122
.LBB43_138:                             ;   in Loop: Header=BB43_80 Depth=1
	v_lshlrev_b64 v[18:19], 2, v[36:37]
	v_mov_b32_e32 v1, s38
	v_add_co_u32_e32 v18, vcc, s37, v18
	v_addc_co_u32_e32 v19, vcc, v1, v19, vcc
	s_waitcnt vmcnt(0)
	global_store_dword v[18:19], v12, off
	s_or_b64 exec, exec, s[0:1]
	s_and_saveexec_b64 s[0:1], s[20:21]
	s_cbranch_execz .LBB43_123
.LBB43_139:                             ;   in Loop: Header=BB43_80 Depth=1
	v_lshlrev_b64 v[18:19], 2, v[38:39]
	v_mov_b32_e32 v1, s38
	v_add_co_u32_e32 v18, vcc, s37, v18
	v_addc_co_u32_e32 v19, vcc, v1, v19, vcc
	s_waitcnt vmcnt(0)
	global_store_dword v[18:19], v13, off
	s_or_b64 exec, exec, s[0:1]
	s_and_saveexec_b64 s[0:1], s[22:23]
	s_cbranch_execz .LBB43_124
.LBB43_140:                             ;   in Loop: Header=BB43_80 Depth=1
	v_lshlrev_b64 v[18:19], 2, v[40:41]
	v_mov_b32_e32 v1, s38
	v_add_co_u32_e32 v18, vcc, s37, v18
	v_addc_co_u32_e32 v19, vcc, v1, v19, vcc
	s_waitcnt vmcnt(0)
	global_store_dword v[18:19], v14, off
	s_or_b64 exec, exec, s[0:1]
	s_and_saveexec_b64 s[0:1], s[24:25]
	s_cbranch_execz .LBB43_125
.LBB43_141:                             ;   in Loop: Header=BB43_80 Depth=1
	v_lshlrev_b64 v[18:19], 2, v[42:43]
	v_mov_b32_e32 v1, s38
	v_add_co_u32_e32 v18, vcc, s37, v18
	v_addc_co_u32_e32 v19, vcc, v1, v19, vcc
	s_waitcnt vmcnt(0)
	global_store_dword v[18:19], v15, off
	s_or_b64 exec, exec, s[0:1]
	s_and_saveexec_b64 s[0:1], s[26:27]
	s_cbranch_execz .LBB43_126
.LBB43_142:                             ;   in Loop: Header=BB43_80 Depth=1
	v_lshlrev_b64 v[18:19], 2, v[44:45]
	v_mov_b32_e32 v1, s38
	v_add_co_u32_e32 v18, vcc, s37, v18
	v_addc_co_u32_e32 v19, vcc, v1, v19, vcc
	s_waitcnt vmcnt(0)
	global_store_dword v[18:19], v16, off
	s_or_b64 exec, exec, s[0:1]
	s_and_saveexec_b64 s[0:1], s[28:29]
	s_cbranch_execz .LBB43_79
.LBB43_143:                             ;   in Loop: Header=BB43_80 Depth=1
	v_lshlrev_b64 v[18:19], 2, v[46:47]
	v_mov_b32_e32 v1, s38
	v_add_co_u32_e32 v18, vcc, s37, v18
	v_addc_co_u32_e32 v19, vcc, v1, v19, vcc
	s_waitcnt vmcnt(0)
	global_store_dword v[18:19], v17, off
	s_branch .LBB43_79
.LBB43_144:
	s_endpgm
	.section	.rodata,"a",@progbits
	.p2align	6, 0x0
	.amdhsa_kernel _ZN9rocsolver6v33100L10stedc_sortIffPfS2_EEviPT0_lS4_lT1_iilT2_iil
		.amdhsa_group_segment_fixed_size 2048
		.amdhsa_private_segment_fixed_size 0
		.amdhsa_kernarg_size 344
		.amdhsa_user_sgpr_count 6
		.amdhsa_user_sgpr_private_segment_buffer 1
		.amdhsa_user_sgpr_dispatch_ptr 0
		.amdhsa_user_sgpr_queue_ptr 0
		.amdhsa_user_sgpr_kernarg_segment_ptr 1
		.amdhsa_user_sgpr_dispatch_id 0
		.amdhsa_user_sgpr_flat_scratch_init 0
		.amdhsa_user_sgpr_kernarg_preload_length 0
		.amdhsa_user_sgpr_kernarg_preload_offset 0
		.amdhsa_user_sgpr_private_segment_size 0
		.amdhsa_uses_dynamic_stack 0
		.amdhsa_system_sgpr_private_segment_wavefront_offset 0
		.amdhsa_system_sgpr_workgroup_id_x 1
		.amdhsa_system_sgpr_workgroup_id_y 1
		.amdhsa_system_sgpr_workgroup_id_z 0
		.amdhsa_system_sgpr_workgroup_info 0
		.amdhsa_system_vgpr_workitem_id 0
		.amdhsa_next_free_vgpr 54
		.amdhsa_next_free_sgpr 72
		.amdhsa_accum_offset 56
		.amdhsa_reserve_vcc 1
		.amdhsa_reserve_flat_scratch 0
		.amdhsa_float_round_mode_32 0
		.amdhsa_float_round_mode_16_64 0
		.amdhsa_float_denorm_mode_32 3
		.amdhsa_float_denorm_mode_16_64 3
		.amdhsa_dx10_clamp 1
		.amdhsa_ieee_mode 1
		.amdhsa_fp16_overflow 0
		.amdhsa_tg_split 0
		.amdhsa_exception_fp_ieee_invalid_op 0
		.amdhsa_exception_fp_denorm_src 0
		.amdhsa_exception_fp_ieee_div_zero 0
		.amdhsa_exception_fp_ieee_overflow 0
		.amdhsa_exception_fp_ieee_underflow 0
		.amdhsa_exception_fp_ieee_inexact 0
		.amdhsa_exception_int_div_zero 0
	.end_amdhsa_kernel
	.section	.text._ZN9rocsolver6v33100L10stedc_sortIffPfS2_EEviPT0_lS4_lT1_iilT2_iil,"axG",@progbits,_ZN9rocsolver6v33100L10stedc_sortIffPfS2_EEviPT0_lS4_lT1_iilT2_iil,comdat
.Lfunc_end43:
	.size	_ZN9rocsolver6v33100L10stedc_sortIffPfS2_EEviPT0_lS4_lT1_iilT2_iil, .Lfunc_end43-_ZN9rocsolver6v33100L10stedc_sortIffPfS2_EEviPT0_lS4_lT1_iilT2_iil
                                        ; -- End function
	.section	.AMDGPU.csdata,"",@progbits
; Kernel info:
; codeLenInByte = 5096
; NumSgprs: 76
; NumVgprs: 54
; NumAgprs: 0
; TotalNumVgprs: 54
; ScratchSize: 0
; MemoryBound: 0
; FloatMode: 240
; IeeeMode: 1
; LDSByteSize: 2048 bytes/workgroup (compile time only)
; SGPRBlocks: 9
; VGPRBlocks: 6
; NumSGPRsForWavesPerEU: 76
; NumVGPRsForWavesPerEU: 54
; AccumOffset: 56
; Occupancy: 8
; WaveLimiterHint : 0
; COMPUTE_PGM_RSRC2:SCRATCH_EN: 0
; COMPUTE_PGM_RSRC2:USER_SGPR: 6
; COMPUTE_PGM_RSRC2:TRAP_HANDLER: 0
; COMPUTE_PGM_RSRC2:TGID_X_EN: 1
; COMPUTE_PGM_RSRC2:TGID_Y_EN: 1
; COMPUTE_PGM_RSRC2:TGID_Z_EN: 0
; COMPUTE_PGM_RSRC2:TIDIG_COMP_CNT: 0
; COMPUTE_PGM_RSRC3_GFX90A:ACCUM_OFFSET: 13
; COMPUTE_PGM_RSRC3_GFX90A:TG_SPLIT: 0
	.section	.text._ZN9rocsolver6v33100L13conj_in_placeIfiPfTnNSt9enable_ifIXnt18rocblas_is_complexIT_EEiE4typeELi0EEEvT0_S7_T1_lS7_l,"axG",@progbits,_ZN9rocsolver6v33100L13conj_in_placeIfiPfTnNSt9enable_ifIXnt18rocblas_is_complexIT_EEiE4typeELi0EEEvT0_S7_T1_lS7_l,comdat
	.globl	_ZN9rocsolver6v33100L13conj_in_placeIfiPfTnNSt9enable_ifIXnt18rocblas_is_complexIT_EEiE4typeELi0EEEvT0_S7_T1_lS7_l ; -- Begin function _ZN9rocsolver6v33100L13conj_in_placeIfiPfTnNSt9enable_ifIXnt18rocblas_is_complexIT_EEiE4typeELi0EEEvT0_S7_T1_lS7_l
	.p2align	8
	.type	_ZN9rocsolver6v33100L13conj_in_placeIfiPfTnNSt9enable_ifIXnt18rocblas_is_complexIT_EEiE4typeELi0EEEvT0_S7_T1_lS7_l,@function
_ZN9rocsolver6v33100L13conj_in_placeIfiPfTnNSt9enable_ifIXnt18rocblas_is_complexIT_EEiE4typeELi0EEEvT0_S7_T1_lS7_l: ; @_ZN9rocsolver6v33100L13conj_in_placeIfiPfTnNSt9enable_ifIXnt18rocblas_is_complexIT_EEiE4typeELi0EEEvT0_S7_T1_lS7_l
; %bb.0:
	s_endpgm
	.section	.rodata,"a",@progbits
	.p2align	6, 0x0
	.amdhsa_kernel _ZN9rocsolver6v33100L13conj_in_placeIfiPfTnNSt9enable_ifIXnt18rocblas_is_complexIT_EEiE4typeELi0EEEvT0_S7_T1_lS7_l
		.amdhsa_group_segment_fixed_size 0
		.amdhsa_private_segment_fixed_size 0
		.amdhsa_kernarg_size 40
		.amdhsa_user_sgpr_count 6
		.amdhsa_user_sgpr_private_segment_buffer 1
		.amdhsa_user_sgpr_dispatch_ptr 0
		.amdhsa_user_sgpr_queue_ptr 0
		.amdhsa_user_sgpr_kernarg_segment_ptr 1
		.amdhsa_user_sgpr_dispatch_id 0
		.amdhsa_user_sgpr_flat_scratch_init 0
		.amdhsa_user_sgpr_kernarg_preload_length 0
		.amdhsa_user_sgpr_kernarg_preload_offset 0
		.amdhsa_user_sgpr_private_segment_size 0
		.amdhsa_uses_dynamic_stack 0
		.amdhsa_system_sgpr_private_segment_wavefront_offset 0
		.amdhsa_system_sgpr_workgroup_id_x 1
		.amdhsa_system_sgpr_workgroup_id_y 0
		.amdhsa_system_sgpr_workgroup_id_z 0
		.amdhsa_system_sgpr_workgroup_info 0
		.amdhsa_system_vgpr_workitem_id 0
		.amdhsa_next_free_vgpr 1
		.amdhsa_next_free_sgpr 0
		.amdhsa_accum_offset 4
		.amdhsa_reserve_vcc 0
		.amdhsa_reserve_flat_scratch 0
		.amdhsa_float_round_mode_32 0
		.amdhsa_float_round_mode_16_64 0
		.amdhsa_float_denorm_mode_32 3
		.amdhsa_float_denorm_mode_16_64 3
		.amdhsa_dx10_clamp 1
		.amdhsa_ieee_mode 1
		.amdhsa_fp16_overflow 0
		.amdhsa_tg_split 0
		.amdhsa_exception_fp_ieee_invalid_op 0
		.amdhsa_exception_fp_denorm_src 0
		.amdhsa_exception_fp_ieee_div_zero 0
		.amdhsa_exception_fp_ieee_overflow 0
		.amdhsa_exception_fp_ieee_underflow 0
		.amdhsa_exception_fp_ieee_inexact 0
		.amdhsa_exception_int_div_zero 0
	.end_amdhsa_kernel
	.section	.text._ZN9rocsolver6v33100L13conj_in_placeIfiPfTnNSt9enable_ifIXnt18rocblas_is_complexIT_EEiE4typeELi0EEEvT0_S7_T1_lS7_l,"axG",@progbits,_ZN9rocsolver6v33100L13conj_in_placeIfiPfTnNSt9enable_ifIXnt18rocblas_is_complexIT_EEiE4typeELi0EEEvT0_S7_T1_lS7_l,comdat
.Lfunc_end44:
	.size	_ZN9rocsolver6v33100L13conj_in_placeIfiPfTnNSt9enable_ifIXnt18rocblas_is_complexIT_EEiE4typeELi0EEEvT0_S7_T1_lS7_l, .Lfunc_end44-_ZN9rocsolver6v33100L13conj_in_placeIfiPfTnNSt9enable_ifIXnt18rocblas_is_complexIT_EEiE4typeELi0EEEvT0_S7_T1_lS7_l
                                        ; -- End function
	.section	.AMDGPU.csdata,"",@progbits
; Kernel info:
; codeLenInByte = 4
; NumSgprs: 4
; NumVgprs: 0
; NumAgprs: 0
; TotalNumVgprs: 0
; ScratchSize: 0
; MemoryBound: 0
; FloatMode: 240
; IeeeMode: 1
; LDSByteSize: 0 bytes/workgroup (compile time only)
; SGPRBlocks: 0
; VGPRBlocks: 0
; NumSGPRsForWavesPerEU: 4
; NumVGPRsForWavesPerEU: 1
; AccumOffset: 4
; Occupancy: 8
; WaveLimiterHint : 0
; COMPUTE_PGM_RSRC2:SCRATCH_EN: 0
; COMPUTE_PGM_RSRC2:USER_SGPR: 6
; COMPUTE_PGM_RSRC2:TRAP_HANDLER: 0
; COMPUTE_PGM_RSRC2:TGID_X_EN: 1
; COMPUTE_PGM_RSRC2:TGID_Y_EN: 0
; COMPUTE_PGM_RSRC2:TGID_Z_EN: 0
; COMPUTE_PGM_RSRC2:TIDIG_COMP_CNT: 0
; COMPUTE_PGM_RSRC3_GFX90A:ACCUM_OFFSET: 0
; COMPUTE_PGM_RSRC3_GFX90A:TG_SPLIT: 0
	.section	.text._ZN9rocsolver6v33100L16larf_left_kernelILi1024EfiPfEEvT1_S3_T2_lS3_lPKT0_lS4_lS3_l,"axG",@progbits,_ZN9rocsolver6v33100L16larf_left_kernelILi1024EfiPfEEvT1_S3_T2_lS3_lPKT0_lS4_lS3_l,comdat
	.globl	_ZN9rocsolver6v33100L16larf_left_kernelILi1024EfiPfEEvT1_S3_T2_lS3_lPKT0_lS4_lS3_l ; -- Begin function _ZN9rocsolver6v33100L16larf_left_kernelILi1024EfiPfEEvT1_S3_T2_lS3_lPKT0_lS4_lS3_l
	.p2align	8
	.type	_ZN9rocsolver6v33100L16larf_left_kernelILi1024EfiPfEEvT1_S3_T2_lS3_lPKT0_lS4_lS3_l,@function
_ZN9rocsolver6v33100L16larf_left_kernelILi1024EfiPfEEvT1_S3_T2_lS3_lPKT0_lS4_lS3_l: ; @_ZN9rocsolver6v33100L16larf_left_kernelILi1024EfiPfEEvT1_S3_T2_lS3_lPKT0_lS4_lS3_l
; %bb.0:
	s_load_dwordx2 s[0:1], s[4:5], 0x50
	s_load_dwordx2 s[2:3], s[4:5], 0x40
	s_load_dword s6, s[4:5], 0x48
	s_load_dword s9, s[4:5], 0x0
	s_load_dwordx8 s[12:19], s[4:5], 0x20
	s_ashr_i32 s33, s8, 31
	s_waitcnt lgkmcnt(0)
	s_mul_i32 s1, s8, s1
	s_mul_hi_u32 s10, s8, s0
	s_add_i32 s1, s10, s1
	s_mul_i32 s10, s33, s0
	s_add_i32 s11, s1, s10
	s_mul_i32 s10, s8, s0
	s_mul_hi_i32 s25, s6, s7
	s_mul_i32 s24, s6, s7
	v_cmp_gt_i32_e64 s[0:1], s9, v0
	v_mov_b32_e32 v1, 0
	v_xad_u32 v4, v0, -1, s9
	s_and_saveexec_b64 s[6:7], s[0:1]
	s_cbranch_execz .LBB45_11
; %bb.1:
	s_load_dword s26, s[4:5], 0x18
	s_load_dwordx4 s[20:23], s[4:5], 0x8
	s_sub_i32 s4, 1, s9
	s_mul_i32 s13, s8, s13
	s_mov_b64 s[30:31], -1
	s_waitcnt lgkmcnt(0)
	s_ashr_i32 s27, s26, 31
	s_mul_i32 s28, s4, s26
	v_cmp_lt_i64_e64 s[4:5], s[26:27], 1
	s_and_b64 s[4:5], s[4:5], exec
	s_cselect_b32 s4, s28, 0
	s_mul_hi_u32 s28, s8, s12
	s_add_i32 s13, s28, s13
	s_mul_i32 s28, s33, s12
	s_add_i32 s13, s13, s28
	s_movk_i32 s28, 0x3ff
	s_ashr_i32 s5, s4, 31
	s_mul_i32 s12, s8, s12
	v_cmp_lt_u32_e32 vcc, s28, v4
	v_mov_b32_e32 v1, v0
	s_and_saveexec_b64 s[28:29], vcc
	s_cbranch_execz .LBB45_5
; %bb.2:
	s_lshl_b64 s[30:31], s[12:13], 2
	s_add_u32 s34, s20, s30
	s_addc_u32 s35, s21, s31
	s_lshl_b64 s[30:31], s[22:23], 2
	s_add_u32 s34, s34, s30
	s_addc_u32 s35, s35, s31
	s_lshl_b64 s[30:31], s[4:5], 2
	v_lshrrev_b32_e32 v1, 10, v4
	s_add_u32 s34, s34, s30
	v_add_u32_e32 v5, 1, v1
	s_addc_u32 s37, s35, s31
	v_and_b32_e32 v6, 0x7ffffe, v5
	v_or_b32_e32 v1, 0x400, v0
	v_lshlrev_b32_e32 v2, 2, v0
	s_mov_b32 s35, s26
	s_mov_b32 s36, s27
	v_add3_u32 v7, v2, 0, 64
	s_mov_b64 s[30:31], 0
	v_mov_b32_e32 v8, s37
	v_mov_b32_e32 v9, v6
	v_pk_mov_b32 v[2:3], v[0:1], v[0:1] op_sel:[0,1]
.LBB45_3:                               ; =>This Inner Loop Header: Depth=1
	v_mad_u64_u32 v[12:13], s[38:39], s26, v2, 0
	v_mov_b32_e32 v16, v13
	v_mad_u64_u32 v[10:11], s[38:39], s35, v3, 0
	v_mad_u64_u32 v[16:17], s[38:39], s27, v2, v[16:17]
	v_mov_b32_e32 v14, v11
	v_mov_b32_e32 v13, v16
	v_mad_u64_u32 v[14:15], s[38:39], s36, v3, v[14:15]
	v_lshlrev_b64 v[12:13], 2, v[12:13]
	v_mov_b32_e32 v11, v14
	v_add_co_u32_e32 v12, vcc, s34, v12
	v_lshlrev_b64 v[10:11], 2, v[10:11]
	v_addc_co_u32_e32 v13, vcc, v8, v13, vcc
	v_add_co_u32_e32 v10, vcc, s34, v10
	v_addc_co_u32_e32 v11, vcc, v8, v11, vcc
	global_load_dword v1, v[12:13], off
	global_load_dword v14, v[10:11], off
	v_add_u32_e32 v9, -2, v9
	v_cmp_eq_u32_e32 vcc, 0, v9
	v_add_u32_e32 v3, 0x800, v3
	v_add_u32_e32 v2, 0x800, v2
	s_or_b64 s[30:31], vcc, s[30:31]
	s_waitcnt vmcnt(0)
	ds_write2st64_b32 v7, v1, v14 offset1:16
	v_add_u32_e32 v7, 0x2000, v7
	s_andn2_b64 exec, exec, s[30:31]
	s_cbranch_execnz .LBB45_3
; %bb.4:
	s_or_b64 exec, exec, s[30:31]
	v_cmp_ne_u32_e32 vcc, v5, v6
	v_lshl_or_b32 v1, v6, 10, v0
	s_orn2_b64 s[30:31], vcc, exec
.LBB45_5:
	s_or_b64 exec, exec, s[28:29]
	s_and_saveexec_b64 s[28:29], s[30:31]
	s_cbranch_execz .LBB45_8
; %bb.6:
	s_lshl_b64 s[12:13], s[12:13], 2
	s_lshl_b64 s[22:23], s[22:23], 2
	;; [unrolled: 1-line block ×3, first 2 shown]
	v_lshlrev_b32_e32 v2, 2, v1
	s_add_u32 s4, s20, s4
	v_add3_u32 v5, v2, 0, 64
	v_mad_u64_u32 v[2:3], s[30:31], s26, v1, 0
	s_addc_u32 s5, s21, s5
	v_mov_b32_e32 v6, v3
	s_add_u32 s4, s4, s22
	v_mad_u64_u32 v[6:7], s[30:31], s27, v1, v[6:7]
	s_addc_u32 s5, s5, s23
	v_mov_b32_e32 v3, v6
	s_add_u32 s4, s4, s12
	v_lshlrev_b64 v[2:3], 2, v[2:3]
	s_addc_u32 s5, s5, s13
	v_mov_b32_e32 v6, s5
	v_add_co_u32_e32 v2, vcc, s4, v2
	s_lshl_b64 s[4:5], s[26:27], 12
	v_addc_co_u32_e32 v3, vcc, v6, v3, vcc
	s_mov_b64 s[12:13], 0
	v_mov_b32_e32 v6, s5
.LBB45_7:                               ; =>This Inner Loop Header: Depth=1
	global_load_dword v7, v[2:3], off
	v_add_co_u32_e32 v2, vcc, s4, v2
	v_add_u32_e32 v1, 0x400, v1
	v_addc_co_u32_e32 v3, vcc, v3, v6, vcc
	v_cmp_le_i32_e32 vcc, s9, v1
	s_or_b64 s[12:13], vcc, s[12:13]
	s_waitcnt vmcnt(0)
	ds_write_b32 v5, v7
	v_add_u32_e32 v5, 0x1000, v5
	s_andn2_b64 exec, exec, s[12:13]
	s_cbranch_execnz .LBB45_7
.LBB45_8:
	s_or_b64 exec, exec, s[28:29]
	s_lshl_b64 s[4:5], s[10:11], 2
	s_lshl_b64 s[12:13], s[24:25], 2
	s_add_u32 s12, s4, s12
	s_addc_u32 s13, s5, s13
	s_lshl_b64 s[4:5], s[2:3], 2
	s_add_u32 s4, s12, s4
	s_addc_u32 s5, s13, s5
	s_add_u32 s4, s18, s4
	v_lshlrev_b32_e32 v2, 2, v0
	s_addc_u32 s5, s19, s5
	v_add3_u32 v5, v2, 0, 64
	v_mov_b32_e32 v3, s5
	v_add_co_u32_e32 v2, vcc, s4, v2
	v_mov_b32_e32 v1, 0
	v_addc_co_u32_e32 v3, vcc, 0, v3, vcc
	s_mov_b64 s[4:5], 0
	v_mov_b32_e32 v6, v0
.LBB45_9:                               ; =>This Inner Loop Header: Depth=1
	global_load_dword v7, v[2:3], off
	ds_read_b32 v8, v5
	v_add_co_u32_e32 v2, vcc, 0x1000, v2
	v_add_u32_e32 v6, 0x400, v6
	v_addc_co_u32_e32 v3, vcc, 0, v3, vcc
	v_cmp_le_i32_e32 vcc, s9, v6
	v_add_u32_e32 v5, 0x1000, v5
	s_or_b64 s[4:5], vcc, s[4:5]
	s_waitcnt vmcnt(0) lgkmcnt(0)
	v_mul_f32_e32 v7, v7, v8
	v_add_f32_e32 v1, v1, v7
	s_andn2_b64 exec, exec, s[4:5]
	s_cbranch_execnz .LBB45_9
; %bb.10:
	s_or_b64 exec, exec, s[4:5]
.LBB45_11:
	s_or_b64 exec, exec, s[6:7]
	v_mbcnt_lo_u32_b32 v2, -1, 0
	v_mbcnt_hi_u32_b32 v2, -1, v2
	v_and_b32_e32 v3, 63, v2
	v_cmp_ne_u32_e32 vcc, 63, v3
	v_addc_co_u32_e32 v5, vcc, 0, v2, vcc
	v_lshlrev_b32_e32 v5, 2, v5
	ds_bpermute_b32 v5, v5, v1
	v_cmp_gt_u32_e32 vcc, 62, v3
	v_cndmask_b32_e64 v6, 0, 1, vcc
	v_cmp_gt_u32_e32 vcc, 60, v3
	s_waitcnt lgkmcnt(0)
	v_add_f32_e32 v1, v1, v5
	v_lshlrev_b32_e32 v5, 1, v6
	v_add_lshl_u32 v5, v5, v2, 2
	ds_bpermute_b32 v5, v5, v1
	v_cndmask_b32_e64 v6, 0, 1, vcc
	v_cmp_gt_u32_e32 vcc, 56, v3
	s_waitcnt lgkmcnt(0)
	v_add_f32_e32 v1, v1, v5
	v_lshlrev_b32_e32 v5, 2, v6
	v_add_lshl_u32 v5, v5, v2, 2
	ds_bpermute_b32 v5, v5, v1
	;; [unrolled: 7-line block ×3, first 2 shown]
	v_cndmask_b32_e64 v6, 0, 1, vcc
	v_cmp_gt_u32_e32 vcc, 32, v3
	v_cndmask_b32_e64 v3, 0, 1, vcc
	v_lshlrev_b32_e32 v3, 5, v3
	s_waitcnt lgkmcnt(0)
	v_add_f32_e32 v1, v1, v5
	v_lshlrev_b32_e32 v5, 4, v6
	v_add_lshl_u32 v5, v5, v2, 2
	ds_bpermute_b32 v5, v5, v1
	v_add_lshl_u32 v2, v3, v2, 2
	v_and_b32_e32 v3, 63, v0
	v_cmp_eq_u32_e32 vcc, 0, v3
	s_waitcnt lgkmcnt(0)
	v_add_f32_e32 v1, v1, v5
	ds_bpermute_b32 v2, v2, v1
	s_waitcnt lgkmcnt(0)
	v_add_f32_e32 v1, v1, v2
	s_and_saveexec_b64 s[4:5], vcc
	s_cbranch_execz .LBB45_13
; %bb.12:
	v_lshrrev_b32_e32 v2, 4, v0
	v_add_u32_e32 v2, 0, v2
	ds_write_b32 v2, v1
.LBB45_13:
	s_or_b64 exec, exec, s[4:5]
	v_cmp_eq_u32_e32 vcc, 0, v0
	s_waitcnt lgkmcnt(0)
	s_barrier
	s_and_saveexec_b64 s[4:5], vcc
	s_cbranch_execz .LBB45_15
; %bb.14:
	v_mov_b32_e32 v5, 0
	ds_read2_b32 v[2:3], v5 offset0:1 offset1:2
	ds_read2_b32 v[6:7], v5 offset0:3 offset1:4
	;; [unrolled: 1-line block ×4, first 2 shown]
	s_waitcnt lgkmcnt(3)
	v_add_f32_e32 v1, v1, v2
	v_add_f32_e32 v1, v1, v3
	s_waitcnt lgkmcnt(2)
	v_add_f32_e32 v1, v1, v6
	v_add_f32_e32 v1, v1, v7
	ds_read2_b32 v[2:3], v5 offset0:9 offset1:10
	s_waitcnt lgkmcnt(2)
	v_add_f32_e32 v1, v1, v8
	v_add_f32_e32 v1, v1, v9
	s_waitcnt lgkmcnt(1)
	v_add_f32_e32 v1, v1, v10
	v_add_f32_e32 v1, v1, v11
	ds_read2_b32 v[6:7], v5 offset0:11 offset1:12
	ds_read2_b32 v[8:9], v5 offset0:13 offset1:14
	ds_read_b32 v10, v5 offset:60
	s_waitcnt lgkmcnt(3)
	v_add_f32_e32 v1, v1, v2
	v_add_f32_e32 v1, v1, v3
	s_waitcnt lgkmcnt(2)
	v_add_f32_e32 v1, v1, v6
	v_add_f32_e32 v1, v1, v7
	;; [unrolled: 3-line block ×3, first 2 shown]
	s_waitcnt lgkmcnt(0)
	v_add_f32_e32 v1, v1, v10
	ds_write_b32 v5, v1
.LBB45_15:
	s_or_b64 exec, exec, s[4:5]
	s_waitcnt lgkmcnt(0)
	s_barrier
	s_and_saveexec_b64 s[4:5], s[0:1]
	s_cbranch_execz .LBB45_23
; %bb.16:
	s_mul_i32 s0, s8, s17
	s_mul_hi_u32 s1, s8, s16
	s_add_i32 s0, s1, s0
	s_mul_i32 s1, s33, s16
	s_add_i32 s1, s0, s1
	s_mul_i32 s0, s8, s16
	s_lshl_b64 s[0:1], s[0:1], 2
	s_add_u32 s0, s14, s0
	s_addc_u32 s1, s15, s1
	v_mov_b32_e32 v5, 0
	s_load_dword s0, s[0:1], 0x0
	ds_read_b32 v1, v5
	s_mov_b64 s[4:5], -1
	s_waitcnt lgkmcnt(0)
	v_mul_f32_e64 v2, v1, -s0
	s_movk_i32 s0, 0x3ff
	v_cmp_lt_u32_e32 vcc, s0, v4
	s_and_saveexec_b64 s[0:1], vcc
	s_cbranch_execz .LBB45_20
; %bb.17:
	s_lshl_b64 s[4:5], s[10:11], 2
	s_add_u32 s6, s18, s4
	s_addc_u32 s7, s19, s5
	s_lshl_b64 s[4:5], s[2:3], 2
	s_add_u32 s6, s6, s4
	v_lshrrev_b32_e32 v1, 10, v4
	s_addc_u32 s7, s7, s5
	s_lshl_b64 s[4:5], s[24:25], 2
	v_add_u32_e32 v8, 1, v1
	s_add_u32 s6, s6, s4
	s_addc_u32 s7, s7, s5
	v_and_b32_e32 v9, 0x7ffffe, v8
	v_or_b32_e32 v1, 0x400, v0
	v_lshlrev_b32_e32 v4, 2, v0
	v_mov_b32_e32 v3, v2
	v_add3_u32 v10, v4, 0, 64
	s_mov_b64 s[4:5], 0
	v_mov_b32_e32 v11, s7
	v_mov_b32_e32 v12, v9
	v_pk_mov_b32 v[6:7], v[0:1], v[0:1] op_sel:[0,1]
.LBB45_18:                              ; =>This Inner Loop Header: Depth=1
	v_mov_b32_e32 v4, v6
	v_lshlrev_b64 v[14:15], 2, v[4:5]
	v_mov_b32_e32 v4, v7
	v_add_co_u32_e32 v14, vcc, s6, v14
	v_addc_co_u32_e32 v15, vcc, v11, v15, vcc
	v_lshlrev_b64 v[16:17], 2, v[4:5]
	v_add_co_u32_e32 v16, vcc, s6, v16
	v_addc_co_u32_e32 v17, vcc, v11, v17, vcc
	global_load_dword v18, v[14:15], off
	global_load_dword v19, v[16:17], off
	ds_read2st64_b32 v[20:21], v10 offset1:16
	v_add_u32_e32 v12, -2, v12
	v_cmp_eq_u32_e32 vcc, 0, v12
	v_add_u32_e32 v6, 0x800, v6
	v_add_u32_e32 v10, 0x2000, v10
	;; [unrolled: 1-line block ×3, first 2 shown]
	s_or_b64 s[4:5], vcc, s[4:5]
	s_waitcnt vmcnt(0) lgkmcnt(0)
	v_pk_fma_f32 v[18:19], v[2:3], v[20:21], v[18:19]
	global_store_dword v[14:15], v18, off
	global_store_dword v[16:17], v19, off
	s_andn2_b64 exec, exec, s[4:5]
	s_cbranch_execnz .LBB45_18
; %bb.19:
	s_or_b64 exec, exec, s[4:5]
	v_cmp_ne_u32_e32 vcc, v8, v9
	v_lshl_or_b32 v0, v9, 10, v0
	s_orn2_b64 s[4:5], vcc, exec
.LBB45_20:
	s_or_b64 exec, exec, s[0:1]
	s_and_b64 exec, exec, s[4:5]
	s_cbranch_execz .LBB45_23
; %bb.21:
	s_lshl_b64 s[0:1], s[10:11], 2
	s_lshl_b64 s[4:5], s[24:25], 2
	s_add_u32 s4, s0, s4
	s_addc_u32 s5, s1, s5
	s_lshl_b64 s[0:1], s[2:3], 2
	s_add_u32 s0, s4, s0
	v_lshlrev_b32_e32 v1, 2, v0
	s_addc_u32 s1, s5, s1
	v_add3_u32 v3, v1, 0, 64
	v_mov_b32_e32 v1, 0
	s_add_u32 s0, s18, s0
	v_lshlrev_b64 v[4:5], 2, v[0:1]
	s_addc_u32 s1, s19, s1
	v_mov_b32_e32 v1, s1
	v_add_co_u32_e32 v4, vcc, s0, v4
	v_addc_co_u32_e32 v5, vcc, v1, v5, vcc
	s_mov_b64 s[0:1], 0
.LBB45_22:                              ; =>This Inner Loop Header: Depth=1
	global_load_dword v1, v[4:5], off
	ds_read_b32 v6, v3
	v_add_u32_e32 v0, 0x400, v0
	v_cmp_le_i32_e32 vcc, s9, v0
	s_or_b64 s[0:1], vcc, s[0:1]
	v_add_u32_e32 v3, 0x1000, v3
	s_waitcnt vmcnt(0) lgkmcnt(0)
	v_fmac_f32_e32 v1, v2, v6
	global_store_dword v[4:5], v1, off
	v_add_co_u32_e32 v4, vcc, 0x1000, v4
	v_addc_co_u32_e32 v5, vcc, 0, v5, vcc
	s_andn2_b64 exec, exec, s[0:1]
	s_cbranch_execnz .LBB45_22
.LBB45_23:
	s_endpgm
	.section	.rodata,"a",@progbits
	.p2align	6, 0x0
	.amdhsa_kernel _ZN9rocsolver6v33100L16larf_left_kernelILi1024EfiPfEEvT1_S3_T2_lS3_lPKT0_lS4_lS3_l
		.amdhsa_group_segment_fixed_size 0
		.amdhsa_private_segment_fixed_size 0
		.amdhsa_kernarg_size 88
		.amdhsa_user_sgpr_count 6
		.amdhsa_user_sgpr_private_segment_buffer 1
		.amdhsa_user_sgpr_dispatch_ptr 0
		.amdhsa_user_sgpr_queue_ptr 0
		.amdhsa_user_sgpr_kernarg_segment_ptr 1
		.amdhsa_user_sgpr_dispatch_id 0
		.amdhsa_user_sgpr_flat_scratch_init 0
		.amdhsa_user_sgpr_kernarg_preload_length 0
		.amdhsa_user_sgpr_kernarg_preload_offset 0
		.amdhsa_user_sgpr_private_segment_size 0
		.amdhsa_uses_dynamic_stack 0
		.amdhsa_system_sgpr_private_segment_wavefront_offset 0
		.amdhsa_system_sgpr_workgroup_id_x 1
		.amdhsa_system_sgpr_workgroup_id_y 1
		.amdhsa_system_sgpr_workgroup_id_z 1
		.amdhsa_system_sgpr_workgroup_info 0
		.amdhsa_system_vgpr_workitem_id 0
		.amdhsa_next_free_vgpr 22
		.amdhsa_next_free_sgpr 40
		.amdhsa_accum_offset 24
		.amdhsa_reserve_vcc 1
		.amdhsa_reserve_flat_scratch 0
		.amdhsa_float_round_mode_32 0
		.amdhsa_float_round_mode_16_64 0
		.amdhsa_float_denorm_mode_32 3
		.amdhsa_float_denorm_mode_16_64 3
		.amdhsa_dx10_clamp 1
		.amdhsa_ieee_mode 1
		.amdhsa_fp16_overflow 0
		.amdhsa_tg_split 0
		.amdhsa_exception_fp_ieee_invalid_op 0
		.amdhsa_exception_fp_denorm_src 0
		.amdhsa_exception_fp_ieee_div_zero 0
		.amdhsa_exception_fp_ieee_overflow 0
		.amdhsa_exception_fp_ieee_underflow 0
		.amdhsa_exception_fp_ieee_inexact 0
		.amdhsa_exception_int_div_zero 0
	.end_amdhsa_kernel
	.section	.text._ZN9rocsolver6v33100L16larf_left_kernelILi1024EfiPfEEvT1_S3_T2_lS3_lPKT0_lS4_lS3_l,"axG",@progbits,_ZN9rocsolver6v33100L16larf_left_kernelILi1024EfiPfEEvT1_S3_T2_lS3_lPKT0_lS4_lS3_l,comdat
.Lfunc_end45:
	.size	_ZN9rocsolver6v33100L16larf_left_kernelILi1024EfiPfEEvT1_S3_T2_lS3_lPKT0_lS4_lS3_l, .Lfunc_end45-_ZN9rocsolver6v33100L16larf_left_kernelILi1024EfiPfEEvT1_S3_T2_lS3_lPKT0_lS4_lS3_l
                                        ; -- End function
	.section	.AMDGPU.csdata,"",@progbits
; Kernel info:
; codeLenInByte = 1812
; NumSgprs: 44
; NumVgprs: 22
; NumAgprs: 0
; TotalNumVgprs: 22
; ScratchSize: 0
; MemoryBound: 0
; FloatMode: 240
; IeeeMode: 1
; LDSByteSize: 0 bytes/workgroup (compile time only)
; SGPRBlocks: 5
; VGPRBlocks: 2
; NumSGPRsForWavesPerEU: 44
; NumVGPRsForWavesPerEU: 22
; AccumOffset: 24
; Occupancy: 8
; WaveLimiterHint : 0
; COMPUTE_PGM_RSRC2:SCRATCH_EN: 0
; COMPUTE_PGM_RSRC2:USER_SGPR: 6
; COMPUTE_PGM_RSRC2:TRAP_HANDLER: 0
; COMPUTE_PGM_RSRC2:TGID_X_EN: 1
; COMPUTE_PGM_RSRC2:TGID_Y_EN: 1
; COMPUTE_PGM_RSRC2:TGID_Z_EN: 1
; COMPUTE_PGM_RSRC2:TIDIG_COMP_CNT: 0
; COMPUTE_PGM_RSRC3_GFX90A:ACCUM_OFFSET: 5
; COMPUTE_PGM_RSRC3_GFX90A:TG_SPLIT: 0
	.section	.text._ZN9rocsolver6v33100L17larf_right_kernelILi1024EfiPfEEvT1_S3_T2_lS3_lPKT0_lS4_lS3_l,"axG",@progbits,_ZN9rocsolver6v33100L17larf_right_kernelILi1024EfiPfEEvT1_S3_T2_lS3_lPKT0_lS4_lS3_l,comdat
	.globl	_ZN9rocsolver6v33100L17larf_right_kernelILi1024EfiPfEEvT1_S3_T2_lS3_lPKT0_lS4_lS3_l ; -- Begin function _ZN9rocsolver6v33100L17larf_right_kernelILi1024EfiPfEEvT1_S3_T2_lS3_lPKT0_lS4_lS3_l
	.p2align	8
	.type	_ZN9rocsolver6v33100L17larf_right_kernelILi1024EfiPfEEvT1_S3_T2_lS3_lPKT0_lS4_lS3_l,@function
_ZN9rocsolver6v33100L17larf_right_kernelILi1024EfiPfEEvT1_S3_T2_lS3_lPKT0_lS4_lS3_l: ; @_ZN9rocsolver6v33100L17larf_right_kernelILi1024EfiPfEEvT1_S3_T2_lS3_lPKT0_lS4_lS3_l
; %bb.0:
	s_load_dword s9, s[4:5], 0x4
	s_load_dwordx8 s[12:19], s[4:5], 0x20
	s_load_dwordx2 s[10:11], s[4:5], 0x40
	s_load_dword s2, s[4:5], 0x48
	s_load_dwordx2 s[0:1], s[4:5], 0x50
	s_ashr_i32 s38, s8, 31
	s_mov_b32 s6, s7
	s_ashr_i32 s7, s7, 31
	s_waitcnt lgkmcnt(0)
	v_cmp_gt_i32_e32 vcc, s9, v0
	v_mov_b32_e32 v1, 0
	s_mul_i32 s33, s0, s38
	s_mul_hi_u32 s36, s0, s8
	s_mul_i32 s37, s1, s8
	s_mul_i32 s24, s0, s8
	s_and_saveexec_b64 s[26:27], vcc
	s_cbranch_execz .LBB46_11
; %bb.1:
	s_load_dword s28, s[4:5], 0x18
	s_load_dwordx4 s[20:23], s[4:5], 0x8
	s_sub_i32 s0, 1, s9
	s_mul_i32 s3, s8, s13
	v_xad_u32 v2, v0, -1, s9
	s_waitcnt lgkmcnt(0)
	s_ashr_i32 s29, s28, 31
	s_mul_i32 s4, s0, s28
	v_cmp_lt_i64_e64 s[0:1], s[28:29], 1
	s_and_b64 s[0:1], s[0:1], exec
	s_mul_hi_u32 s0, s8, s12
	s_cselect_b32 s4, s4, 0
	s_add_i32 s0, s0, s3
	s_mul_i32 s1, s38, s12
	s_add_i32 s13, s0, s1
	s_movk_i32 s0, 0x3ff
	s_ashr_i32 s5, s4, 31
	s_mul_i32 s12, s8, s12
	v_cmp_lt_u32_e64 s[0:1], s0, v2
	s_mov_b64 s[34:35], -1
	v_mov_b32_e32 v1, v0
	s_and_saveexec_b64 s[30:31], s[0:1]
	s_cbranch_execz .LBB46_5
; %bb.2:
	s_lshl_b64 s[0:1], s[12:13], 2
	s_add_u32 s3, s20, s0
	s_addc_u32 s25, s21, s1
	s_lshl_b64 s[0:1], s[22:23], 2
	s_add_u32 s3, s3, s0
	s_addc_u32 s25, s25, s1
	s_lshl_b64 s[0:1], s[4:5], 2
	v_lshrrev_b32_e32 v1, 10, v2
	s_add_u32 s3, s3, s0
	v_add_u32_e32 v4, 1, v1
	s_addc_u32 s0, s25, s1
	v_and_b32_e32 v5, 0x7ffffe, v4
	v_or_b32_e32 v1, 0x400, v0
	v_lshlrev_b32_e32 v2, 2, v0
	s_mov_b32 s25, s28
	s_mov_b32 s39, s29
	v_add3_u32 v6, v2, 0, 64
	s_mov_b64 s[34:35], 0
	v_mov_b32_e32 v7, s0
	v_mov_b32_e32 v8, v5
	v_pk_mov_b32 v[2:3], v[0:1], v[0:1] op_sel:[0,1]
.LBB46_3:                               ; =>This Inner Loop Header: Depth=1
	v_mad_u64_u32 v[12:13], s[0:1], s28, v2, 0
	v_mov_b32_e32 v16, v13
	v_mad_u64_u32 v[10:11], s[0:1], s25, v3, 0
	v_mad_u64_u32 v[16:17], s[0:1], s29, v2, v[16:17]
	v_mov_b32_e32 v14, v11
	v_mov_b32_e32 v13, v16
	v_mad_u64_u32 v[14:15], s[0:1], s39, v3, v[14:15]
	v_lshlrev_b64 v[12:13], 2, v[12:13]
	v_mov_b32_e32 v11, v14
	v_add_co_u32_e64 v12, s[0:1], s3, v12
	v_lshlrev_b64 v[10:11], 2, v[10:11]
	v_addc_co_u32_e64 v13, s[0:1], v7, v13, s[0:1]
	v_add_co_u32_e64 v10, s[0:1], s3, v10
	v_addc_co_u32_e64 v11, s[0:1], v7, v11, s[0:1]
	global_load_dword v1, v[12:13], off
	global_load_dword v9, v[10:11], off
	v_add_u32_e32 v8, -2, v8
	v_cmp_eq_u32_e64 s[0:1], 0, v8
	v_add_u32_e32 v3, 0x800, v3
	v_add_u32_e32 v2, 0x800, v2
	s_or_b64 s[34:35], s[0:1], s[34:35]
	s_waitcnt vmcnt(0)
	ds_write2st64_b32 v6, v1, v9 offset1:16
	v_add_u32_e32 v6, 0x2000, v6
	s_andn2_b64 exec, exec, s[34:35]
	s_cbranch_execnz .LBB46_3
; %bb.4:
	s_or_b64 exec, exec, s[34:35]
	v_cmp_ne_u32_e64 s[0:1], v4, v5
	v_lshl_or_b32 v1, v5, 10, v0
	s_orn2_b64 s[34:35], s[0:1], exec
.LBB46_5:
	s_or_b64 exec, exec, s[30:31]
	s_and_saveexec_b64 s[30:31], s[34:35]
	s_cbranch_execz .LBB46_8
; %bb.6:
	v_lshlrev_b32_e32 v2, 2, v1
	v_add3_u32 v4, v2, 0, 64
	s_lshl_b64 s[0:1], s[12:13], 2
	v_mad_u64_u32 v[2:3], s[12:13], s28, v1, 0
	v_mov_b32_e32 v6, v3
	v_mad_u64_u32 v[6:7], s[12:13], s29, v1, v[6:7]
	s_lshl_b64 s[12:13], s[22:23], 2
	s_lshl_b64 s[4:5], s[4:5], 2
	s_add_u32 s3, s20, s4
	s_addc_u32 s4, s21, s5
	s_add_u32 s3, s3, s12
	s_addc_u32 s4, s4, s13
	v_mov_b32_e32 v3, v6
	s_add_u32 s0, s3, s0
	v_lshlrev_b64 v[2:3], 2, v[2:3]
	s_addc_u32 s1, s4, s1
	v_mov_b32_e32 v5, s1
	v_add_co_u32_e64 v2, s[0:1], s0, v2
	s_lshl_b64 s[4:5], s[28:29], 12
	v_addc_co_u32_e64 v3, s[0:1], v5, v3, s[0:1]
	s_mov_b64 s[12:13], 0
	v_mov_b32_e32 v5, s5
.LBB46_7:                               ; =>This Inner Loop Header: Depth=1
	global_load_dword v6, v[2:3], off
	v_add_co_u32_e64 v2, s[0:1], s4, v2
	v_add_u32_e32 v1, 0x400, v1
	v_addc_co_u32_e64 v3, s[0:1], v3, v5, s[0:1]
	v_cmp_le_i32_e64 s[0:1], s9, v1
	s_or_b64 s[12:13], s[0:1], s[12:13]
	s_waitcnt vmcnt(0)
	ds_write_b32 v4, v6
	v_add_u32_e32 v4, 0x1000, v4
	s_andn2_b64 exec, exec, s[12:13]
	s_cbranch_execnz .LBB46_7
.LBB46_8:
	s_or_b64 exec, exec, s[30:31]
	s_add_i32 s0, s36, s33
	s_add_i32 s25, s0, s37
	v_mad_i64_i32 v[2:3], s[4:5], s2, v0, 0
	s_ashr_i32 s3, s2, 31
	s_lshl_b64 s[0:1], s[24:25], 2
	s_lshl_b64 s[4:5], s[10:11], 2
	s_lshl_b64 s[12:13], s[6:7], 2
	s_add_u32 s12, s18, s12
	s_addc_u32 s13, s19, s13
	s_add_u32 s4, s12, s4
	s_addc_u32 s5, s13, s5
	s_add_u32 s0, s4, s0
	v_lshlrev_b32_e32 v1, 2, v0
	v_lshlrev_b64 v[2:3], 2, v[2:3]
	s_addc_u32 s1, s5, s1
	v_add3_u32 v4, v1, 0, 64
	v_mov_b32_e32 v1, s1
	v_add_co_u32_e64 v2, s[0:1], s0, v2
	s_lshl_b64 s[12:13], s[2:3], 12
	v_addc_co_u32_e64 v3, s[0:1], v1, v3, s[0:1]
	s_mov_b64 s[4:5], 0
	v_mov_b32_e32 v1, 0
	v_mov_b32_e32 v5, s13
	;; [unrolled: 1-line block ×3, first 2 shown]
.LBB46_9:                               ; =>This Inner Loop Header: Depth=1
	global_load_dword v7, v[2:3], off
	ds_read_b32 v8, v4
	v_add_co_u32_e64 v2, s[0:1], s12, v2
	v_add_u32_e32 v6, 0x400, v6
	v_addc_co_u32_e64 v3, s[0:1], v3, v5, s[0:1]
	v_cmp_le_i32_e64 s[0:1], s9, v6
	v_add_u32_e32 v4, 0x1000, v4
	s_or_b64 s[4:5], s[0:1], s[4:5]
	s_waitcnt vmcnt(0) lgkmcnt(0)
	v_mul_f32_e32 v7, v7, v8
	v_add_f32_e32 v1, v1, v7
	s_andn2_b64 exec, exec, s[4:5]
	s_cbranch_execnz .LBB46_9
; %bb.10:
	s_or_b64 exec, exec, s[4:5]
.LBB46_11:
	s_or_b64 exec, exec, s[26:27]
	v_mbcnt_lo_u32_b32 v2, -1, 0
	v_mbcnt_hi_u32_b32 v2, -1, v2
	v_and_b32_e32 v3, 63, v2
	v_cmp_ne_u32_e64 s[0:1], 63, v3
	v_addc_co_u32_e64 v4, s[0:1], 0, v2, s[0:1]
	v_lshlrev_b32_e32 v4, 2, v4
	ds_bpermute_b32 v4, v4, v1
	v_cmp_gt_u32_e64 s[0:1], 62, v3
	v_cndmask_b32_e64 v5, 0, 1, s[0:1]
	v_cmp_gt_u32_e64 s[0:1], 60, v3
	s_waitcnt lgkmcnt(0)
	v_add_f32_e32 v1, v1, v4
	v_lshlrev_b32_e32 v4, 1, v5
	v_add_lshl_u32 v4, v4, v2, 2
	ds_bpermute_b32 v4, v4, v1
	v_cndmask_b32_e64 v5, 0, 1, s[0:1]
	v_cmp_gt_u32_e64 s[0:1], 56, v3
	s_waitcnt lgkmcnt(0)
	v_add_f32_e32 v1, v1, v4
	v_lshlrev_b32_e32 v4, 2, v5
	v_add_lshl_u32 v4, v4, v2, 2
	ds_bpermute_b32 v4, v4, v1
	;; [unrolled: 7-line block ×3, first 2 shown]
	v_cndmask_b32_e64 v5, 0, 1, s[0:1]
	v_cmp_gt_u32_e64 s[0:1], 32, v3
	v_cndmask_b32_e64 v3, 0, 1, s[0:1]
	v_lshlrev_b32_e32 v3, 5, v3
	s_waitcnt lgkmcnt(0)
	v_add_f32_e32 v1, v1, v4
	v_lshlrev_b32_e32 v4, 4, v5
	v_add_lshl_u32 v4, v4, v2, 2
	ds_bpermute_b32 v4, v4, v1
	v_add_lshl_u32 v2, v3, v2, 2
	v_and_b32_e32 v3, 63, v0
	v_cmp_eq_u32_e64 s[0:1], 0, v3
	s_waitcnt lgkmcnt(0)
	v_add_f32_e32 v1, v1, v4
	ds_bpermute_b32 v2, v2, v1
	s_waitcnt lgkmcnt(0)
	v_add_f32_e32 v1, v1, v2
	s_and_saveexec_b64 s[4:5], s[0:1]
	s_cbranch_execz .LBB46_13
; %bb.12:
	v_lshrrev_b32_e32 v2, 4, v0
	v_add_u32_e32 v2, 0, v2
	ds_write_b32 v2, v1
.LBB46_13:
	s_or_b64 exec, exec, s[4:5]
	v_cmp_eq_u32_e64 s[0:1], 0, v0
	s_waitcnt lgkmcnt(0)
	s_barrier
	s_and_saveexec_b64 s[4:5], s[0:1]
	s_cbranch_execz .LBB46_15
; %bb.14:
	v_mov_b32_e32 v10, 0
	ds_read2_b32 v[2:3], v10 offset0:1 offset1:2
	ds_read2_b32 v[4:5], v10 offset0:3 offset1:4
	;; [unrolled: 1-line block ×4, first 2 shown]
	s_waitcnt lgkmcnt(3)
	v_add_f32_e32 v1, v1, v2
	v_add_f32_e32 v1, v1, v3
	s_waitcnt lgkmcnt(2)
	v_add_f32_e32 v1, v1, v4
	v_add_f32_e32 v1, v1, v5
	ds_read2_b32 v[2:3], v10 offset0:9 offset1:10
	s_waitcnt lgkmcnt(2)
	v_add_f32_e32 v1, v1, v6
	v_add_f32_e32 v1, v1, v7
	s_waitcnt lgkmcnt(1)
	v_add_f32_e32 v1, v1, v8
	v_add_f32_e32 v1, v1, v9
	ds_read2_b32 v[4:5], v10 offset0:11 offset1:12
	ds_read2_b32 v[6:7], v10 offset0:13 offset1:14
	ds_read_b32 v8, v10 offset:60
	s_waitcnt lgkmcnt(3)
	v_add_f32_e32 v1, v1, v2
	v_add_f32_e32 v1, v1, v3
	s_waitcnt lgkmcnt(2)
	v_add_f32_e32 v1, v1, v4
	v_add_f32_e32 v1, v1, v5
	;; [unrolled: 3-line block ×3, first 2 shown]
	s_waitcnt lgkmcnt(0)
	v_add_f32_e32 v1, v1, v8
	ds_write_b32 v10, v1
.LBB46_15:
	s_or_b64 exec, exec, s[4:5]
	s_waitcnt lgkmcnt(0)
	s_barrier
	s_and_saveexec_b64 s[0:1], vcc
	s_cbranch_execz .LBB46_18
; %bb.16:
	s_mul_i32 s0, s8, s17
	s_mul_hi_u32 s1, s8, s16
	s_add_i32 s0, s1, s0
	s_mul_i32 s1, s38, s16
	s_add_i32 s1, s0, s1
	s_mul_i32 s0, s8, s16
	s_lshl_b64 s[0:1], s[0:1], 2
	s_add_u32 s0, s14, s0
	s_addc_u32 s1, s15, s1
	v_mov_b32_e32 v1, 0
	s_load_dword s0, s[0:1], 0x0
	ds_read_b32 v1, v1
	v_lshlrev_b32_e32 v2, 2, v0
	v_add3_u32 v4, v2, 0, 64
	v_mad_i64_i32 v[2:3], s[4:5], s2, v0, 0
	s_waitcnt lgkmcnt(0)
	v_mul_f32_e64 v1, v1, -s0
	s_add_i32 s0, s36, s33
	s_add_i32 s25, s0, s37
	s_ashr_i32 s3, s2, 31
	s_lshl_b64 s[0:1], s[24:25], 2
	s_lshl_b64 s[4:5], s[10:11], 2
	;; [unrolled: 1-line block ×3, first 2 shown]
	s_add_u32 s6, s18, s6
	s_addc_u32 s7, s19, s7
	s_add_u32 s4, s6, s4
	s_addc_u32 s5, s7, s5
	s_add_u32 s0, s4, s0
	v_lshlrev_b64 v[2:3], 2, v[2:3]
	s_addc_u32 s1, s5, s1
	v_mov_b32_e32 v5, s1
	v_add_co_u32_e32 v2, vcc, s0, v2
	s_lshl_b64 s[0:1], s[2:3], 12
	v_addc_co_u32_e32 v3, vcc, v5, v3, vcc
	s_mov_b64 s[2:3], 0
	v_mov_b32_e32 v5, s1
.LBB46_17:                              ; =>This Inner Loop Header: Depth=1
	global_load_dword v6, v[2:3], off
	ds_read_b32 v7, v4
	v_add_u32_e32 v0, 0x400, v0
	v_cmp_le_i32_e32 vcc, s9, v0
	s_or_b64 s[2:3], vcc, s[2:3]
	v_add_u32_e32 v4, 0x1000, v4
	s_waitcnt vmcnt(0) lgkmcnt(0)
	v_fmac_f32_e32 v6, v1, v7
	global_store_dword v[2:3], v6, off
	v_add_co_u32_e32 v2, vcc, s0, v2
	v_addc_co_u32_e32 v3, vcc, v3, v5, vcc
	s_andn2_b64 exec, exec, s[2:3]
	s_cbranch_execnz .LBB46_17
.LBB46_18:
	s_endpgm
	.section	.rodata,"a",@progbits
	.p2align	6, 0x0
	.amdhsa_kernel _ZN9rocsolver6v33100L17larf_right_kernelILi1024EfiPfEEvT1_S3_T2_lS3_lPKT0_lS4_lS3_l
		.amdhsa_group_segment_fixed_size 0
		.amdhsa_private_segment_fixed_size 0
		.amdhsa_kernarg_size 88
		.amdhsa_user_sgpr_count 6
		.amdhsa_user_sgpr_private_segment_buffer 1
		.amdhsa_user_sgpr_dispatch_ptr 0
		.amdhsa_user_sgpr_queue_ptr 0
		.amdhsa_user_sgpr_kernarg_segment_ptr 1
		.amdhsa_user_sgpr_dispatch_id 0
		.amdhsa_user_sgpr_flat_scratch_init 0
		.amdhsa_user_sgpr_kernarg_preload_length 0
		.amdhsa_user_sgpr_kernarg_preload_offset 0
		.amdhsa_user_sgpr_private_segment_size 0
		.amdhsa_uses_dynamic_stack 0
		.amdhsa_system_sgpr_private_segment_wavefront_offset 0
		.amdhsa_system_sgpr_workgroup_id_x 1
		.amdhsa_system_sgpr_workgroup_id_y 1
		.amdhsa_system_sgpr_workgroup_id_z 1
		.amdhsa_system_sgpr_workgroup_info 0
		.amdhsa_system_vgpr_workitem_id 0
		.amdhsa_next_free_vgpr 18
		.amdhsa_next_free_sgpr 40
		.amdhsa_accum_offset 20
		.amdhsa_reserve_vcc 1
		.amdhsa_reserve_flat_scratch 0
		.amdhsa_float_round_mode_32 0
		.amdhsa_float_round_mode_16_64 0
		.amdhsa_float_denorm_mode_32 3
		.amdhsa_float_denorm_mode_16_64 3
		.amdhsa_dx10_clamp 1
		.amdhsa_ieee_mode 1
		.amdhsa_fp16_overflow 0
		.amdhsa_tg_split 0
		.amdhsa_exception_fp_ieee_invalid_op 0
		.amdhsa_exception_fp_denorm_src 0
		.amdhsa_exception_fp_ieee_div_zero 0
		.amdhsa_exception_fp_ieee_overflow 0
		.amdhsa_exception_fp_ieee_underflow 0
		.amdhsa_exception_fp_ieee_inexact 0
		.amdhsa_exception_int_div_zero 0
	.end_amdhsa_kernel
	.section	.text._ZN9rocsolver6v33100L17larf_right_kernelILi1024EfiPfEEvT1_S3_T2_lS3_lPKT0_lS4_lS3_l,"axG",@progbits,_ZN9rocsolver6v33100L17larf_right_kernelILi1024EfiPfEEvT1_S3_T2_lS3_lPKT0_lS4_lS3_l,comdat
.Lfunc_end46:
	.size	_ZN9rocsolver6v33100L17larf_right_kernelILi1024EfiPfEEvT1_S3_T2_lS3_lPKT0_lS4_lS3_l, .Lfunc_end46-_ZN9rocsolver6v33100L17larf_right_kernelILi1024EfiPfEEvT1_S3_T2_lS3_lPKT0_lS4_lS3_l
                                        ; -- End function
	.section	.AMDGPU.csdata,"",@progbits
; Kernel info:
; codeLenInByte = 1672
; NumSgprs: 44
; NumVgprs: 18
; NumAgprs: 0
; TotalNumVgprs: 18
; ScratchSize: 0
; MemoryBound: 0
; FloatMode: 240
; IeeeMode: 1
; LDSByteSize: 0 bytes/workgroup (compile time only)
; SGPRBlocks: 5
; VGPRBlocks: 2
; NumSGPRsForWavesPerEU: 44
; NumVGPRsForWavesPerEU: 18
; AccumOffset: 20
; Occupancy: 8
; WaveLimiterHint : 0
; COMPUTE_PGM_RSRC2:SCRATCH_EN: 0
; COMPUTE_PGM_RSRC2:USER_SGPR: 6
; COMPUTE_PGM_RSRC2:TRAP_HANDLER: 0
; COMPUTE_PGM_RSRC2:TGID_X_EN: 1
; COMPUTE_PGM_RSRC2:TGID_Y_EN: 1
; COMPUTE_PGM_RSRC2:TGID_Z_EN: 1
; COMPUTE_PGM_RSRC2:TIDIG_COMP_CNT: 0
; COMPUTE_PGM_RSRC3_GFX90A:ACCUM_OFFSET: 4
; COMPUTE_PGM_RSRC3_GFX90A:TG_SPLIT: 0
	.section	.text._ZN9rocsolver6v33100L12restore_diagIfifPfEEvPT1_llT2_lT0_lS6_,"axG",@progbits,_ZN9rocsolver6v33100L12restore_diagIfifPfEEvPT1_llT2_lT0_lS6_,comdat
	.globl	_ZN9rocsolver6v33100L12restore_diagIfifPfEEvPT1_llT2_lT0_lS6_ ; -- Begin function _ZN9rocsolver6v33100L12restore_diagIfifPfEEvPT1_llT2_lT0_lS6_
	.p2align	8
	.type	_ZN9rocsolver6v33100L12restore_diagIfifPfEEvPT1_llT2_lT0_lS6_,@function
_ZN9rocsolver6v33100L12restore_diagIfifPfEEvPT1_llT2_lT0_lS6_: ; @_ZN9rocsolver6v33100L12restore_diagIfifPfEEvPT1_llT2_lT0_lS6_
; %bb.0:
	s_load_dword s0, s[4:5], 0x4c
	s_load_dword s1, s[4:5], 0x38
	v_bfe_u32 v0, v0, 10, 10
	s_waitcnt lgkmcnt(0)
	s_lshr_b32 s0, s0, 16
	s_mul_i32 s7, s7, s0
	v_add_u32_e32 v0, s7, v0
	v_cmp_gt_i32_e32 vcc, s1, v0
	s_and_saveexec_b64 s[0:1], vcc
	s_cbranch_execz .LBB47_2
; %bb.1:
	s_load_dwordx2 s[0:1], s[4:5], 0x30
	s_load_dwordx2 s[2:3], s[4:5], 0x20
	s_load_dword s7, s[4:5], 0x28
	s_load_dwordx8 s[8:15], s[4:5], 0x0
	s_ashr_i32 s4, s6, 31
	s_waitcnt lgkmcnt(0)
	s_mul_i32 s1, s6, s1
	s_mul_hi_u32 s5, s6, s0
	s_add_i32 s1, s5, s1
	s_mul_i32 s5, s4, s0
	s_add_i32 s1, s1, s5
	s_mul_i32 s0, s6, s0
	s_lshl_b64 s[0:1], s[0:1], 2
	s_add_u32 s5, s14, s0
	s_addc_u32 s14, s15, s1
	s_lshl_b64 s[0:1], s[2:3], 2
	s_add_u32 s2, s5, s0
	s_addc_u32 s3, s14, s1
	s_mul_i32 s0, s6, s13
	s_mul_hi_u32 s1, s6, s12
	s_add_i32 s0, s1, s0
	s_mul_i32 s4, s4, s12
	s_add_i32 s1, s0, s4
	s_mul_i32 s0, s6, s12
	s_lshl_b64 s[0:1], s[0:1], 2
	s_add_u32 s4, s8, s0
	s_addc_u32 s5, s9, s1
	s_lshl_b64 s[0:1], s[10:11], 2
	s_add_u32 s4, s4, s0
	s_addc_u32 s5, s5, s1
	v_mad_u64_u32 v[2:3], s[0:1], v0, s7, v[0:1]
	v_ashrrev_i32_e32 v1, 31, v0
	v_lshlrev_b64 v[0:1], 2, v[0:1]
	v_mov_b32_e32 v3, s5
	v_add_co_u32_e32 v0, vcc, s4, v0
	v_addc_co_u32_e32 v1, vcc, v3, v1, vcc
	global_load_dword v4, v[0:1], off
	v_ashrrev_i32_e32 v3, 31, v2
	v_lshlrev_b64 v[0:1], 2, v[2:3]
	v_mov_b32_e32 v2, s3
	v_add_co_u32_e32 v0, vcc, s2, v0
	v_addc_co_u32_e32 v1, vcc, v2, v1, vcc
	s_waitcnt vmcnt(0)
	global_store_dword v[0:1], v4, off
.LBB47_2:
	s_endpgm
	.section	.rodata,"a",@progbits
	.p2align	6, 0x0
	.amdhsa_kernel _ZN9rocsolver6v33100L12restore_diagIfifPfEEvPT1_llT2_lT0_lS6_
		.amdhsa_group_segment_fixed_size 0
		.amdhsa_private_segment_fixed_size 0
		.amdhsa_kernarg_size 320
		.amdhsa_user_sgpr_count 6
		.amdhsa_user_sgpr_private_segment_buffer 1
		.amdhsa_user_sgpr_dispatch_ptr 0
		.amdhsa_user_sgpr_queue_ptr 0
		.amdhsa_user_sgpr_kernarg_segment_ptr 1
		.amdhsa_user_sgpr_dispatch_id 0
		.amdhsa_user_sgpr_flat_scratch_init 0
		.amdhsa_user_sgpr_kernarg_preload_length 0
		.amdhsa_user_sgpr_kernarg_preload_offset 0
		.amdhsa_user_sgpr_private_segment_size 0
		.amdhsa_uses_dynamic_stack 0
		.amdhsa_system_sgpr_private_segment_wavefront_offset 0
		.amdhsa_system_sgpr_workgroup_id_x 1
		.amdhsa_system_sgpr_workgroup_id_y 1
		.amdhsa_system_sgpr_workgroup_id_z 0
		.amdhsa_system_sgpr_workgroup_info 0
		.amdhsa_system_vgpr_workitem_id 1
		.amdhsa_next_free_vgpr 5
		.amdhsa_next_free_sgpr 16
		.amdhsa_accum_offset 8
		.amdhsa_reserve_vcc 1
		.amdhsa_reserve_flat_scratch 0
		.amdhsa_float_round_mode_32 0
		.amdhsa_float_round_mode_16_64 0
		.amdhsa_float_denorm_mode_32 3
		.amdhsa_float_denorm_mode_16_64 3
		.amdhsa_dx10_clamp 1
		.amdhsa_ieee_mode 1
		.amdhsa_fp16_overflow 0
		.amdhsa_tg_split 0
		.amdhsa_exception_fp_ieee_invalid_op 0
		.amdhsa_exception_fp_denorm_src 0
		.amdhsa_exception_fp_ieee_div_zero 0
		.amdhsa_exception_fp_ieee_overflow 0
		.amdhsa_exception_fp_ieee_underflow 0
		.amdhsa_exception_fp_ieee_inexact 0
		.amdhsa_exception_int_div_zero 0
	.end_amdhsa_kernel
	.section	.text._ZN9rocsolver6v33100L12restore_diagIfifPfEEvPT1_llT2_lT0_lS6_,"axG",@progbits,_ZN9rocsolver6v33100L12restore_diagIfifPfEEvPT1_llT2_lT0_lS6_,comdat
.Lfunc_end47:
	.size	_ZN9rocsolver6v33100L12restore_diagIfifPfEEvPT1_llT2_lT0_lS6_, .Lfunc_end47-_ZN9rocsolver6v33100L12restore_diagIfifPfEEvPT1_llT2_lT0_lS6_
                                        ; -- End function
	.section	.AMDGPU.csdata,"",@progbits
; Kernel info:
; codeLenInByte = 268
; NumSgprs: 20
; NumVgprs: 5
; NumAgprs: 0
; TotalNumVgprs: 5
; ScratchSize: 0
; MemoryBound: 0
; FloatMode: 240
; IeeeMode: 1
; LDSByteSize: 0 bytes/workgroup (compile time only)
; SGPRBlocks: 2
; VGPRBlocks: 0
; NumSGPRsForWavesPerEU: 20
; NumVGPRsForWavesPerEU: 5
; AccumOffset: 8
; Occupancy: 8
; WaveLimiterHint : 0
; COMPUTE_PGM_RSRC2:SCRATCH_EN: 0
; COMPUTE_PGM_RSRC2:USER_SGPR: 6
; COMPUTE_PGM_RSRC2:TRAP_HANDLER: 0
; COMPUTE_PGM_RSRC2:TGID_X_EN: 1
; COMPUTE_PGM_RSRC2:TGID_Y_EN: 1
; COMPUTE_PGM_RSRC2:TGID_Z_EN: 0
; COMPUTE_PGM_RSRC2:TIDIG_COMP_CNT: 1
; COMPUTE_PGM_RSRC3_GFX90A:ACCUM_OFFSET: 1
; COMPUTE_PGM_RSRC3_GFX90A:TG_SPLIT: 0
	.section	.text._ZN9rocsolver6v33100L14set_triangularIfPfTnNSt9enable_ifIXnt18rocblas_is_complexIT_EEiE4typeELi0EEEviiT0_iilPS4_lS8_il15rocblas_direct_15rocblas_storev_b,"axG",@progbits,_ZN9rocsolver6v33100L14set_triangularIfPfTnNSt9enable_ifIXnt18rocblas_is_complexIT_EEiE4typeELi0EEEviiT0_iilPS4_lS8_il15rocblas_direct_15rocblas_storev_b,comdat
	.globl	_ZN9rocsolver6v33100L14set_triangularIfPfTnNSt9enable_ifIXnt18rocblas_is_complexIT_EEiE4typeELi0EEEviiT0_iilPS4_lS8_il15rocblas_direct_15rocblas_storev_b ; -- Begin function _ZN9rocsolver6v33100L14set_triangularIfPfTnNSt9enable_ifIXnt18rocblas_is_complexIT_EEiE4typeELi0EEEviiT0_iilPS4_lS8_il15rocblas_direct_15rocblas_storev_b
	.p2align	8
	.type	_ZN9rocsolver6v33100L14set_triangularIfPfTnNSt9enable_ifIXnt18rocblas_is_complexIT_EEiE4typeELi0EEEviiT0_iilPS4_lS8_il15rocblas_direct_15rocblas_storev_b,@function
_ZN9rocsolver6v33100L14set_triangularIfPfTnNSt9enable_ifIXnt18rocblas_is_complexIT_EEiE4typeELi0EEEviiT0_iilPS4_lS8_il15rocblas_direct_15rocblas_storev_b: ; @_ZN9rocsolver6v33100L14set_triangularIfPfTnNSt9enable_ifIXnt18rocblas_is_complexIT_EEiE4typeELi0EEEviiT0_iilPS4_lS8_il15rocblas_direct_15rocblas_storev_b
; %bb.0:
	s_load_dword s0, s[4:5], 0x64
	s_load_dwordx2 s[20:21], s[4:5], 0x0
	v_and_b32_e32 v1, 0x3ff, v0
	v_bfe_u32 v0, v0, 10, 10
	s_waitcnt lgkmcnt(0)
	s_lshr_b32 s1, s0, 16
	s_and_b32 s0, s0, 0xffff
	s_mul_i32 s6, s6, s0
	s_mul_i32 s7, s7, s1
	v_add_u32_e32 v2, s6, v1
	v_add_u32_e32 v0, s7, v0
	v_max_u32_e32 v1, v2, v0
	v_cmp_gt_u32_e32 vcc, s21, v1
	s_and_saveexec_b64 s[0:1], vcc
	s_cbranch_execz .LBB48_36
; %bb.1:
	s_load_dwordx8 s[12:19], s[4:5], 0x18
	s_load_dword s22, s[4:5], 0x38
	s_load_dwordx2 s[0:1], s[4:5], 0x40
	v_cmp_ne_u32_e32 vcc, v0, v2
	s_waitcnt lgkmcnt(0)
	s_mul_i32 s3, s8, s17
	s_mul_hi_u32 s6, s8, s16
	s_mul_i32 s2, s8, s16
	s_add_i32 s3, s6, s3
	s_lshl_b64 s[2:3], s[2:3], 2
	s_add_u32 s16, s14, s2
	s_mul_i32 s1, s8, s1
	s_mul_hi_u32 s2, s8, s0
	s_addc_u32 s17, s15, s3
	s_add_i32 s1, s2, s1
	s_mul_i32 s0, s8, s0
	s_lshl_b64 s[0:1], s[0:1], 2
	s_add_u32 s14, s18, s0
	s_addc_u32 s15, s19, s1
	s_and_saveexec_b64 s[0:1], vcc
	s_xor_b64 s[10:11], exec, s[0:1]
	s_cbranch_execz .LBB48_34
; %bb.2:
	s_load_dwordx4 s[0:3], s[4:5], 0x8
	s_mul_i32 s9, s8, s13
	s_mul_hi_u32 s13, s8, s12
	s_add_i32 s9, s13, s9
	s_mul_i32 s8, s8, s12
	s_load_dwordx4 s[4:7], s[4:5], 0x48
	s_waitcnt lgkmcnt(0)
	s_ashr_i32 s19, s2, 31
	s_lshl_b64 s[8:9], s[8:9], 2
	s_mov_b32 s18, s2
	s_add_u32 s2, s0, s8
	s_addc_u32 s7, s1, s9
	s_lshl_b64 s[0:1], s[18:19], 2
	s_add_u32 s2, s2, s0
	s_addc_u32 s12, s7, s1
	s_bitcmp1_b32 s6, 0
	s_cselect_b64 s[0:1], -1, 0
	s_xor_b64 s[0:1], s[0:1], -1
	s_mov_b64 s[6:7], -1
	s_cmpk_lg_i32 s4, 0xab
	v_mov_b32_e32 v3, 0
	s_cbranch_scc0 .LBB48_18
; %bb.3:
	v_cmp_le_u32_e32 vcc, v0, v2
	s_and_saveexec_b64 s[6:7], vcc
	s_xor_b64 s[6:7], exec, s[6:7]
	s_cbranch_execz .LBB48_5
; %bb.4:
	v_mad_u64_u32 v[4:5], s[8:9], v2, s22, 0
	s_ashr_i32 s4, s22, 31
	v_mov_b32_e32 v6, v5
	v_mad_u64_u32 v[6:7], s[8:9], v2, s4, v[6:7]
	v_mov_b32_e32 v5, v6
	v_lshlrev_b64 v[4:5], 2, v[4:5]
	v_mov_b32_e32 v1, 0
	v_mov_b32_e32 v6, s15
	v_add_co_u32_e32 v7, vcc, s14, v4
	v_addc_co_u32_e32 v6, vcc, v6, v5, vcc
	v_lshlrev_b64 v[4:5], 2, v[0:1]
	v_add_co_u32_e32 v4, vcc, v7, v4
	v_addc_co_u32_e32 v5, vcc, v6, v5, vcc
	global_store_dword v[4:5], v1, off
.LBB48_5:
	s_andn2_saveexec_b64 s[6:7], s[6:7]
	s_cbranch_execz .LBB48_17
; %bb.6:
	v_lshlrev_b64 v[4:5], 2, v[2:3]
	v_mov_b32_e32 v1, s17
	v_add_co_u32_e32 v4, vcc, s16, v4
	v_addc_co_u32_e32 v5, vcc, v1, v5, vcc
	global_load_dword v6, v[4:5], off
	s_cmpk_lg_i32 s5, 0xb5
	s_mov_b64 s[8:9], -1
	s_cbranch_scc0 .LBB48_12
; %bb.7:
	v_mov_b32_e32 v1, 0
	s_andn2_b64 vcc, exec, s[0:1]
	v_lshlrev_b64 v[4:5], 2, v[0:1]
	s_cbranch_vccnz .LBB48_9
; %bb.8:
	s_sub_i32 s4, s20, s21
	v_add_u32_e32 v1, s4, v2
	v_mad_u64_u32 v[8:9], s[8:9], v1, s3, 0
	s_ashr_i32 s4, s3, 31
	v_mov_b32_e32 v10, v9
	v_mad_u64_u32 v[10:11], s[8:9], v1, s4, v[10:11]
	v_mov_b32_e32 v9, v10
	v_lshlrev_b64 v[8:9], 2, v[8:9]
	v_mov_b32_e32 v1, s12
	v_add_co_u32_e32 v7, vcc, s2, v8
	v_addc_co_u32_e32 v1, vcc, v1, v9, vcc
	v_add_co_u32_e32 v8, vcc, v7, v4
	v_addc_co_u32_e32 v9, vcc, v1, v5, vcc
	global_load_dword v1, v[8:9], off
	v_mad_u64_u32 v[8:9], s[8:9], v2, s22, 0
	s_ashr_i32 s4, s22, 31
	v_mov_b32_e32 v10, v9
	v_mad_u64_u32 v[10:11], s[8:9], v2, s4, v[10:11]
	v_mov_b32_e32 v9, v10
	v_lshlrev_b64 v[8:9], 2, v[8:9]
	v_mov_b32_e32 v7, s15
	v_add_co_u32_e32 v8, vcc, s14, v8
	v_addc_co_u32_e32 v7, vcc, v7, v9, vcc
	v_add_co_u32_e32 v8, vcc, v8, v4
	v_addc_co_u32_e32 v9, vcc, v7, v5, vcc
	s_mov_b64 s[8:9], 0
	s_waitcnt vmcnt(0)
	v_mul_f32_e64 v1, v1, -v6
	global_store_dword v[8:9], v1, off
.LBB48_9:
	s_andn2_b64 vcc, exec, s[8:9]
	s_cbranch_vccnz .LBB48_11
; %bb.10:
	v_mad_u64_u32 v[8:9], s[8:9], v2, s22, 0
	s_ashr_i32 s4, s22, 31
	v_mov_b32_e32 v10, v9
	v_mad_u64_u32 v[10:11], s[8:9], v2, s4, v[10:11]
	v_mov_b32_e32 v9, v10
	v_lshlrev_b64 v[8:9], 2, v[8:9]
	v_mov_b32_e32 v1, s15
	v_add_co_u32_e32 v7, vcc, s14, v8
	v_addc_co_u32_e32 v1, vcc, v1, v9, vcc
	s_sub_i32 s4, s20, s21
	v_add_co_u32_e32 v8, vcc, v7, v4
	v_add_u32_e32 v7, s4, v2
	v_mad_u64_u32 v[10:11], s[8:9], v7, s3, 0
	s_ashr_i32 s4, s3, 31
	v_mov_b32_e32 v12, v11
	v_mad_u64_u32 v[12:13], s[8:9], v7, s4, v[12:13]
	v_mov_b32_e32 v11, v12
	v_addc_co_u32_e32 v9, vcc, v1, v5, vcc
	v_lshlrev_b64 v[10:11], 2, v[10:11]
	v_mov_b32_e32 v7, s12
	v_add_co_u32_e32 v10, vcc, s2, v10
	v_addc_co_u32_e32 v7, vcc, v7, v11, vcc
	v_add_co_u32_e32 v4, vcc, v10, v4
	v_addc_co_u32_e32 v5, vcc, v7, v5, vcc
	global_load_dword v1, v[8:9], off
	s_nop 0
	global_load_dword v4, v[4:5], off
	s_waitcnt vmcnt(0)
	v_add_f32_e32 v1, v1, v4
	v_mul_f32_e64 v1, v1, -v6
	global_store_dword v[8:9], v1, off
.LBB48_11:
	s_mov_b64 s[8:9], 0
.LBB48_12:
	s_andn2_b64 vcc, exec, s[8:9]
	s_cbranch_vccnz .LBB48_17
; %bb.13:
	s_andn2_b64 vcc, exec, s[0:1]
	s_mov_b64 s[8:9], -1
	s_cbranch_vccnz .LBB48_15
; %bb.14:
	s_sub_i32 s4, s20, s21
	v_mad_u64_u32 v[8:9], s[8:9], v0, s3, 0
	v_add_u32_e32 v4, s4, v2
	s_ashr_i32 s4, s3, 31
	v_mov_b32_e32 v10, v9
	v_mad_u64_u32 v[10:11], s[8:9], v0, s4, v[10:11]
	v_mov_b32_e32 v9, v10
	v_lshlrev_b64 v[8:9], 2, v[8:9]
	v_mov_b32_e32 v5, 0
	v_mov_b32_e32 v1, s12
	v_add_co_u32_e32 v7, vcc, s2, v8
	v_addc_co_u32_e32 v1, vcc, v1, v9, vcc
	v_lshlrev_b64 v[8:9], 2, v[4:5]
	v_add_co_u32_e32 v8, vcc, v7, v8
	v_addc_co_u32_e32 v9, vcc, v1, v9, vcc
	global_load_dword v7, v[8:9], off
	v_mad_u64_u32 v[8:9], s[8:9], v2, s22, 0
	s_ashr_i32 s4, s22, 31
	v_mov_b32_e32 v4, v9
	v_mov_b32_e32 v1, v5
	v_mad_u64_u32 v[4:5], s[8:9], v2, s4, v[4:5]
	v_mov_b32_e32 v9, v4
	v_lshlrev_b64 v[4:5], 2, v[8:9]
	v_mov_b32_e32 v12, s15
	v_lshlrev_b64 v[10:11], 2, v[0:1]
	v_add_co_u32_e32 v1, vcc, s14, v4
	v_addc_co_u32_e32 v5, vcc, v12, v5, vcc
	v_add_co_u32_e32 v4, vcc, v1, v10
	v_addc_co_u32_e32 v5, vcc, v5, v11, vcc
	s_mov_b64 s[8:9], 0
	s_waitcnt vmcnt(0)
	v_mul_f32_e64 v1, v7, -v6
	global_store_dword v[4:5], v1, off
.LBB48_15:
	s_andn2_b64 vcc, exec, s[8:9]
	s_cbranch_vccnz .LBB48_17
; %bb.16:
	v_mad_u64_u32 v[4:5], s[8:9], v2, s22, 0
	s_ashr_i32 s4, s22, 31
	v_mov_b32_e32 v8, v5
	v_mad_u64_u32 v[8:9], s[8:9], v2, s4, v[8:9]
	v_mov_b32_e32 v5, v8
	v_lshlrev_b64 v[4:5], 2, v[4:5]
	v_mov_b32_e32 v1, 0
	v_mov_b32_e32 v7, s15
	v_add_co_u32_e32 v8, vcc, s14, v4
	v_addc_co_u32_e32 v7, vcc, v7, v5, vcc
	v_lshlrev_b64 v[4:5], 2, v[0:1]
	s_sub_i32 s4, s20, s21
	v_mad_u64_u32 v[10:11], s[8:9], v0, s3, 0
	v_add_co_u32_e32 v4, vcc, v8, v4
	v_add_u32_e32 v8, s4, v2
	s_ashr_i32 s4, s3, 31
	v_mov_b32_e32 v12, v11
	v_mad_u64_u32 v[12:13], s[8:9], v0, s4, v[12:13]
	v_mov_b32_e32 v11, v12
	v_addc_co_u32_e32 v5, vcc, v7, v5, vcc
	v_lshlrev_b64 v[10:11], 2, v[10:11]
	v_mov_b32_e32 v9, v1
	v_mov_b32_e32 v1, s12
	v_add_co_u32_e32 v10, vcc, s2, v10
	v_addc_co_u32_e32 v1, vcc, v1, v11, vcc
	v_lshlrev_b64 v[8:9], 2, v[8:9]
	v_add_co_u32_e32 v8, vcc, v10, v8
	v_addc_co_u32_e32 v9, vcc, v1, v9, vcc
	global_load_dword v7, v[4:5], off
	global_load_dword v1, v[8:9], off
	s_waitcnt vmcnt(0)
	v_add_f32_e32 v1, v7, v1
	v_mul_f32_e64 v1, v1, -v6
	global_store_dword v[4:5], v1, off
.LBB48_17:
	s_or_b64 exec, exec, s[6:7]
	s_mov_b64 s[6:7], 0
.LBB48_18:
	s_andn2_b64 vcc, exec, s[6:7]
	s_cbranch_vccnz .LBB48_34
; %bb.19:
	v_cmp_ge_u32_e32 vcc, v0, v2
	s_and_saveexec_b64 s[6:7], vcc
	s_xor_b64 s[6:7], exec, s[6:7]
	s_cbranch_execz .LBB48_21
; %bb.20:
	v_mad_u64_u32 v[4:5], s[8:9], v2, s22, 0
	s_ashr_i32 s4, s22, 31
	s_waitcnt vmcnt(0)
	v_mov_b32_e32 v6, v5
	v_mad_u64_u32 v[2:3], s[8:9], v2, s4, v[6:7]
	v_mov_b32_e32 v5, v2
	v_lshlrev_b64 v[2:3], 2, v[4:5]
	v_mov_b32_e32 v1, 0
	v_mov_b32_e32 v4, s15
	v_add_co_u32_e32 v5, vcc, s14, v2
	v_addc_co_u32_e32 v4, vcc, v4, v3, vcc
	v_lshlrev_b64 v[2:3], 2, v[0:1]
	v_add_co_u32_e32 v2, vcc, v5, v2
	v_addc_co_u32_e32 v3, vcc, v4, v3, vcc
	global_store_dword v[2:3], v1, off
                                        ; implicit-def: $vgpr2_vgpr3
                                        ; implicit-def: $vgpr0
.LBB48_21:
	s_andn2_saveexec_b64 s[6:7], s[6:7]
	s_cbranch_execz .LBB48_33
; %bb.22:
	v_lshlrev_b64 v[4:5], 2, v[2:3]
	v_mov_b32_e32 v1, s17
	s_waitcnt vmcnt(0)
	v_add_co_u32_e32 v6, vcc, s16, v4
	v_addc_co_u32_e32 v7, vcc, v1, v5, vcc
	global_load_dword v3, v[6:7], off
	v_cndmask_b32_e64 v6, 0, 1, s[0:1]
	s_cmpk_lg_i32 s5, 0xb5
	v_mov_b32_e32 v1, 0
	s_mov_b64 s[4:5], -1
	v_cmp_ne_u32_e64 s[0:1], 1, v6
	s_cbranch_scc0 .LBB48_28
; %bb.23:
	s_and_b64 vcc, exec, s[0:1]
	s_cbranch_vccnz .LBB48_25
; %bb.24:
	v_mad_u64_u32 v[6:7], s[4:5], v2, s3, 0
	s_ashr_i32 s8, s3, 31
	v_mov_b32_e32 v8, v7
	v_mad_u64_u32 v[8:9], s[4:5], v2, s8, v[8:9]
	v_mov_b32_e32 v7, v8
	v_lshlrev_b64 v[6:7], 2, v[6:7]
	v_mov_b32_e32 v8, s12
	v_add_co_u32_e32 v9, vcc, s2, v6
	v_addc_co_u32_e32 v10, vcc, v8, v7, vcc
	v_lshlrev_b64 v[6:7], 2, v[0:1]
	v_add_co_u32_e32 v8, vcc, v9, v6
	v_addc_co_u32_e32 v9, vcc, v10, v7, vcc
	global_load_dword v12, v[8:9], off
	v_mad_u64_u32 v[8:9], s[4:5], v2, s22, 0
	s_ashr_i32 s8, s22, 31
	v_mov_b32_e32 v10, v9
	v_mad_u64_u32 v[10:11], s[4:5], v2, s8, v[10:11]
	v_mov_b32_e32 v9, v10
	v_lshlrev_b64 v[8:9], 2, v[8:9]
	v_mov_b32_e32 v13, s15
	v_add_co_u32_e32 v8, vcc, s14, v8
	v_addc_co_u32_e32 v9, vcc, v13, v9, vcc
	v_add_co_u32_e32 v6, vcc, v8, v6
	v_addc_co_u32_e32 v7, vcc, v9, v7, vcc
	s_mov_b64 s[4:5], 0
	s_waitcnt vmcnt(0)
	v_mul_f32_e64 v8, v12, -v3
	global_store_dword v[6:7], v8, off
.LBB48_25:
	s_andn2_b64 vcc, exec, s[4:5]
	s_cbranch_vccnz .LBB48_27
; %bb.26:
	v_mad_u64_u32 v[6:7], s[4:5], v2, s22, 0
	s_ashr_i32 s8, s22, 31
	v_mov_b32_e32 v8, v7
	v_mad_u64_u32 v[8:9], s[4:5], v2, s8, v[8:9]
	v_mov_b32_e32 v7, v8
	v_lshlrev_b64 v[6:7], 2, v[6:7]
	v_mov_b32_e32 v8, s15
	v_add_co_u32_e32 v9, vcc, s14, v6
	v_addc_co_u32_e32 v10, vcc, v8, v7, vcc
	v_lshlrev_b64 v[6:7], 2, v[0:1]
	v_add_co_u32_e32 v8, vcc, v9, v6
	v_addc_co_u32_e32 v9, vcc, v10, v7, vcc
	v_mad_u64_u32 v[10:11], s[4:5], v2, s3, 0
	s_ashr_i32 s8, s3, 31
	v_mov_b32_e32 v12, v11
	v_mad_u64_u32 v[12:13], s[4:5], v2, s8, v[12:13]
	v_mov_b32_e32 v11, v12
	v_lshlrev_b64 v[10:11], 2, v[10:11]
	v_mov_b32_e32 v12, s12
	v_add_co_u32_e32 v10, vcc, s2, v10
	v_addc_co_u32_e32 v11, vcc, v12, v11, vcc
	v_add_co_u32_e32 v6, vcc, v10, v6
	v_addc_co_u32_e32 v7, vcc, v11, v7, vcc
	global_load_dword v14, v[8:9], off
	s_nop 0
	global_load_dword v6, v[6:7], off
	s_waitcnt vmcnt(0)
	v_add_f32_e32 v6, v14, v6
	v_mul_f32_e64 v6, v6, -v3
	global_store_dword v[8:9], v6, off
.LBB48_27:
	s_mov_b64 s[4:5], 0
.LBB48_28:
	s_andn2_b64 vcc, exec, s[4:5]
	s_cbranch_vccnz .LBB48_33
; %bb.29:
	s_mov_b64 s[4:5], -1
	s_and_b64 vcc, exec, s[0:1]
	v_lshlrev_b64 v[6:7], 2, v[0:1]
	s_cbranch_vccnz .LBB48_31
; %bb.30:
	v_mad_u64_u32 v[8:9], s[0:1], v0, s3, 0
	s_ashr_i32 s4, s3, 31
	v_mov_b32_e32 v10, v9
	v_mad_u64_u32 v[10:11], s[0:1], v0, s4, v[10:11]
	v_mov_b32_e32 v9, v10
	v_lshlrev_b64 v[8:9], 2, v[8:9]
	v_mov_b32_e32 v1, s12
	v_add_co_u32_e32 v8, vcc, s2, v8
	v_addc_co_u32_e32 v1, vcc, v1, v9, vcc
	v_add_co_u32_e32 v8, vcc, v8, v4
	v_addc_co_u32_e32 v9, vcc, v1, v5, vcc
	global_load_dword v1, v[8:9], off
	v_mad_u64_u32 v[8:9], s[0:1], v2, s22, 0
	s_ashr_i32 s4, s22, 31
	v_mov_b32_e32 v10, v9
	v_mad_u64_u32 v[10:11], s[0:1], v2, s4, v[10:11]
	v_mov_b32_e32 v9, v10
	v_lshlrev_b64 v[8:9], 2, v[8:9]
	v_mov_b32_e32 v12, s15
	v_add_co_u32_e32 v8, vcc, s14, v8
	v_addc_co_u32_e32 v9, vcc, v12, v9, vcc
	v_add_co_u32_e32 v8, vcc, v8, v6
	v_addc_co_u32_e32 v9, vcc, v9, v7, vcc
	s_mov_b64 s[4:5], 0
	s_waitcnt vmcnt(0)
	v_mul_f32_e64 v1, v1, -v3
	global_store_dword v[8:9], v1, off
.LBB48_31:
	s_andn2_b64 vcc, exec, s[4:5]
	s_cbranch_vccnz .LBB48_33
; %bb.32:
	v_mad_u64_u32 v[8:9], s[0:1], v2, s22, 0
	s_ashr_i32 s4, s22, 31
	v_mov_b32_e32 v10, v9
	v_mad_u64_u32 v[10:11], s[0:1], v2, s4, v[10:11]
	v_mov_b32_e32 v9, v10
	v_lshlrev_b64 v[8:9], 2, v[8:9]
	v_mov_b32_e32 v1, s15
	v_add_co_u32_e32 v2, vcc, s14, v8
	v_addc_co_u32_e32 v1, vcc, v1, v9, vcc
	v_mad_u64_u32 v[8:9], s[0:1], v0, s3, 0
	v_add_co_u32_e32 v6, vcc, v2, v6
	s_ashr_i32 s4, s3, 31
	v_mov_b32_e32 v2, v9
	v_addc_co_u32_e32 v7, vcc, v1, v7, vcc
	s_waitcnt vmcnt(0)
	v_mad_u64_u32 v[0:1], s[0:1], v0, s4, v[2:3]
	v_mov_b32_e32 v9, v0
	v_lshlrev_b64 v[0:1], 2, v[8:9]
	v_mov_b32_e32 v2, s12
	v_add_co_u32_e32 v0, vcc, s2, v0
	v_addc_co_u32_e32 v1, vcc, v2, v1, vcc
	v_add_co_u32_e32 v0, vcc, v0, v4
	v_addc_co_u32_e32 v1, vcc, v1, v5, vcc
	global_load_dword v10, v[6:7], off
	s_nop 0
	global_load_dword v0, v[0:1], off
	s_waitcnt vmcnt(0)
	v_add_f32_e32 v0, v10, v0
	v_mul_f32_e64 v0, v0, -v3
	global_store_dword v[6:7], v0, off
.LBB48_33:
	s_or_b64 exec, exec, s[6:7]
                                        ; implicit-def: $vgpr2
.LBB48_34:
	s_andn2_saveexec_b64 s[0:1], s[10:11]
	s_cbranch_execz .LBB48_36
; %bb.35:
	s_waitcnt vmcnt(0)
	v_mov_b32_e32 v3, 0
	v_lshlrev_b64 v[0:1], 2, v[2:3]
	v_mov_b32_e32 v3, s17
	v_add_co_u32_e32 v4, vcc, s16, v0
	v_addc_co_u32_e32 v5, vcc, v3, v1, vcc
	global_load_dword v7, v[4:5], off
	v_mad_u64_u32 v[4:5], s[0:1], v2, s22, 0
	s_ashr_i32 s2, s22, 31
	v_mov_b32_e32 v6, v5
	s_waitcnt vmcnt(0)
	v_mad_u64_u32 v[2:3], s[0:1], v2, s2, v[6:7]
	v_mov_b32_e32 v5, v2
	v_lshlrev_b64 v[2:3], 2, v[4:5]
	v_mov_b32_e32 v4, s15
	v_add_co_u32_e32 v2, vcc, s14, v2
	v_addc_co_u32_e32 v3, vcc, v4, v3, vcc
	v_add_co_u32_e32 v0, vcc, v2, v0
	v_addc_co_u32_e32 v1, vcc, v3, v1, vcc
	global_store_dword v[0:1], v7, off
.LBB48_36:
	s_endpgm
	.section	.rodata,"a",@progbits
	.p2align	6, 0x0
	.amdhsa_kernel _ZN9rocsolver6v33100L14set_triangularIfPfTnNSt9enable_ifIXnt18rocblas_is_complexIT_EEiE4typeELi0EEEviiT0_iilPS4_lS8_il15rocblas_direct_15rocblas_storev_b
		.amdhsa_group_segment_fixed_size 0
		.amdhsa_private_segment_fixed_size 0
		.amdhsa_kernarg_size 344
		.amdhsa_user_sgpr_count 6
		.amdhsa_user_sgpr_private_segment_buffer 1
		.amdhsa_user_sgpr_dispatch_ptr 0
		.amdhsa_user_sgpr_queue_ptr 0
		.amdhsa_user_sgpr_kernarg_segment_ptr 1
		.amdhsa_user_sgpr_dispatch_id 0
		.amdhsa_user_sgpr_flat_scratch_init 0
		.amdhsa_user_sgpr_kernarg_preload_length 0
		.amdhsa_user_sgpr_kernarg_preload_offset 0
		.amdhsa_user_sgpr_private_segment_size 0
		.amdhsa_uses_dynamic_stack 0
		.amdhsa_system_sgpr_private_segment_wavefront_offset 0
		.amdhsa_system_sgpr_workgroup_id_x 1
		.amdhsa_system_sgpr_workgroup_id_y 1
		.amdhsa_system_sgpr_workgroup_id_z 1
		.amdhsa_system_sgpr_workgroup_info 0
		.amdhsa_system_vgpr_workitem_id 1
		.amdhsa_next_free_vgpr 15
		.amdhsa_next_free_sgpr 23
		.amdhsa_accum_offset 16
		.amdhsa_reserve_vcc 1
		.amdhsa_reserve_flat_scratch 0
		.amdhsa_float_round_mode_32 0
		.amdhsa_float_round_mode_16_64 0
		.amdhsa_float_denorm_mode_32 3
		.amdhsa_float_denorm_mode_16_64 3
		.amdhsa_dx10_clamp 1
		.amdhsa_ieee_mode 1
		.amdhsa_fp16_overflow 0
		.amdhsa_tg_split 0
		.amdhsa_exception_fp_ieee_invalid_op 0
		.amdhsa_exception_fp_denorm_src 0
		.amdhsa_exception_fp_ieee_div_zero 0
		.amdhsa_exception_fp_ieee_overflow 0
		.amdhsa_exception_fp_ieee_underflow 0
		.amdhsa_exception_fp_ieee_inexact 0
		.amdhsa_exception_int_div_zero 0
	.end_amdhsa_kernel
	.section	.text._ZN9rocsolver6v33100L14set_triangularIfPfTnNSt9enable_ifIXnt18rocblas_is_complexIT_EEiE4typeELi0EEEviiT0_iilPS4_lS8_il15rocblas_direct_15rocblas_storev_b,"axG",@progbits,_ZN9rocsolver6v33100L14set_triangularIfPfTnNSt9enable_ifIXnt18rocblas_is_complexIT_EEiE4typeELi0EEEviiT0_iilPS4_lS8_il15rocblas_direct_15rocblas_storev_b,comdat
.Lfunc_end48:
	.size	_ZN9rocsolver6v33100L14set_triangularIfPfTnNSt9enable_ifIXnt18rocblas_is_complexIT_EEiE4typeELi0EEEviiT0_iilPS4_lS8_il15rocblas_direct_15rocblas_storev_b, .Lfunc_end48-_ZN9rocsolver6v33100L14set_triangularIfPfTnNSt9enable_ifIXnt18rocblas_is_complexIT_EEiE4typeELi0EEEviiT0_iilPS4_lS8_il15rocblas_direct_15rocblas_storev_b
                                        ; -- End function
	.section	.AMDGPU.csdata,"",@progbits
; Kernel info:
; codeLenInByte = 2132
; NumSgprs: 27
; NumVgprs: 15
; NumAgprs: 0
; TotalNumVgprs: 15
; ScratchSize: 0
; MemoryBound: 0
; FloatMode: 240
; IeeeMode: 1
; LDSByteSize: 0 bytes/workgroup (compile time only)
; SGPRBlocks: 3
; VGPRBlocks: 1
; NumSGPRsForWavesPerEU: 27
; NumVGPRsForWavesPerEU: 15
; AccumOffset: 16
; Occupancy: 8
; WaveLimiterHint : 0
; COMPUTE_PGM_RSRC2:SCRATCH_EN: 0
; COMPUTE_PGM_RSRC2:USER_SGPR: 6
; COMPUTE_PGM_RSRC2:TRAP_HANDLER: 0
; COMPUTE_PGM_RSRC2:TGID_X_EN: 1
; COMPUTE_PGM_RSRC2:TGID_Y_EN: 1
; COMPUTE_PGM_RSRC2:TGID_Z_EN: 1
; COMPUTE_PGM_RSRC2:TIDIG_COMP_CNT: 1
; COMPUTE_PGM_RSRC3_GFX90A:ACCUM_OFFSET: 3
; COMPUTE_PGM_RSRC3_GFX90A:TG_SPLIT: 0
	.section	.text._ZN9rocsolver6v33100L7set_tauIfEEviPT_l,"axG",@progbits,_ZN9rocsolver6v33100L7set_tauIfEEviPT_l,comdat
	.globl	_ZN9rocsolver6v33100L7set_tauIfEEviPT_l ; -- Begin function _ZN9rocsolver6v33100L7set_tauIfEEviPT_l
	.p2align	8
	.type	_ZN9rocsolver6v33100L7set_tauIfEEviPT_l,@function
_ZN9rocsolver6v33100L7set_tauIfEEviPT_l: ; @_ZN9rocsolver6v33100L7set_tauIfEEviPT_l
; %bb.0:
	s_load_dword s0, s[4:5], 0x24
	s_load_dword s1, s[4:5], 0x0
	s_waitcnt lgkmcnt(0)
	s_and_b32 s0, s0, 0xffff
	s_mul_i32 s6, s6, s0
	v_add_u32_e32 v0, s6, v0
	v_cmp_gt_u32_e32 vcc, s1, v0
	s_and_saveexec_b64 s[0:1], vcc
	s_cbranch_execz .LBB49_2
; %bb.1:
	s_load_dwordx4 s[0:3], s[4:5], 0x8
	v_mov_b32_e32 v1, 0
	v_lshlrev_b64 v[0:1], 2, v[0:1]
	s_waitcnt lgkmcnt(0)
	s_mul_i32 s3, s7, s3
	s_mul_hi_u32 s4, s7, s2
	s_mul_i32 s2, s7, s2
	s_add_i32 s3, s4, s3
	s_lshl_b64 s[2:3], s[2:3], 2
	s_add_u32 s0, s0, s2
	s_addc_u32 s1, s1, s3
	v_mov_b32_e32 v2, s1
	v_add_co_u32_e32 v0, vcc, s0, v0
	v_addc_co_u32_e32 v1, vcc, v2, v1, vcc
	global_load_dword v2, v[0:1], off
	s_waitcnt vmcnt(0)
	v_xor_b32_e32 v2, 0x80000000, v2
	global_store_dword v[0:1], v2, off
.LBB49_2:
	s_endpgm
	.section	.rodata,"a",@progbits
	.p2align	6, 0x0
	.amdhsa_kernel _ZN9rocsolver6v33100L7set_tauIfEEviPT_l
		.amdhsa_group_segment_fixed_size 0
		.amdhsa_private_segment_fixed_size 0
		.amdhsa_kernarg_size 280
		.amdhsa_user_sgpr_count 6
		.amdhsa_user_sgpr_private_segment_buffer 1
		.amdhsa_user_sgpr_dispatch_ptr 0
		.amdhsa_user_sgpr_queue_ptr 0
		.amdhsa_user_sgpr_kernarg_segment_ptr 1
		.amdhsa_user_sgpr_dispatch_id 0
		.amdhsa_user_sgpr_flat_scratch_init 0
		.amdhsa_user_sgpr_kernarg_preload_length 0
		.amdhsa_user_sgpr_kernarg_preload_offset 0
		.amdhsa_user_sgpr_private_segment_size 0
		.amdhsa_uses_dynamic_stack 0
		.amdhsa_system_sgpr_private_segment_wavefront_offset 0
		.amdhsa_system_sgpr_workgroup_id_x 1
		.amdhsa_system_sgpr_workgroup_id_y 1
		.amdhsa_system_sgpr_workgroup_id_z 0
		.amdhsa_system_sgpr_workgroup_info 0
		.amdhsa_system_vgpr_workitem_id 0
		.amdhsa_next_free_vgpr 3
		.amdhsa_next_free_sgpr 8
		.amdhsa_accum_offset 4
		.amdhsa_reserve_vcc 1
		.amdhsa_reserve_flat_scratch 0
		.amdhsa_float_round_mode_32 0
		.amdhsa_float_round_mode_16_64 0
		.amdhsa_float_denorm_mode_32 3
		.amdhsa_float_denorm_mode_16_64 3
		.amdhsa_dx10_clamp 1
		.amdhsa_ieee_mode 1
		.amdhsa_fp16_overflow 0
		.amdhsa_tg_split 0
		.amdhsa_exception_fp_ieee_invalid_op 0
		.amdhsa_exception_fp_denorm_src 0
		.amdhsa_exception_fp_ieee_div_zero 0
		.amdhsa_exception_fp_ieee_overflow 0
		.amdhsa_exception_fp_ieee_underflow 0
		.amdhsa_exception_fp_ieee_inexact 0
		.amdhsa_exception_int_div_zero 0
	.end_amdhsa_kernel
	.section	.text._ZN9rocsolver6v33100L7set_tauIfEEviPT_l,"axG",@progbits,_ZN9rocsolver6v33100L7set_tauIfEEviPT_l,comdat
.Lfunc_end49:
	.size	_ZN9rocsolver6v33100L7set_tauIfEEviPT_l, .Lfunc_end49-_ZN9rocsolver6v33100L7set_tauIfEEviPT_l
                                        ; -- End function
	.section	.AMDGPU.csdata,"",@progbits
; Kernel info:
; codeLenInByte = 144
; NumSgprs: 12
; NumVgprs: 3
; NumAgprs: 0
; TotalNumVgprs: 3
; ScratchSize: 0
; MemoryBound: 0
; FloatMode: 240
; IeeeMode: 1
; LDSByteSize: 0 bytes/workgroup (compile time only)
; SGPRBlocks: 1
; VGPRBlocks: 0
; NumSGPRsForWavesPerEU: 12
; NumVGPRsForWavesPerEU: 3
; AccumOffset: 4
; Occupancy: 8
; WaveLimiterHint : 0
; COMPUTE_PGM_RSRC2:SCRATCH_EN: 0
; COMPUTE_PGM_RSRC2:USER_SGPR: 6
; COMPUTE_PGM_RSRC2:TRAP_HANDLER: 0
; COMPUTE_PGM_RSRC2:TGID_X_EN: 1
; COMPUTE_PGM_RSRC2:TGID_Y_EN: 1
; COMPUTE_PGM_RSRC2:TGID_Z_EN: 0
; COMPUTE_PGM_RSRC2:TIDIG_COMP_CNT: 0
; COMPUTE_PGM_RSRC3_GFX90A:ACCUM_OFFSET: 0
; COMPUTE_PGM_RSRC3_GFX90A:TG_SPLIT: 0
	.section	.text._ZN9rocsolver6v33100L20larft_kernel_forwardIfPfEEv15rocblas_storev_iiT0_iilPT_lS6_il,"axG",@progbits,_ZN9rocsolver6v33100L20larft_kernel_forwardIfPfEEv15rocblas_storev_iiT0_iilPT_lS6_il,comdat
	.globl	_ZN9rocsolver6v33100L20larft_kernel_forwardIfPfEEv15rocblas_storev_iiT0_iilPT_lS6_il ; -- Begin function _ZN9rocsolver6v33100L20larft_kernel_forwardIfPfEEv15rocblas_storev_iiT0_iilPT_lS6_il
	.p2align	8
	.type	_ZN9rocsolver6v33100L20larft_kernel_forwardIfPfEEv15rocblas_storev_iiT0_iilPT_lS6_il,@function
_ZN9rocsolver6v33100L20larft_kernel_forwardIfPfEEv15rocblas_storev_iiT0_iilPT_lS6_il: ; @_ZN9rocsolver6v33100L20larft_kernel_forwardIfPfEEv15rocblas_storev_iiT0_iilPT_lS6_il
; %bb.0:
	s_load_dword s2, s[4:5], 0x5c
	s_load_dword s30, s[4:5], 0x40
	s_load_dwordx2 s[0:1], s[4:5], 0x48
	s_load_dwordx4 s[16:19], s[4:5], 0x0
	s_load_dwordx8 s[8:15], s[4:5], 0x20
	s_waitcnt lgkmcnt(0)
	s_and_b32 s19, s2, 0xffff
	s_ashr_i32 s6, s7, 31
	s_mul_i32 s1, s7, s1
	s_mul_hi_u32 s2, s7, s0
	s_add_i32 s1, s2, s1
	s_mul_i32 s2, s6, s0
	s_add_i32 s1, s1, s2
	s_mul_i32 s0, s7, s0
	s_lshl_b64 s[0:1], s[0:1], 2
	s_add_u32 s31, s14, s0
	s_addc_u32 s33, s15, s1
	s_lshl_b32 s34, s18, 2
	s_mov_b32 s36, 0
	s_add_i32 s35, s34, 0
	v_cmp_gt_i32_e64 s[0:1], s18, v0
	v_xad_u32 v1, v0, -1, s18
	v_lshlrev_b32_e32 v10, 1, v0
	v_sub_u32_e32 v11, s18, v0
	s_and_saveexec_b64 s[14:15], s[0:1]
	s_cbranch_execz .LBB50_12
; %bb.1:
	s_lshl_b32 s37, s19, 1
	s_cmp_lg_u32 s30, 1
	v_lshlrev_b32_e32 v3, 1, v0
	s_cselect_b64 s[2:3], -1, 0
	s_mov_b32 s38, s18
	v_sub_u32_e32 v12, s18, v0
	v_lshl_add_u32 v2, v0, 2, s35
	s_lshl_b32 s39, s19, 2
	s_mov_b64 s[20:21], 0
	s_xor_b64 s[22:23], s[2:3], -1
	v_mov_b32_e32 v13, v3
	v_mov_b32_e32 v4, v0
	s_branch .LBB50_3
.LBB50_2:                               ;   in Loop: Header=BB50_3 Depth=1
	s_or_b64 exec, exec, s[2:3]
	v_add_u32_e32 v4, s19, v4
	s_add_i32 s36, s36, 1
	v_cmp_le_i32_e32 vcc, s18, v4
	v_add_u32_e32 v13, s37, v13
	v_subrev_u32_e32 v12, s19, v12
	s_or_b64 s[20:21], vcc, s[20:21]
	v_add_u32_e32 v2, s39, v2
	s_andn2_b64 exec, exec, s[20:21]
	s_cbranch_execz .LBB50_12
.LBB50_3:                               ; =>This Loop Header: Depth=1
                                        ;     Child Loop BB50_6 Depth 2
                                        ;     Child Loop BB50_11 Depth 2
	s_mul_i32 s26, s36, s19
	v_add_u32_e32 v5, s26, v0
	v_sub_u32_e32 v14, s18, v5
	v_cmp_gt_u32_e32 vcc, 4, v14
	v_cmp_lt_u32_e64 s[2:3], 3, v14
	v_mov_b32_e32 v5, v4
	s_and_saveexec_b64 s[24:25], s[2:3]
	s_cbranch_execz .LBB50_9
; %bb.4:                                ;   in Loop: Header=BB50_3 Depth=1
	s_mul_i32 s2, s37, s36
	v_add_u32_e32 v5, s2, v3
	v_subrev_u32_e32 v6, s26, v1
	v_add_u32_e32 v6, v5, v6
	v_cmp_ge_i32_e64 s[2:3], v6, v5
	s_mov_b64 s[28:29], -1
	s_and_b64 s[2:3], s[22:23], s[2:3]
	v_mov_b32_e32 v5, v4
	s_and_saveexec_b64 s[26:27], s[2:3]
	s_cbranch_execz .LBB50_8
; %bb.5:                                ;   in Loop: Header=BB50_3 Depth=1
	v_add_u32_e32 v5, 1, v4
	v_and_b32_e32 v15, -2, v12
	v_lshl_add_u32 v16, v4, 2, s35
	s_mov_b64 s[28:29], 0
	v_mov_b32_e32 v6, v13
	v_pk_mov_b32 v[8:9], v[4:5], v[4:5] op_sel:[0,1]
.LBB50_6:                               ;   Parent Loop BB50_3 Depth=1
                                        ; =>  This Inner Loop Header: Depth=2
	v_ashrrev_i32_e32 v7, 31, v6
	v_lshlrev_b64 v[18:19], 2, v[6:7]
	v_mov_b32_e32 v5, s33
	v_add_co_u32_e64 v18, s[2:3], s31, v18
	v_addc_co_u32_e64 v19, s[2:3], v5, v19, s[2:3]
	global_load_dwordx2 v[18:19], v[18:19], off
	v_add_u32_e32 v15, -2, v15
	v_mul_lo_u32 v7, v8, s18
	v_cmp_eq_u32_e64 s[2:3], 0, v15
	v_mul_lo_u32 v5, v9, s38
	v_add_u32_e32 v9, 2, v9
	v_add_u32_e32 v8, 2, v8
	v_lshl_add_u32 v7, v7, 2, v16
	v_add_u32_e32 v6, 2, v6
	s_or_b64 s[28:29], s[2:3], s[28:29]
	v_lshl_add_u32 v5, v5, 2, v16
	s_waitcnt vmcnt(0)
	ds_write_b32 v7, v18
	ds_write_b32 v5, v19
	s_andn2_b64 exec, exec, s[28:29]
	s_cbranch_execnz .LBB50_6
; %bb.7:                                ;   in Loop: Header=BB50_3 Depth=1
	s_or_b64 exec, exec, s[28:29]
	v_and_b32_e32 v6, -2, v14
	v_cmp_ne_u32_e64 s[2:3], v14, v6
	v_add_u32_e32 v5, v4, v6
	s_orn2_b64 s[28:29], s[2:3], exec
.LBB50_8:                               ;   in Loop: Header=BB50_3 Depth=1
	s_or_b64 exec, exec, s[26:27]
	s_andn2_b64 s[2:3], vcc, exec
	s_and_b64 s[26:27], s[28:29], exec
	s_or_b64 vcc, s[2:3], s[26:27]
.LBB50_9:                               ;   in Loop: Header=BB50_3 Depth=1
	s_or_b64 exec, exec, s[24:25]
	s_and_saveexec_b64 s[2:3], vcc
	s_cbranch_execz .LBB50_2
; %bb.10:                               ;   in Loop: Header=BB50_3 Depth=1
	v_mad_u64_u32 v[6:7], s[24:25], s34, v5, v[2:3]
	v_mad_u64_u32 v[8:9], s[24:25], s30, v5, v[4:5]
	s_mov_b64 s[24:25], 0
.LBB50_11:                              ;   Parent Loop BB50_3 Depth=1
                                        ; =>  This Inner Loop Header: Depth=2
	v_ashrrev_i32_e32 v9, 31, v8
	v_lshlrev_b64 v[14:15], 2, v[8:9]
	v_mov_b32_e32 v7, s33
	v_add_co_u32_e32 v14, vcc, s31, v14
	v_addc_co_u32_e32 v15, vcc, v7, v15, vcc
	global_load_dword v7, v[14:15], off
	v_add_u32_e32 v5, 1, v5
	v_cmp_le_i32_e32 vcc, s18, v5
	v_add_u32_e32 v8, s30, v8
	s_or_b64 s[24:25], vcc, s[24:25]
	s_waitcnt vmcnt(0)
	ds_write_b32 v6, v7
	v_add_u32_e32 v6, s34, v6
	s_andn2_b64 exec, exec, s[24:25]
	s_cbranch_execnz .LBB50_11
	s_branch .LBB50_2
.LBB50_12:
	s_or_b64 exec, exec, s[14:15]
	s_cmp_lt_i32 s18, 2
	s_waitcnt lgkmcnt(0)
	s_barrier
	s_cbranch_scc1 .LBB50_38
; %bb.13:
	s_load_dwordx4 s[20:23], s[4:5], 0x10
	s_mul_i32 s2, s7, s13
	s_mul_hi_u32 s3, s7, s12
	s_add_i32 s4, s3, s2
	s_mul_i32 s5, s6, s12
	s_add_i32 s5, s4, s5
	s_mul_i32 s4, s7, s12
	s_waitcnt lgkmcnt(0)
	s_ashr_i32 s3, s22, 31
	s_lshl_b64 s[4:5], s[4:5], 2
	s_mov_b32 s2, s22
	s_add_u32 s22, s10, s4
	s_addc_u32 s28, s11, s5
	s_cmpk_lg_i32 s16, 0xb5
	s_mul_i32 s6, s8, s6
	s_mul_hi_u32 s10, s8, s7
	s_cselect_b64 s[4:5], -1, 0
	s_add_i32 s6, s10, s6
	s_mul_i32 s9, s9, s7
	s_add_i32 s9, s6, s9
	s_mul_i32 s8, s8, s7
	s_lshl_b64 s[12:13], s[8:9], 2
	s_add_u32 s16, s12, 4
	s_addc_u32 s29, s13, 0
	s_lshl_b64 s[2:3], s[2:3], 2
	s_add_u32 s36, s20, s2
	s_addc_u32 s37, s21, s3
	s_ashr_i32 s11, s23, 31
	s_mov_b32 s10, s23
	s_lshl_b32 s8, s23, 1
	s_lshl_b64 s[10:11], s[10:11], 2
	s_lshl_b32 s38, s19, 2
	s_add_u32 s2, s12, s2
	s_addc_u32 s3, s13, s3
	s_add_u32 s2, s2, s20
	v_lshlrev_b32_e32 v4, 2, v0
	s_addc_u32 s3, s3, s21
	s_add_u32 s40, s2, 8
	v_add_u32_e32 v5, 4, v4
	s_mov_b32 s7, 0
	v_mov_b32_e32 v3, s13
	v_add_co_u32_e32 v2, vcc, s12, v4
	s_addc_u32 s41, s3, 0
	v_mul_lo_u32 v5, s18, v5
	s_add_i32 s43, s34, 4
	s_mov_b32 s6, 1
	v_addc_co_u32_e32 v3, vcc, 0, v3, vcc
	s_mov_b32 s39, s7
	v_mul_lo_u32 v8, v0, s23
	s_mul_i32 s42, s23, s19
	v_add3_u32 v9, v5, v4, 0
	s_mul_i32 s43, s43, s19
	v_add_u32_e32 v12, 0, v4
	s_mov_b32 s12, s23
	s_branch .LBB50_15
.LBB50_14:                              ;   in Loop: Header=BB50_15 Depth=1
	s_or_b64 exec, exec, s[2:3]
	s_add_i32 s6, s6, 1
	s_add_u32 s16, s16, 4
	s_addc_u32 s29, s29, 0
	s_add_i32 s8, s8, s23
	s_add_u32 s40, s40, 4
	s_addc_u32 s41, s41, 0
	s_add_i32 s12, s12, s23
	s_cmp_eq_u32 s6, s18
	s_waitcnt lgkmcnt(0)
	s_barrier
	s_cbranch_scc1 .LBB50_38
.LBB50_15:                              ; =>This Loop Header: Depth=1
                                        ;     Child Loop BB50_20 Depth 2
                                        ;       Child Loop BB50_22 Depth 3
                                        ;     Child Loop BB50_29 Depth 2
                                        ;       Child Loop BB50_31 Depth 3
	;; [unrolled: 2-line block ×3, first 2 shown]
	s_mul_i32 s2, s6, s18
	s_not_b32 s45, s6
	s_lshl_b32 s2, s2, 2
	s_add_i32 s45, s45, s17
	s_add_i32 s44, s35, s2
	s_mov_b64 s[14:15], -1
	s_and_b64 vcc, exec, s[4:5]
	v_cmp_gt_u32_e64 s[2:3], s6, v0
	s_cbranch_vccz .LBB50_24
; %bb.16:                               ;   in Loop: Header=BB50_15 Depth=1
	s_and_saveexec_b64 s[14:15], s[2:3]
	s_cbranch_execz .LBB50_23
; %bb.17:                               ;   in Loop: Header=BB50_15 Depth=1
	s_ashr_i32 s9, s8, 31
	s_lshl_b64 s[2:3], s[8:9], 2
	s_add_u32 s2, s36, s2
	s_addc_u32 s3, s37, s3
	s_cmp_gt_i32 s45, 0
	s_cselect_b64 s[20:21], -1, 0
	s_lshl_b64 s[24:25], s[6:7], 2
	s_add_u32 s24, s22, s24
	s_addc_u32 s25, s28, s25
	s_load_dword s9, s[24:25], 0x0
	s_mov_b64 s[24:25], 0
	v_pk_mov_b32 v[4:5], v[2:3], v[2:3] op_sel:[0,1]
	v_mov_b32_e32 v6, v0
	s_branch .LBB50_20
.LBB50_18:                              ;   in Loop: Header=BB50_20 Depth=2
	v_mov_b32_e32 v7, 0
.LBB50_19:                              ;   in Loop: Header=BB50_20 Depth=2
	v_lshlrev_b32_e32 v13, 2, v6
	v_add_u32_e32 v14, s44, v13
	ds_read_b32 v14, v14
	v_add_u32_e32 v6, s19, v6
	v_cmp_le_u32_e32 vcc, s6, v6
	v_mov_b32_e32 v15, s39
	s_or_b64 s[24:25], vcc, s[24:25]
	v_add_co_u32_e32 v4, vcc, s38, v4
	v_add_u32_e32 v13, 0, v13
	s_waitcnt lgkmcnt(0)
	v_fmac_f32_e32 v14, s9, v7
	v_addc_co_u32_e32 v5, vcc, v5, v15, vcc
	ds_write_b32 v13, v14
	s_andn2_b64 exec, exec, s[24:25]
	s_cbranch_execz .LBB50_23
.LBB50_20:                              ;   Parent Loop BB50_15 Depth=1
                                        ; =>  This Loop Header: Depth=2
                                        ;       Child Loop BB50_22 Depth 3
	s_andn2_b64 vcc, exec, s[20:21]
	s_cbranch_vccnz .LBB50_18
; %bb.21:                               ;   in Loop: Header=BB50_20 Depth=2
	s_mov_b32 s13, 0
	v_mov_b32_e32 v7, 0
	s_mov_b64 s[26:27], s[2:3]
.LBB50_22:                              ;   Parent Loop BB50_15 Depth=1
                                        ;     Parent Loop BB50_20 Depth=2
                                        ; =>    This Inner Loop Header: Depth=3
	v_mov_b32_e32 v13, s27
	v_add_co_u32_e32 v14, vcc, s26, v4
	v_addc_co_u32_e32 v15, vcc, v13, v5, vcc
	global_load_dword v13, v[14:15], off
	s_add_u32 s46, s26, s16
	s_addc_u32 s47, s27, s29
	s_load_dword s46, s[46:47], 0x0
	s_add_i32 s13, s13, 1
	s_add_u32 s26, s26, s10
	s_addc_u32 s27, s27, s11
	s_cmp_ge_i32 s13, s45
	s_waitcnt vmcnt(0) lgkmcnt(0)
	v_fmac_f32_e32 v7, s46, v13
	s_cbranch_scc0 .LBB50_22
	s_branch .LBB50_19
.LBB50_23:                              ;   in Loop: Header=BB50_15 Depth=1
	s_or_b64 exec, exec, s[14:15]
	s_mov_b64 s[14:15], 0
.LBB50_24:                              ;   in Loop: Header=BB50_15 Depth=1
	s_andn2_b64 vcc, exec, s[14:15]
	s_cbranch_vccnz .LBB50_33
; %bb.25:                               ;   in Loop: Header=BB50_15 Depth=1
	v_cmp_gt_u32_e32 vcc, s6, v0
	s_and_saveexec_b64 s[2:3], vcc
	s_cbranch_execz .LBB50_32
; %bb.26:                               ;   in Loop: Header=BB50_15 Depth=1
	s_ashr_i32 s13, s12, 31
	s_lshl_b64 s[14:15], s[12:13], 2
	s_add_u32 s14, s40, s14
	s_addc_u32 s15, s41, s15
	s_cmp_gt_i32 s45, 0
	s_cselect_b64 s[20:21], -1, 0
	s_lshl_b64 s[24:25], s[6:7], 2
	s_add_u32 s24, s22, s24
	s_addc_u32 s25, s28, s25
	s_load_dword s9, s[24:25], 0x0
	s_mov_b64 s[24:25], 0
	v_mov_b32_e32 v4, v8
	v_mov_b32_e32 v13, v0
	s_branch .LBB50_29
.LBB50_27:                              ;   in Loop: Header=BB50_29 Depth=2
	v_mov_b32_e32 v5, 0
.LBB50_28:                              ;   in Loop: Header=BB50_29 Depth=2
	v_lshlrev_b32_e32 v6, 2, v13
	v_add_u32_e32 v7, s44, v6
	ds_read_b32 v7, v7
	v_add_u32_e32 v13, s19, v13
	v_cmp_le_u32_e32 vcc, s6, v13
	v_add_u32_e32 v6, 0, v6
	s_or_b64 s[24:25], vcc, s[24:25]
	s_waitcnt lgkmcnt(0)
	v_fmac_f32_e32 v7, s9, v5
	v_add_u32_e32 v4, s42, v4
	ds_write_b32 v6, v7
	s_andn2_b64 exec, exec, s[24:25]
	s_cbranch_execz .LBB50_32
.LBB50_29:                              ;   Parent Loop BB50_15 Depth=1
                                        ; =>  This Loop Header: Depth=2
                                        ;       Child Loop BB50_31 Depth 3
	s_andn2_b64 vcc, exec, s[20:21]
	s_cbranch_vccnz .LBB50_27
; %bb.30:                               ;   in Loop: Header=BB50_29 Depth=2
	v_ashrrev_i32_e32 v5, 31, v4
	v_lshlrev_b64 v[6:7], 2, v[4:5]
	v_mov_b32_e32 v5, s41
	v_add_co_u32_e32 v6, vcc, s40, v6
	v_addc_co_u32_e32 v7, vcc, v5, v7, vcc
	s_mov_b32 s13, 0
	v_mov_b32_e32 v5, 0
	s_mov_b64 s[26:27], s[14:15]
.LBB50_31:                              ;   Parent Loop BB50_15 Depth=1
                                        ;     Parent Loop BB50_29 Depth=2
                                        ; =>    This Inner Loop Header: Depth=3
	global_load_dword v14, v[6:7], off
	s_load_dword s46, s[26:27], 0x0
	s_add_i32 s13, s13, 1
	s_add_u32 s26, s26, 4
	v_add_co_u32_e32 v6, vcc, 4, v6
	s_addc_u32 s27, s27, 0
	v_addc_co_u32_e32 v7, vcc, 0, v7, vcc
	s_cmp_ge_i32 s13, s45
	s_waitcnt vmcnt(0) lgkmcnt(0)
	v_fmac_f32_e32 v5, s46, v14
	s_cbranch_scc0 .LBB50_31
	s_branch .LBB50_28
.LBB50_32:                              ;   in Loop: Header=BB50_15 Depth=1
	s_or_b64 exec, exec, s[2:3]
.LBB50_33:                              ;   in Loop: Header=BB50_15 Depth=1
	v_cmp_gt_u32_e32 vcc, s6, v0
	s_waitcnt lgkmcnt(0)
	s_barrier
	s_and_saveexec_b64 s[2:3], vcc
	s_cbranch_execz .LBB50_14
; %bb.34:                               ;   in Loop: Header=BB50_15 Depth=1
	s_mov_b64 s[14:15], 0
	v_mov_b32_e32 v4, v12
	v_mov_b32_e32 v5, v9
	v_mov_b32_e32 v6, v0
.LBB50_35:                              ;   Parent Loop BB50_15 Depth=1
                                        ; =>  This Loop Header: Depth=2
                                        ;       Child Loop BB50_36 Depth 3
	v_mov_b32_e32 v7, 0
	s_mov_b64 s[20:21], 0
	v_mov_b32_e32 v13, v4
	v_mov_b32_e32 v14, v5
	;; [unrolled: 1-line block ×3, first 2 shown]
.LBB50_36:                              ;   Parent Loop BB50_15 Depth=1
                                        ;     Parent Loop BB50_35 Depth=2
                                        ; =>    This Inner Loop Header: Depth=3
	ds_read_b32 v16, v14
	ds_read_b32 v17, v13
	v_add_u32_e32 v15, 1, v15
	v_cmp_le_u32_e32 vcc, s6, v15
	v_add_u32_e32 v14, s34, v14
	v_add_u32_e32 v13, 4, v13
	s_or_b64 s[20:21], vcc, s[20:21]
	s_waitcnt lgkmcnt(0)
	v_fmac_f32_e32 v7, v16, v17
	s_andn2_b64 exec, exec, s[20:21]
	s_cbranch_execnz .LBB50_36
; %bb.37:                               ;   in Loop: Header=BB50_35 Depth=2
	s_or_b64 exec, exec, s[20:21]
	v_lshl_add_u32 v13, v6, 2, s44
	v_add_u32_e32 v6, s19, v6
	v_cmp_le_u32_e32 vcc, s6, v6
	v_add_u32_e32 v5, s43, v5
	s_or_b64 s[14:15], vcc, s[14:15]
	v_add_u32_e32 v4, s38, v4
	ds_write_b32 v13, v7
	s_andn2_b64 exec, exec, s[14:15]
	s_cbranch_execnz .LBB50_35
	s_branch .LBB50_14
.LBB50_38:
	s_and_saveexec_b64 s[2:3], s[0:1]
	s_cbranch_execz .LBB50_50
; %bb.39:
	s_lshl_b32 s14, s19, 1
	s_cmp_lg_u32 s30, 1
	s_cselect_b64 s[0:1], -1, 0
	s_mov_b32 s15, s18
	s_mov_b32 s16, 0
	v_lshl_add_u32 v2, v0, 2, s35
	s_lshl_b32 s17, s19, 2
	s_mov_b64 s[4:5], 0
	s_xor_b64 s[6:7], s[0:1], -1
	v_mov_b32_e32 v3, v10
	v_mov_b32_e32 v4, v0
	s_branch .LBB50_41
.LBB50_40:                              ;   in Loop: Header=BB50_41 Depth=1
	s_or_b64 exec, exec, s[2:3]
	v_add_u32_e32 v4, s19, v4
	s_add_i32 s16, s16, 1
	v_cmp_le_i32_e32 vcc, s18, v4
	v_add_u32_e32 v3, s14, v3
	v_subrev_u32_e32 v11, s19, v11
	s_or_b64 s[4:5], vcc, s[4:5]
	v_add_u32_e32 v2, s17, v2
	s_andn2_b64 exec, exec, s[4:5]
	s_cbranch_execz .LBB50_50
.LBB50_41:                              ; =>This Loop Header: Depth=1
                                        ;     Child Loop BB50_44 Depth 2
                                        ;     Child Loop BB50_49 Depth 2
	s_mul_i32 s2, s16, s19
	v_add_u32_e32 v5, s2, v0
	v_sub_u32_e32 v12, s18, v5
	v_cmp_gt_u32_e32 vcc, 4, v12
	v_cmp_lt_u32_e64 s[0:1], 3, v12
	v_mov_b32_e32 v5, v4
	s_and_saveexec_b64 s[8:9], s[0:1]
	s_cbranch_execz .LBB50_47
; %bb.42:                               ;   in Loop: Header=BB50_41 Depth=1
	s_mul_i32 s0, s14, s16
	v_add_u32_e32 v5, s0, v10
	v_subrev_u32_e32 v6, s2, v1
	v_add_u32_e32 v6, v5, v6
	v_cmp_ge_i32_e64 s[0:1], v6, v5
	s_mov_b64 s[2:3], -1
	s_and_b64 s[0:1], s[6:7], s[0:1]
	v_mov_b32_e32 v5, v4
	s_and_saveexec_b64 s[10:11], s[0:1]
	s_cbranch_execz .LBB50_46
; %bb.43:                               ;   in Loop: Header=BB50_41 Depth=1
	v_add_u32_e32 v5, 1, v4
	v_and_b32_e32 v13, -2, v11
	v_lshl_add_u32 v14, v4, 2, s35
	s_mov_b64 s[12:13], 0
	v_mov_b32_e32 v6, v3
	v_pk_mov_b32 v[8:9], v[4:5], v[4:5] op_sel:[0,1]
.LBB50_44:                              ;   Parent Loop BB50_41 Depth=1
                                        ; =>  This Inner Loop Header: Depth=2
	v_mul_lo_u32 v15, v8, s18
	v_mul_lo_u32 v5, v9, s15
	v_lshl_add_u32 v15, v15, 2, v14
	v_lshl_add_u32 v5, v5, 2, v14
	ds_read_b32 v18, v15
	ds_read_b32 v19, v5
	v_ashrrev_i32_e32 v7, 31, v6
	v_add_u32_e32 v13, -2, v13
	v_lshlrev_b64 v[16:17], 2, v[6:7]
	v_mov_b32_e32 v20, s33
	v_cmp_eq_u32_e64 s[0:1], 0, v13
	v_add_co_u32_e64 v16, s[2:3], s31, v16
	v_add_u32_e32 v9, 2, v9
	v_add_u32_e32 v8, 2, v8
	;; [unrolled: 1-line block ×3, first 2 shown]
	v_addc_co_u32_e64 v17, s[2:3], v20, v17, s[2:3]
	s_or_b64 s[12:13], s[0:1], s[12:13]
	s_waitcnt lgkmcnt(0)
	global_store_dwordx2 v[16:17], v[18:19], off
	s_andn2_b64 exec, exec, s[12:13]
	s_cbranch_execnz .LBB50_44
; %bb.45:                               ;   in Loop: Header=BB50_41 Depth=1
	s_or_b64 exec, exec, s[12:13]
	v_and_b32_e32 v6, -2, v12
	v_cmp_ne_u32_e64 s[0:1], v12, v6
	v_add_u32_e32 v5, v4, v6
	s_orn2_b64 s[2:3], s[0:1], exec
.LBB50_46:                              ;   in Loop: Header=BB50_41 Depth=1
	s_or_b64 exec, exec, s[10:11]
	s_andn2_b64 s[0:1], vcc, exec
	s_and_b64 s[2:3], s[2:3], exec
	s_or_b64 vcc, s[0:1], s[2:3]
.LBB50_47:                              ;   in Loop: Header=BB50_41 Depth=1
	s_or_b64 exec, exec, s[8:9]
	s_and_saveexec_b64 s[2:3], vcc
	s_cbranch_execz .LBB50_40
; %bb.48:                               ;   in Loop: Header=BB50_41 Depth=1
	v_mad_u64_u32 v[6:7], s[0:1], s30, v5, v[4:5]
	v_mad_u64_u32 v[8:9], s[0:1], s34, v5, v[2:3]
	s_mov_b64 s[8:9], 0
.LBB50_49:                              ;   Parent Loop BB50_41 Depth=1
                                        ; =>  This Inner Loop Header: Depth=2
	ds_read_b32 v9, v8
	v_ashrrev_i32_e32 v7, 31, v6
	v_add_u32_e32 v5, 1, v5
	v_lshlrev_b64 v[12:13], 2, v[6:7]
	v_mov_b32_e32 v14, s33
	v_cmp_le_i32_e32 vcc, s18, v5
	v_add_co_u32_e64 v12, s[0:1], s31, v12
	v_add_u32_e32 v8, s34, v8
	v_add_u32_e32 v6, s30, v6
	v_addc_co_u32_e64 v13, s[0:1], v14, v13, s[0:1]
	s_or_b64 s[8:9], vcc, s[8:9]
	s_waitcnt lgkmcnt(0)
	global_store_dword v[12:13], v9, off
	s_andn2_b64 exec, exec, s[8:9]
	s_cbranch_execnz .LBB50_49
	s_branch .LBB50_40
.LBB50_50:
	s_endpgm
	.section	.rodata,"a",@progbits
	.p2align	6, 0x0
	.amdhsa_kernel _ZN9rocsolver6v33100L20larft_kernel_forwardIfPfEEv15rocblas_storev_iiT0_iilPT_lS6_il
		.amdhsa_group_segment_fixed_size 0
		.amdhsa_private_segment_fixed_size 0
		.amdhsa_kernarg_size 336
		.amdhsa_user_sgpr_count 6
		.amdhsa_user_sgpr_private_segment_buffer 1
		.amdhsa_user_sgpr_dispatch_ptr 0
		.amdhsa_user_sgpr_queue_ptr 0
		.amdhsa_user_sgpr_kernarg_segment_ptr 1
		.amdhsa_user_sgpr_dispatch_id 0
		.amdhsa_user_sgpr_flat_scratch_init 0
		.amdhsa_user_sgpr_kernarg_preload_length 0
		.amdhsa_user_sgpr_kernarg_preload_offset 0
		.amdhsa_user_sgpr_private_segment_size 0
		.amdhsa_uses_dynamic_stack 0
		.amdhsa_system_sgpr_private_segment_wavefront_offset 0
		.amdhsa_system_sgpr_workgroup_id_x 1
		.amdhsa_system_sgpr_workgroup_id_y 1
		.amdhsa_system_sgpr_workgroup_id_z 0
		.amdhsa_system_sgpr_workgroup_info 0
		.amdhsa_system_vgpr_workitem_id 0
		.amdhsa_next_free_vgpr 21
		.amdhsa_next_free_sgpr 48
		.amdhsa_accum_offset 24
		.amdhsa_reserve_vcc 1
		.amdhsa_reserve_flat_scratch 0
		.amdhsa_float_round_mode_32 0
		.amdhsa_float_round_mode_16_64 0
		.amdhsa_float_denorm_mode_32 3
		.amdhsa_float_denorm_mode_16_64 3
		.amdhsa_dx10_clamp 1
		.amdhsa_ieee_mode 1
		.amdhsa_fp16_overflow 0
		.amdhsa_tg_split 0
		.amdhsa_exception_fp_ieee_invalid_op 0
		.amdhsa_exception_fp_denorm_src 0
		.amdhsa_exception_fp_ieee_div_zero 0
		.amdhsa_exception_fp_ieee_overflow 0
		.amdhsa_exception_fp_ieee_underflow 0
		.amdhsa_exception_fp_ieee_inexact 0
		.amdhsa_exception_int_div_zero 0
	.end_amdhsa_kernel
	.section	.text._ZN9rocsolver6v33100L20larft_kernel_forwardIfPfEEv15rocblas_storev_iiT0_iilPT_lS6_il,"axG",@progbits,_ZN9rocsolver6v33100L20larft_kernel_forwardIfPfEEv15rocblas_storev_iiT0_iilPT_lS6_il,comdat
.Lfunc_end50:
	.size	_ZN9rocsolver6v33100L20larft_kernel_forwardIfPfEEv15rocblas_storev_iiT0_iilPT_lS6_il, .Lfunc_end50-_ZN9rocsolver6v33100L20larft_kernel_forwardIfPfEEv15rocblas_storev_iiT0_iilPT_lS6_il
                                        ; -- End function
	.section	.AMDGPU.csdata,"",@progbits
; Kernel info:
; codeLenInByte = 2112
; NumSgprs: 52
; NumVgprs: 21
; NumAgprs: 0
; TotalNumVgprs: 21
; ScratchSize: 0
; MemoryBound: 0
; FloatMode: 240
; IeeeMode: 1
; LDSByteSize: 0 bytes/workgroup (compile time only)
; SGPRBlocks: 6
; VGPRBlocks: 2
; NumSGPRsForWavesPerEU: 52
; NumVGPRsForWavesPerEU: 21
; AccumOffset: 24
; Occupancy: 8
; WaveLimiterHint : 0
; COMPUTE_PGM_RSRC2:SCRATCH_EN: 0
; COMPUTE_PGM_RSRC2:USER_SGPR: 6
; COMPUTE_PGM_RSRC2:TRAP_HANDLER: 0
; COMPUTE_PGM_RSRC2:TGID_X_EN: 1
; COMPUTE_PGM_RSRC2:TGID_Y_EN: 1
; COMPUTE_PGM_RSRC2:TGID_Z_EN: 0
; COMPUTE_PGM_RSRC2:TIDIG_COMP_CNT: 0
; COMPUTE_PGM_RSRC3_GFX90A:ACCUM_OFFSET: 5
; COMPUTE_PGM_RSRC3_GFX90A:TG_SPLIT: 0
	.section	.text._ZN9rocsolver6v33100L21larft_kernel_backwardIfPfEEv15rocblas_storev_iiT0_iilPT_lS6_il,"axG",@progbits,_ZN9rocsolver6v33100L21larft_kernel_backwardIfPfEEv15rocblas_storev_iiT0_iilPT_lS6_il,comdat
	.globl	_ZN9rocsolver6v33100L21larft_kernel_backwardIfPfEEv15rocblas_storev_iiT0_iilPT_lS6_il ; -- Begin function _ZN9rocsolver6v33100L21larft_kernel_backwardIfPfEEv15rocblas_storev_iiT0_iilPT_lS6_il
	.p2align	8
	.type	_ZN9rocsolver6v33100L21larft_kernel_backwardIfPfEEv15rocblas_storev_iiT0_iilPT_lS6_il,@function
_ZN9rocsolver6v33100L21larft_kernel_backwardIfPfEEv15rocblas_storev_iiT0_iilPT_lS6_il: ; @_ZN9rocsolver6v33100L21larft_kernel_backwardIfPfEEv15rocblas_storev_iiT0_iilPT_lS6_il
; %bb.0:
	s_load_dword s2, s[4:5], 0x5c
	s_load_dword s33, s[4:5], 0x40
	s_load_dwordx2 s[0:1], s[4:5], 0x48
	s_load_dwordx4 s[16:19], s[4:5], 0x0
	s_load_dwordx8 s[8:15], s[4:5], 0x20
	s_waitcnt lgkmcnt(0)
	s_and_b32 s19, s2, 0xffff
	s_ashr_i32 s6, s7, 31
	s_mul_i32 s1, s7, s1
	s_mul_hi_u32 s2, s7, s0
	s_add_i32 s1, s2, s1
	s_mul_i32 s2, s6, s0
	s_add_i32 s1, s1, s2
	s_mul_i32 s0, s7, s0
	s_lshl_b64 s[0:1], s[0:1], 2
	s_add_u32 s34, s14, s0
	s_addc_u32 s35, s15, s1
	v_cmp_gt_i32_e64 s[0:1], s18, v0
	v_add_u32_e32 v1, 1, v0
	s_and_saveexec_b64 s[14:15], s[0:1]
	s_cbranch_execz .LBB51_12
; %bb.1:
	s_cmp_lg_u32 s33, 1
	s_cselect_b64 s[20:21], -1, 0
	s_cmp_lg_u32 s18, 1
	s_cselect_b64 s[22:23], -1, 0
	s_lshl_b32 s36, s18, 2
	s_add_i32 s2, s36, 0
	v_add_u32_e32 v3, 1, v0
	v_lshl_add_u32 v6, v0, 2, s2
	s_lshl_b32 s37, s19, 2
	s_mov_b64 s[24:25], 0
	v_mov_b32_e32 v2, v0
	s_branch .LBB51_3
.LBB51_2:                               ;   in Loop: Header=BB51_3 Depth=1
	s_or_b64 exec, exec, s[2:3]
	v_add_u32_e32 v2, s19, v2
	v_cmp_le_i32_e32 vcc, s18, v2
	v_add_u32_e32 v3, s19, v3
	s_or_b64 s[24:25], vcc, s[24:25]
	v_add_u32_e32 v6, s37, v6
	s_andn2_b64 exec, exec, s[24:25]
	s_cbranch_execz .LBB51_12
.LBB51_3:                               ; =>This Loop Header: Depth=1
                                        ;     Child Loop BB51_6 Depth 2
                                        ;     Child Loop BB51_11 Depth 2
	v_cmp_gt_u32_e32 vcc, 6, v3
	v_cmp_lt_u32_e64 s[2:3], 5, v3
	v_mov_b32_e32 v7, 0
	s_and_saveexec_b64 s[26:27], s[2:3]
	s_cbranch_execz .LBB51_9
; %bb.4:                                ;   in Loop: Header=BB51_3 Depth=1
	v_lshlrev_b32_e32 v4, 1, v2
	v_cmp_lt_i32_e64 s[2:3], v4, v2
	s_or_b64 s[2:3], s[20:21], s[2:3]
	s_or_b64 s[28:29], s[2:3], s[22:23]
	s_mov_b64 s[2:3], -1
	s_xor_b64 s[30:31], s[28:29], -1
	v_mov_b32_e32 v7, 0
	s_and_saveexec_b64 s[28:29], s[30:31]
	s_cbranch_execz .LBB51_8
; %bb.5:                                ;   in Loop: Header=BB51_3 Depth=1
	v_and_b32_e32 v7, -4, v3
	s_mov_b32 s38, 0
	s_mov_b64 s[30:31], 0
	v_mov_b32_e32 v4, v6
.LBB51_6:                               ;   Parent Loop BB51_3 Depth=1
                                        ; =>  This Inner Loop Header: Depth=2
	v_add_u32_e32 v8, s38, v2
	v_ashrrev_i32_e32 v9, 31, v8
	v_lshlrev_b64 v[8:9], 2, v[8:9]
	v_mov_b32_e32 v5, s35
	v_add_co_u32_e64 v8, s[2:3], s34, v8
	v_addc_co_u32_e64 v9, s[2:3], v5, v9, s[2:3]
	global_load_dwordx4 v[8:11], v[8:9], off
	s_add_i32 s38, s38, 4
	v_cmp_eq_u32_e64 s[2:3], s38, v7
	s_or_b64 s[30:31], s[2:3], s[30:31]
	s_waitcnt vmcnt(0)
	ds_write2_b32 v4, v8, v9 offset1:1
	ds_write2_b32 v4, v10, v11 offset0:2 offset1:3
	v_add_u32_e32 v4, 16, v4
	s_andn2_b64 exec, exec, s[30:31]
	s_cbranch_execnz .LBB51_6
; %bb.7:                                ;   in Loop: Header=BB51_3 Depth=1
	s_or_b64 exec, exec, s[30:31]
	v_cmp_ne_u32_e64 s[2:3], v3, v7
	s_orn2_b64 s[2:3], s[2:3], exec
.LBB51_8:                               ;   in Loop: Header=BB51_3 Depth=1
	s_or_b64 exec, exec, s[28:29]
	s_andn2_b64 s[28:29], vcc, exec
	s_and_b64 s[2:3], s[2:3], exec
	s_or_b64 vcc, s[28:29], s[2:3]
.LBB51_9:                               ;   in Loop: Header=BB51_3 Depth=1
	s_or_b64 exec, exec, s[26:27]
	s_and_saveexec_b64 s[2:3], vcc
	s_cbranch_execz .LBB51_2
; %bb.10:                               ;   in Loop: Header=BB51_3 Depth=1
	v_mad_u64_u32 v[4:5], s[26:27], s33, v7, v[2:3]
	v_mul_lo_u32 v8, s36, v7
	s_mov_b64 s[26:27], 0
.LBB51_11:                              ;   Parent Loop BB51_3 Depth=1
                                        ; =>  This Inner Loop Header: Depth=2
	v_ashrrev_i32_e32 v5, 31, v4
	v_lshlrev_b64 v[10:11], 2, v[4:5]
	v_mov_b32_e32 v9, s35
	v_add_co_u32_e32 v10, vcc, s34, v10
	v_addc_co_u32_e32 v11, vcc, v9, v11, vcc
	global_load_dword v5, v[10:11], off
	v_add_u32_e32 v7, 1, v7
	v_cmp_eq_u32_e32 vcc, v3, v7
	v_add_u32_e32 v9, v6, v8
	v_add_u32_e32 v8, s36, v8
	;; [unrolled: 1-line block ×3, first 2 shown]
	s_or_b64 s[26:27], vcc, s[26:27]
	s_waitcnt vmcnt(0)
	ds_write_b32 v9, v5
	s_andn2_b64 exec, exec, s[26:27]
	s_cbranch_execnz .LBB51_11
	s_branch .LBB51_2
.LBB51_12:
	s_or_b64 exec, exec, s[14:15]
	s_cmp_lt_i32 s18, 2
	s_waitcnt lgkmcnt(0)
	s_barrier
	s_cbranch_scc1 .LBB51_38
; %bb.13:
	s_load_dwordx4 s[20:23], s[4:5], 0x10
	s_mul_i32 s2, s7, s13
	s_mul_hi_u32 s3, s7, s12
	s_add_i32 s4, s3, s2
	s_mul_i32 s5, s6, s12
	s_add_i32 s5, s4, s5
	s_mul_i32 s4, s7, s12
	s_waitcnt lgkmcnt(0)
	s_ashr_i32 s3, s22, 31
	s_lshl_b64 s[4:5], s[4:5], 2
	s_mov_b32 s2, s22
	s_add_u32 s22, s10, s4
	s_addc_u32 s26, s11, s5
	s_lshl_b32 s27, s18, 2
	s_add_i32 s28, s27, 0
	s_add_i32 s4, s18, -2
	s_sub_i32 s29, s17, s18
	s_cmpk_lg_i32 s16, 0xb5
	s_mul_i32 s6, s8, s6
	s_mul_hi_u32 s12, s8, s7
	s_cselect_b64 s[10:11], -1, 0
	s_add_i32 s6, s12, s6
	s_mul_i32 s9, s9, s7
	s_add_i32 s9, s6, s9
	s_mul_i32 s8, s8, s7
	s_lshl_b64 s[6:7], s[8:9], 2
	s_lshl_b64 s[2:3], s[2:3], 2
	s_mov_b32 s5, 0
	s_add_u32 s8, s6, s2
	s_addc_u32 s9, s7, s3
	s_lshl_b64 s[2:3], s[4:5], 2
	s_add_u32 s6, s8, s2
	s_addc_u32 s7, s9, s3
	s_add_u32 s30, s20, s6
	s_addc_u32 s31, s21, s7
	s_ashr_i32 s7, s23, 31
	s_mov_b32 s6, s23
	s_lshl_b64 s[6:7], s[6:7], 2
	s_add_u32 s36, s20, s8
	s_addc_u32 s37, s21, s9
	v_lshlrev_b32_e32 v4, 2, v0
	s_add_u32 s2, s36, s2
	s_addc_u32 s3, s37, s3
	v_add_co_u32_e32 v3, vcc, s2, v4
	s_add_i32 s2, s18, -1
	v_mov_b32_e32 v2, s3
	s_mul_i32 s8, s23, s2
	s_add_i32 s2, s27, 4
	v_addc_co_u32_e32 v5, vcc, 0, v2, vcc
	s_mul_i32 s2, s18, s2
	v_add_co_u32_e32 v2, vcc, 4, v3
	s_add_i32 s2, s2, 0
	v_addc_co_u32_e32 v3, vcc, 0, v5, vcc
	s_lshl_b32 s38, s19, 2
	s_mov_b32 s39, s5
	v_mul_lo_u32 v8, v0, s23
	s_mul_i32 s40, s23, s19
	s_mul_i32 s12, s23, s4
	v_add3_u32 v9, s2, v4, -4
	s_xor_b32 s41, s27, -4
	s_branch .LBB51_15
.LBB51_14:                              ;   in Loop: Header=BB51_15 Depth=1
	s_or_b64 exec, exec, s[2:3]
	s_add_i32 s2, s4, -1
	s_add_u32 s30, s30, -4
	s_addc_u32 s31, s31, -1
	v_add_co_u32_e32 v2, vcc, -4, v2
	s_sub_i32 s8, s8, s23
	s_sub_i32 s12, s12, s23
	v_addc_co_u32_e32 v3, vcc, -1, v3, vcc
	v_add_u32_e32 v9, s41, v9
	s_cmp_lt_i32 s4, 1
	s_mov_b32 s4, s2
	s_waitcnt lgkmcnt(0)
	s_barrier
	s_cbranch_scc1 .LBB51_38
.LBB51_15:                              ; =>This Loop Header: Depth=1
                                        ;     Child Loop BB51_20 Depth 2
                                        ;       Child Loop BB51_22 Depth 3
                                        ;     Child Loop BB51_29 Depth 2
                                        ;       Child Loop BB51_31 Depth 3
	;; [unrolled: 2-line block ×3, first 2 shown]
	s_lshl_b32 s2, s4, 2
	s_not_b32 s42, s4
	s_add_i32 s43, s28, s2
	s_mul_i32 s2, s4, s18
	s_add_i32 s42, s42, s18
	s_lshl_b32 s2, s2, 2
	s_add_i32 s44, s4, s29
	s_add_i32 s43, s43, s2
	s_mov_b64 s[14:15], -1
	s_and_b64 vcc, exec, s[10:11]
	v_cmp_gt_i32_e64 s[2:3], s42, v0
	s_cbranch_vccz .LBB51_24
; %bb.16:                               ;   in Loop: Header=BB51_15 Depth=1
	s_and_saveexec_b64 s[14:15], s[2:3]
	s_cbranch_execz .LBB51_23
; %bb.17:                               ;   in Loop: Header=BB51_15 Depth=1
	s_cmp_gt_i32 s44, 0
	s_cselect_b64 s[2:3], -1, 0
	s_lshl_b64 s[16:17], s[4:5], 2
	s_add_u32 s16, s22, s16
	s_addc_u32 s17, s26, s17
	s_load_dword s9, s[16:17], 0x0
	v_cndmask_b32_e64 v4, 0, 1, s[2:3]
	s_add_i32 s13, s43, 4
	s_mov_b64 s[16:17], 0
	v_cmp_ne_u32_e64 s[2:3], 1, v4
	v_pk_mov_b32 v[4:5], v[2:3], v[2:3] op_sel:[0,1]
	v_mov_b32_e32 v6, v0
	s_branch .LBB51_20
.LBB51_18:                              ;   in Loop: Header=BB51_20 Depth=2
	v_mov_b32_e32 v7, 0
.LBB51_19:                              ;   in Loop: Header=BB51_20 Depth=2
	v_lshlrev_b32_e32 v10, 2, v6
	v_add_u32_e32 v11, s13, v10
	ds_read_b32 v11, v11
	v_add_u32_e32 v6, s19, v6
	v_cmp_le_i32_e32 vcc, s42, v6
	v_mov_b32_e32 v12, s39
	s_or_b64 s[16:17], vcc, s[16:17]
	v_add_co_u32_e32 v4, vcc, s38, v4
	v_add_u32_e32 v10, 0, v10
	s_waitcnt lgkmcnt(0)
	v_fmac_f32_e32 v11, s9, v7
	v_addc_co_u32_e32 v5, vcc, v5, v12, vcc
	ds_write_b32 v10, v11
	s_andn2_b64 exec, exec, s[16:17]
	s_cbranch_execz .LBB51_23
.LBB51_20:                              ;   Parent Loop BB51_15 Depth=1
                                        ; =>  This Loop Header: Depth=2
                                        ;       Child Loop BB51_22 Depth 3
	s_and_b64 vcc, exec, s[2:3]
	s_cbranch_vccnz .LBB51_18
; %bb.21:                               ;   in Loop: Header=BB51_20 Depth=2
	s_mov_b32 s24, 0
	s_mov_b64 s[20:21], 0
	v_mov_b32_e32 v7, 0
.LBB51_22:                              ;   Parent Loop BB51_15 Depth=1
                                        ;     Parent Loop BB51_20 Depth=2
                                        ; =>    This Inner Loop Header: Depth=3
	v_mov_b32_e32 v11, s21
	v_add_co_u32_e32 v10, vcc, s20, v4
	v_addc_co_u32_e32 v11, vcc, v5, v11, vcc
	global_load_dword v10, v[10:11], off
	s_add_u32 s46, s30, s20
	s_addc_u32 s47, s31, s21
	s_load_dword s25, s[46:47], 0x0
	s_add_i32 s24, s24, 1
	s_add_u32 s20, s20, s6
	s_addc_u32 s21, s21, s7
	s_cmp_ge_i32 s24, s44
	s_waitcnt vmcnt(0) lgkmcnt(0)
	v_fmac_f32_e32 v7, s25, v10
	s_cbranch_scc0 .LBB51_22
	s_branch .LBB51_19
.LBB51_23:                              ;   in Loop: Header=BB51_15 Depth=1
	s_or_b64 exec, exec, s[14:15]
	s_mov_b64 s[14:15], 0
.LBB51_24:                              ;   in Loop: Header=BB51_15 Depth=1
	s_andn2_b64 vcc, exec, s[14:15]
	s_cbranch_vccnz .LBB51_33
; %bb.25:                               ;   in Loop: Header=BB51_15 Depth=1
	v_cmp_gt_i32_e32 vcc, s42, v0
	s_and_saveexec_b64 s[2:3], vcc
	s_cbranch_execz .LBB51_32
; %bb.26:                               ;   in Loop: Header=BB51_15 Depth=1
	s_ashr_i32 s9, s8, 31
	s_ashr_i32 s13, s12, 31
	s_lshl_b64 s[20:21], s[8:9], 2
	s_lshl_b64 s[14:15], s[12:13], 2
	s_add_u32 s14, s36, s14
	s_addc_u32 s15, s37, s15
	s_cmp_gt_i32 s44, 0
	s_cselect_b64 s[16:17], -1, 0
	s_lshl_b64 s[24:25], s[4:5], 2
	s_add_u32 s24, s22, s24
	s_addc_u32 s25, s26, s25
	s_load_dword s9, s[24:25], 0x0
	s_add_i32 s13, s43, 4
	s_add_u32 s45, s36, s20
	s_addc_u32 s46, s37, s21
	s_mov_b64 s[20:21], 0
	v_mov_b32_e32 v4, v8
	v_mov_b32_e32 v10, v0
	s_branch .LBB51_29
.LBB51_27:                              ;   in Loop: Header=BB51_29 Depth=2
	v_mov_b32_e32 v5, 0
.LBB51_28:                              ;   in Loop: Header=BB51_29 Depth=2
	v_lshlrev_b32_e32 v6, 2, v10
	v_add_u32_e32 v7, s13, v6
	ds_read_b32 v7, v7
	v_add_u32_e32 v10, s19, v10
	v_cmp_le_i32_e32 vcc, s42, v10
	v_add_u32_e32 v6, 0, v6
	s_or_b64 s[20:21], vcc, s[20:21]
	s_waitcnt lgkmcnt(0)
	v_fmac_f32_e32 v7, s9, v5
	v_add_u32_e32 v4, s40, v4
	ds_write_b32 v6, v7
	s_andn2_b64 exec, exec, s[20:21]
	s_cbranch_execz .LBB51_32
.LBB51_29:                              ;   Parent Loop BB51_15 Depth=1
                                        ; =>  This Loop Header: Depth=2
                                        ;       Child Loop BB51_31 Depth 3
	s_andn2_b64 vcc, exec, s[16:17]
	s_cbranch_vccnz .LBB51_27
; %bb.30:                               ;   in Loop: Header=BB51_29 Depth=2
	v_ashrrev_i32_e32 v5, 31, v4
	v_lshlrev_b64 v[6:7], 2, v[4:5]
	v_mov_b32_e32 v5, s46
	v_add_co_u32_e32 v6, vcc, s45, v6
	v_addc_co_u32_e32 v7, vcc, v5, v7, vcc
	s_mov_b32 s47, 0
	v_mov_b32_e32 v5, 0
	s_mov_b64 s[24:25], s[14:15]
.LBB51_31:                              ;   Parent Loop BB51_15 Depth=1
                                        ;     Parent Loop BB51_29 Depth=2
                                        ; =>    This Inner Loop Header: Depth=3
	global_load_dword v11, v[6:7], off
	s_load_dword s48, s[24:25], 0x0
	s_add_i32 s47, s47, 1
	s_add_u32 s24, s24, 4
	v_add_co_u32_e32 v6, vcc, 4, v6
	s_addc_u32 s25, s25, 0
	v_addc_co_u32_e32 v7, vcc, 0, v7, vcc
	s_cmp_ge_i32 s47, s44
	s_waitcnt vmcnt(0) lgkmcnt(0)
	v_fmac_f32_e32 v5, s48, v11
	s_cbranch_scc0 .LBB51_31
	s_branch .LBB51_28
.LBB51_32:                              ;   in Loop: Header=BB51_15 Depth=1
	s_or_b64 exec, exec, s[2:3]
.LBB51_33:                              ;   in Loop: Header=BB51_15 Depth=1
	v_cmp_gt_i32_e32 vcc, s42, v0
	s_waitcnt lgkmcnt(0)
	s_barrier
	s_and_saveexec_b64 s[2:3], vcc
	s_cbranch_execz .LBB51_14
; %bb.34:                               ;   in Loop: Header=BB51_15 Depth=1
	s_add_i32 s43, s43, 4
	s_mov_b64 s[14:15], 0
	v_mov_b32_e32 v4, v9
	v_mov_b32_e32 v5, v0
.LBB51_35:                              ;   Parent Loop BB51_15 Depth=1
                                        ; =>  This Loop Header: Depth=2
                                        ;       Child Loop BB51_36 Depth 3
	s_mov_b32 s9, -1
	s_mov_b32 s13, 0
	v_mov_b32_e32 v6, 0
	s_mov_b64 s[16:17], 0
	v_mov_b32_e32 v7, v4
.LBB51_36:                              ;   Parent Loop BB51_15 Depth=1
                                        ;     Parent Loop BB51_35 Depth=2
                                        ; =>    This Inner Loop Header: Depth=3
	v_mov_b32_e32 v11, s13
	ds_read_b32 v10, v7
	ds_read_b32 v11, v11
	s_add_i32 s9, s9, 1
	s_add_i32 s13, s13, 4
	v_cmp_eq_u32_e32 vcc, s9, v5
	v_add_u32_e32 v7, s27, v7
	s_or_b64 s[16:17], vcc, s[16:17]
	s_waitcnt lgkmcnt(0)
	v_fmac_f32_e32 v6, v10, v11
	s_andn2_b64 exec, exec, s[16:17]
	s_cbranch_execnz .LBB51_36
; %bb.37:                               ;   in Loop: Header=BB51_35 Depth=2
	s_or_b64 exec, exec, s[16:17]
	v_lshl_add_u32 v7, v5, 2, s43
	v_add_u32_e32 v5, s19, v5
	v_cmp_le_i32_e32 vcc, s42, v5
	s_or_b64 s[14:15], vcc, s[14:15]
	v_add_u32_e32 v4, s38, v4
	ds_write_b32 v7, v6
	s_andn2_b64 exec, exec, s[14:15]
	s_cbranch_execnz .LBB51_35
	s_branch .LBB51_14
.LBB51_38:
	s_and_saveexec_b64 s[2:3], s[0:1]
	s_cbranch_execz .LBB51_50
; %bb.39:
	s_cmp_lg_u32 s18, 1
	s_cselect_b64 s[0:1], -1, 0
	s_cmp_lg_u32 s33, 1
	s_cselect_b64 s[2:3], -1, 0
	s_lshl_b32 s12, s18, 2
	s_or_b64 s[0:1], s[0:1], s[2:3]
	s_add_i32 s2, s12, 0
	v_lshl_add_u32 v4, v0, 2, s2
	s_lshl_b32 s13, s19, 2
	s_mov_b64 s[2:3], 0
	s_xor_b64 s[4:5], s[0:1], -1
	s_branch .LBB51_41
.LBB51_40:                              ;   in Loop: Header=BB51_41 Depth=1
	s_or_b64 exec, exec, s[6:7]
	v_add_u32_e32 v0, s19, v0
	v_cmp_le_i32_e32 vcc, s18, v0
	v_add_u32_e32 v1, s19, v1
	s_or_b64 s[2:3], vcc, s[2:3]
	v_add_u32_e32 v4, s13, v4
	s_andn2_b64 exec, exec, s[2:3]
	s_cbranch_execz .LBB51_50
.LBB51_41:                              ; =>This Loop Header: Depth=1
                                        ;     Child Loop BB51_44 Depth 2
                                        ;     Child Loop BB51_49 Depth 2
	v_cmp_gt_u32_e32 vcc, 6, v1
	v_cmp_lt_u32_e64 s[0:1], 5, v1
	v_mov_b32_e32 v5, 0
	s_and_saveexec_b64 s[6:7], s[0:1]
	s_cbranch_execz .LBB51_47
; %bb.42:                               ;   in Loop: Header=BB51_41 Depth=1
	v_lshlrev_b32_e32 v2, 1, v0
	v_cmp_ge_i32_e64 s[0:1], v2, v0
	s_mov_b64 s[10:11], -1
	s_and_b64 s[0:1], s[4:5], s[0:1]
	v_mov_b32_e32 v5, 0
	s_and_saveexec_b64 s[8:9], s[0:1]
	s_cbranch_execz .LBB51_46
; %bb.43:                               ;   in Loop: Header=BB51_41 Depth=1
	v_and_b32_e32 v5, -4, v1
	s_mov_b32 s14, 0
	s_mov_b64 s[10:11], 0
	v_mov_b32_e32 v2, v4
.LBB51_44:                              ;   Parent Loop BB51_41 Depth=1
                                        ; =>  This Inner Loop Header: Depth=2
	ds_read2_b32 v[6:7], v2 offset1:1
	ds_read2_b32 v[8:9], v2 offset0:2 offset1:3
	v_add_u32_e32 v10, s14, v0
	s_add_i32 s14, s14, 4
	v_ashrrev_i32_e32 v11, 31, v10
	v_cmp_eq_u32_e64 s[0:1], s14, v5
	v_lshlrev_b64 v[10:11], 2, v[10:11]
	v_mov_b32_e32 v3, s35
	s_or_b64 s[10:11], s[0:1], s[10:11]
	v_add_co_u32_e64 v10, s[0:1], s34, v10
	v_add_u32_e32 v2, 16, v2
	v_addc_co_u32_e64 v11, s[0:1], v3, v11, s[0:1]
	s_waitcnt lgkmcnt(0)
	global_store_dwordx4 v[10:11], v[6:9], off
	s_andn2_b64 exec, exec, s[10:11]
	s_cbranch_execnz .LBB51_44
; %bb.45:                               ;   in Loop: Header=BB51_41 Depth=1
	s_or_b64 exec, exec, s[10:11]
	v_cmp_ne_u32_e64 s[0:1], v1, v5
	s_orn2_b64 s[10:11], s[0:1], exec
.LBB51_46:                              ;   in Loop: Header=BB51_41 Depth=1
	s_or_b64 exec, exec, s[8:9]
	s_andn2_b64 s[0:1], vcc, exec
	s_and_b64 s[8:9], s[10:11], exec
	s_or_b64 vcc, s[0:1], s[8:9]
.LBB51_47:                              ;   in Loop: Header=BB51_41 Depth=1
	s_or_b64 exec, exec, s[6:7]
	s_and_saveexec_b64 s[6:7], vcc
	s_cbranch_execz .LBB51_40
; %bb.48:                               ;   in Loop: Header=BB51_41 Depth=1
	v_mad_u64_u32 v[2:3], s[0:1], s33, v5, v[0:1]
	v_mul_lo_u32 v6, s12, v5
	s_mov_b64 s[8:9], 0
.LBB51_49:                              ;   Parent Loop BB51_41 Depth=1
                                        ; =>  This Inner Loop Header: Depth=2
	v_add_u32_e32 v7, v4, v6
	ds_read_b32 v7, v7
	v_ashrrev_i32_e32 v3, 31, v2
	v_add_u32_e32 v5, 1, v5
	v_lshlrev_b64 v[8:9], 2, v[2:3]
	v_mov_b32_e32 v10, s35
	v_cmp_eq_u32_e32 vcc, v1, v5
	v_add_co_u32_e64 v8, s[0:1], s34, v8
	v_add_u32_e32 v6, s12, v6
	v_add_u32_e32 v2, s33, v2
	v_addc_co_u32_e64 v9, s[0:1], v10, v9, s[0:1]
	s_or_b64 s[8:9], vcc, s[8:9]
	s_waitcnt lgkmcnt(0)
	global_store_dword v[8:9], v7, off
	s_andn2_b64 exec, exec, s[8:9]
	s_cbranch_execnz .LBB51_49
	s_branch .LBB51_40
.LBB51_50:
	s_endpgm
	.section	.rodata,"a",@progbits
	.p2align	6, 0x0
	.amdhsa_kernel _ZN9rocsolver6v33100L21larft_kernel_backwardIfPfEEv15rocblas_storev_iiT0_iilPT_lS6_il
		.amdhsa_group_segment_fixed_size 0
		.amdhsa_private_segment_fixed_size 0
		.amdhsa_kernarg_size 336
		.amdhsa_user_sgpr_count 6
		.amdhsa_user_sgpr_private_segment_buffer 1
		.amdhsa_user_sgpr_dispatch_ptr 0
		.amdhsa_user_sgpr_queue_ptr 0
		.amdhsa_user_sgpr_kernarg_segment_ptr 1
		.amdhsa_user_sgpr_dispatch_id 0
		.amdhsa_user_sgpr_flat_scratch_init 0
		.amdhsa_user_sgpr_kernarg_preload_length 0
		.amdhsa_user_sgpr_kernarg_preload_offset 0
		.amdhsa_user_sgpr_private_segment_size 0
		.amdhsa_uses_dynamic_stack 0
		.amdhsa_system_sgpr_private_segment_wavefront_offset 0
		.amdhsa_system_sgpr_workgroup_id_x 1
		.amdhsa_system_sgpr_workgroup_id_y 1
		.amdhsa_system_sgpr_workgroup_id_z 0
		.amdhsa_system_sgpr_workgroup_info 0
		.amdhsa_system_vgpr_workitem_id 0
		.amdhsa_next_free_vgpr 13
		.amdhsa_next_free_sgpr 49
		.amdhsa_accum_offset 16
		.amdhsa_reserve_vcc 1
		.amdhsa_reserve_flat_scratch 0
		.amdhsa_float_round_mode_32 0
		.amdhsa_float_round_mode_16_64 0
		.amdhsa_float_denorm_mode_32 3
		.amdhsa_float_denorm_mode_16_64 3
		.amdhsa_dx10_clamp 1
		.amdhsa_ieee_mode 1
		.amdhsa_fp16_overflow 0
		.amdhsa_tg_split 0
		.amdhsa_exception_fp_ieee_invalid_op 0
		.amdhsa_exception_fp_denorm_src 0
		.amdhsa_exception_fp_ieee_div_zero 0
		.amdhsa_exception_fp_ieee_overflow 0
		.amdhsa_exception_fp_ieee_underflow 0
		.amdhsa_exception_fp_ieee_inexact 0
		.amdhsa_exception_int_div_zero 0
	.end_amdhsa_kernel
	.section	.text._ZN9rocsolver6v33100L21larft_kernel_backwardIfPfEEv15rocblas_storev_iiT0_iilPT_lS6_il,"axG",@progbits,_ZN9rocsolver6v33100L21larft_kernel_backwardIfPfEEv15rocblas_storev_iiT0_iilPT_lS6_il,comdat
.Lfunc_end51:
	.size	_ZN9rocsolver6v33100L21larft_kernel_backwardIfPfEEv15rocblas_storev_iiT0_iilPT_lS6_il, .Lfunc_end51-_ZN9rocsolver6v33100L21larft_kernel_backwardIfPfEEv15rocblas_storev_iiT0_iilPT_lS6_il
                                        ; -- End function
	.section	.AMDGPU.csdata,"",@progbits
; Kernel info:
; codeLenInByte = 1980
; NumSgprs: 53
; NumVgprs: 13
; NumAgprs: 0
; TotalNumVgprs: 13
; ScratchSize: 0
; MemoryBound: 0
; FloatMode: 240
; IeeeMode: 1
; LDSByteSize: 0 bytes/workgroup (compile time only)
; SGPRBlocks: 6
; VGPRBlocks: 1
; NumSGPRsForWavesPerEU: 53
; NumVGPRsForWavesPerEU: 13
; AccumOffset: 16
; Occupancy: 8
; WaveLimiterHint : 0
; COMPUTE_PGM_RSRC2:SCRATCH_EN: 0
; COMPUTE_PGM_RSRC2:USER_SGPR: 6
; COMPUTE_PGM_RSRC2:TRAP_HANDLER: 0
; COMPUTE_PGM_RSRC2:TGID_X_EN: 1
; COMPUTE_PGM_RSRC2:TGID_Y_EN: 1
; COMPUTE_PGM_RSRC2:TGID_Z_EN: 0
; COMPUTE_PGM_RSRC2:TIDIG_COMP_CNT: 0
; COMPUTE_PGM_RSRC3_GFX90A:ACCUM_OFFSET: 3
; COMPUTE_PGM_RSRC3_GFX90A:TG_SPLIT: 0
	.section	.text._ZN9rocsolver6v33100L9copymatA1IfPfEEviiT0_iilPT_,"axG",@progbits,_ZN9rocsolver6v33100L9copymatA1IfPfEEviiT0_iilPT_,comdat
	.globl	_ZN9rocsolver6v33100L9copymatA1IfPfEEviiT0_iilPT_ ; -- Begin function _ZN9rocsolver6v33100L9copymatA1IfPfEEviiT0_iilPT_
	.p2align	8
	.type	_ZN9rocsolver6v33100L9copymatA1IfPfEEviiT0_iilPT_,@function
_ZN9rocsolver6v33100L9copymatA1IfPfEEviiT0_iilPT_: ; @_ZN9rocsolver6v33100L9copymatA1IfPfEEviiT0_iilPT_
; %bb.0:
	s_load_dword s0, s[4:5], 0x34
	s_load_dwordx2 s[2:3], s[4:5], 0x0
	v_and_b32_e32 v1, 0x3ff, v0
	v_bfe_u32 v0, v0, 10, 10
	s_waitcnt lgkmcnt(0)
	s_lshr_b32 s1, s0, 16
	s_and_b32 s0, s0, 0xffff
	s_mul_i32 s6, s6, s0
	s_mul_i32 s7, s7, s1
	v_add_u32_e32 v1, s6, v1
	v_add_u32_e32 v0, s7, v0
	v_cmp_gt_u32_e32 vcc, s2, v0
	v_cmp_gt_u32_e64 s[0:1], s3, v1
	s_and_b64 s[0:1], s[0:1], vcc
	s_and_saveexec_b64 s[6:7], s[0:1]
	s_cbranch_execz .LBB52_2
; %bb.1:
	s_ashr_i32 s0, s2, 31
	s_load_dwordx8 s[12:19], s[4:5], 0x8
	s_mul_hi_u32 s4, s2, s8
	s_mul_i32 s0, s0, s8
	s_ashr_i32 s1, s3, 31
	s_add_i32 s0, s4, s0
	s_mul_i32 s4, s2, s8
	s_mul_i32 s1, s4, s1
	s_mul_hi_u32 s5, s4, s3
	s_add_i32 s1, s5, s1
	s_mul_i32 s0, s0, s3
	s_add_i32 s1, s1, s0
	s_mul_i32 s0, s4, s3
	s_lshl_b64 s[0:1], s[0:1], 2
	s_waitcnt lgkmcnt(0)
	s_add_u32 s3, s18, s0
	s_mul_i32 s4, s8, s17
	s_mul_hi_u32 s5, s8, s16
	s_addc_u32 s6, s19, s1
	s_add_i32 s5, s5, s4
	s_mul_i32 s4, s8, s16
	s_ashr_i32 s1, s14, 31
	s_lshl_b64 s[4:5], s[4:5], 2
	s_mov_b32 s0, s14
	s_add_u32 s4, s12, s4
	s_addc_u32 s5, s13, s5
	s_lshl_b64 s[0:1], s[0:1], 2
	s_add_u32 s4, s4, s0
	s_addc_u32 s5, s5, s1
	v_mad_u64_u32 v[2:3], s[0:1], v1, s15, v[0:1]
	v_mov_b32_e32 v3, 0
	v_lshlrev_b64 v[4:5], 2, v[2:3]
	v_mov_b32_e32 v2, s5
	v_add_co_u32_e32 v4, vcc, s4, v4
	v_addc_co_u32_e32 v5, vcc, v2, v5, vcc
	global_load_dword v2, v[4:5], off
	v_mad_u64_u32 v[0:1], s[0:1], v1, s2, v[0:1]
	v_mov_b32_e32 v1, v3
	v_lshlrev_b64 v[0:1], 2, v[0:1]
	v_mov_b32_e32 v3, s6
	v_add_co_u32_e32 v0, vcc, s3, v0
	v_addc_co_u32_e32 v1, vcc, v3, v1, vcc
	s_waitcnt vmcnt(0)
	global_store_dword v[0:1], v2, off
.LBB52_2:
	s_endpgm
	.section	.rodata,"a",@progbits
	.p2align	6, 0x0
	.amdhsa_kernel _ZN9rocsolver6v33100L9copymatA1IfPfEEviiT0_iilPT_
		.amdhsa_group_segment_fixed_size 0
		.amdhsa_private_segment_fixed_size 0
		.amdhsa_kernarg_size 296
		.amdhsa_user_sgpr_count 6
		.amdhsa_user_sgpr_private_segment_buffer 1
		.amdhsa_user_sgpr_dispatch_ptr 0
		.amdhsa_user_sgpr_queue_ptr 0
		.amdhsa_user_sgpr_kernarg_segment_ptr 1
		.amdhsa_user_sgpr_dispatch_id 0
		.amdhsa_user_sgpr_flat_scratch_init 0
		.amdhsa_user_sgpr_kernarg_preload_length 0
		.amdhsa_user_sgpr_kernarg_preload_offset 0
		.amdhsa_user_sgpr_private_segment_size 0
		.amdhsa_uses_dynamic_stack 0
		.amdhsa_system_sgpr_private_segment_wavefront_offset 0
		.amdhsa_system_sgpr_workgroup_id_x 1
		.amdhsa_system_sgpr_workgroup_id_y 1
		.amdhsa_system_sgpr_workgroup_id_z 1
		.amdhsa_system_sgpr_workgroup_info 0
		.amdhsa_system_vgpr_workitem_id 1
		.amdhsa_next_free_vgpr 6
		.amdhsa_next_free_sgpr 20
		.amdhsa_accum_offset 8
		.amdhsa_reserve_vcc 1
		.amdhsa_reserve_flat_scratch 0
		.amdhsa_float_round_mode_32 0
		.amdhsa_float_round_mode_16_64 0
		.amdhsa_float_denorm_mode_32 3
		.amdhsa_float_denorm_mode_16_64 3
		.amdhsa_dx10_clamp 1
		.amdhsa_ieee_mode 1
		.amdhsa_fp16_overflow 0
		.amdhsa_tg_split 0
		.amdhsa_exception_fp_ieee_invalid_op 0
		.amdhsa_exception_fp_denorm_src 0
		.amdhsa_exception_fp_ieee_div_zero 0
		.amdhsa_exception_fp_ieee_overflow 0
		.amdhsa_exception_fp_ieee_underflow 0
		.amdhsa_exception_fp_ieee_inexact 0
		.amdhsa_exception_int_div_zero 0
	.end_amdhsa_kernel
	.section	.text._ZN9rocsolver6v33100L9copymatA1IfPfEEviiT0_iilPT_,"axG",@progbits,_ZN9rocsolver6v33100L9copymatA1IfPfEEviiT0_iilPT_,comdat
.Lfunc_end52:
	.size	_ZN9rocsolver6v33100L9copymatA1IfPfEEviiT0_iilPT_, .Lfunc_end52-_ZN9rocsolver6v33100L9copymatA1IfPfEEviiT0_iilPT_
                                        ; -- End function
	.section	.AMDGPU.csdata,"",@progbits
; Kernel info:
; codeLenInByte = 296
; NumSgprs: 24
; NumVgprs: 6
; NumAgprs: 0
; TotalNumVgprs: 6
; ScratchSize: 0
; MemoryBound: 0
; FloatMode: 240
; IeeeMode: 1
; LDSByteSize: 0 bytes/workgroup (compile time only)
; SGPRBlocks: 2
; VGPRBlocks: 0
; NumSGPRsForWavesPerEU: 24
; NumVGPRsForWavesPerEU: 6
; AccumOffset: 8
; Occupancy: 8
; WaveLimiterHint : 0
; COMPUTE_PGM_RSRC2:SCRATCH_EN: 0
; COMPUTE_PGM_RSRC2:USER_SGPR: 6
; COMPUTE_PGM_RSRC2:TRAP_HANDLER: 0
; COMPUTE_PGM_RSRC2:TGID_X_EN: 1
; COMPUTE_PGM_RSRC2:TGID_Y_EN: 1
; COMPUTE_PGM_RSRC2:TGID_Z_EN: 1
; COMPUTE_PGM_RSRC2:TIDIG_COMP_CNT: 1
; COMPUTE_PGM_RSRC3_GFX90A:ACCUM_OFFSET: 1
; COMPUTE_PGM_RSRC3_GFX90A:TG_SPLIT: 0
	.section	.text._ZN9rocsolver6v33100L8addmatA1IfPfEEviiT0_iilPT_,"axG",@progbits,_ZN9rocsolver6v33100L8addmatA1IfPfEEviiT0_iilPT_,comdat
	.globl	_ZN9rocsolver6v33100L8addmatA1IfPfEEviiT0_iilPT_ ; -- Begin function _ZN9rocsolver6v33100L8addmatA1IfPfEEviiT0_iilPT_
	.p2align	8
	.type	_ZN9rocsolver6v33100L8addmatA1IfPfEEviiT0_iilPT_,@function
_ZN9rocsolver6v33100L8addmatA1IfPfEEviiT0_iilPT_: ; @_ZN9rocsolver6v33100L8addmatA1IfPfEEviiT0_iilPT_
; %bb.0:
	s_load_dword s0, s[4:5], 0x34
	s_load_dwordx2 s[10:11], s[4:5], 0x0
	v_and_b32_e32 v1, 0x3ff, v0
	v_bfe_u32 v0, v0, 10, 10
	s_waitcnt lgkmcnt(0)
	s_lshr_b32 s1, s0, 16
	s_and_b32 s0, s0, 0xffff
	s_mul_i32 s6, s6, s0
	s_mul_i32 s7, s7, s1
	v_add_u32_e32 v1, s6, v1
	v_add_u32_e32 v0, s7, v0
	v_cmp_gt_u32_e32 vcc, s10, v0
	v_cmp_gt_u32_e64 s[0:1], s11, v1
	s_and_b64 s[0:1], s[0:1], vcc
	s_and_saveexec_b64 s[2:3], s[0:1]
	s_cbranch_execz .LBB53_2
; %bb.1:
	s_ashr_i32 s9, s10, 31
	s_load_dwordx8 s[0:7], s[4:5], 0x8
	s_ashr_i32 s12, s11, 31
	s_mul_hi_u32 s13, s10, s8
	s_mul_i32 s9, s9, s8
	s_mul_i32 s14, s10, s8
	s_add_i32 s9, s13, s9
	s_mul_i32 s12, s14, s12
	s_mul_hi_u32 s13, s14, s11
	s_add_i32 s12, s13, s12
	s_mul_i32 s9, s9, s11
	s_add_i32 s13, s12, s9
	s_mul_i32 s12, s14, s11
	s_lshl_b64 s[12:13], s[12:13], 2
	s_waitcnt lgkmcnt(0)
	s_add_u32 s9, s6, s12
	s_addc_u32 s11, s7, s13
	s_ashr_i32 s7, s2, 31
	s_mov_b32 s6, s2
	s_mul_i32 s2, s8, s5
	s_mul_hi_u32 s5, s8, s4
	s_add_i32 s5, s5, s2
	s_mul_i32 s4, s8, s4
	s_lshl_b64 s[4:5], s[4:5], 2
	s_add_u32 s2, s0, s4
	s_addc_u32 s4, s1, s5
	s_lshl_b64 s[0:1], s[6:7], 2
	s_add_u32 s2, s2, s0
	s_addc_u32 s4, s4, s1
	v_mad_u64_u32 v[2:3], s[0:1], v1, s10, v[0:1]
	v_mov_b32_e32 v3, 0
	v_lshlrev_b64 v[4:5], 2, v[2:3]
	v_mad_u64_u32 v[0:1], s[0:1], v1, s3, v[0:1]
	v_mov_b32_e32 v2, s11
	v_add_co_u32_e32 v4, vcc, s9, v4
	v_mov_b32_e32 v1, v3
	v_addc_co_u32_e32 v5, vcc, v2, v5, vcc
	v_lshlrev_b64 v[0:1], 2, v[0:1]
	v_mov_b32_e32 v3, s4
	v_add_co_u32_e32 v0, vcc, s2, v0
	v_addc_co_u32_e32 v1, vcc, v3, v1, vcc
	global_load_dword v2, v[4:5], off
	global_load_dword v3, v[0:1], off
	s_waitcnt vmcnt(0)
	v_sub_f32_e32 v2, v3, v2
	global_store_dword v[0:1], v2, off
.LBB53_2:
	s_endpgm
	.section	.rodata,"a",@progbits
	.p2align	6, 0x0
	.amdhsa_kernel _ZN9rocsolver6v33100L8addmatA1IfPfEEviiT0_iilPT_
		.amdhsa_group_segment_fixed_size 0
		.amdhsa_private_segment_fixed_size 0
		.amdhsa_kernarg_size 296
		.amdhsa_user_sgpr_count 6
		.amdhsa_user_sgpr_private_segment_buffer 1
		.amdhsa_user_sgpr_dispatch_ptr 0
		.amdhsa_user_sgpr_queue_ptr 0
		.amdhsa_user_sgpr_kernarg_segment_ptr 1
		.amdhsa_user_sgpr_dispatch_id 0
		.amdhsa_user_sgpr_flat_scratch_init 0
		.amdhsa_user_sgpr_kernarg_preload_length 0
		.amdhsa_user_sgpr_kernarg_preload_offset 0
		.amdhsa_user_sgpr_private_segment_size 0
		.amdhsa_uses_dynamic_stack 0
		.amdhsa_system_sgpr_private_segment_wavefront_offset 0
		.amdhsa_system_sgpr_workgroup_id_x 1
		.amdhsa_system_sgpr_workgroup_id_y 1
		.amdhsa_system_sgpr_workgroup_id_z 1
		.amdhsa_system_sgpr_workgroup_info 0
		.amdhsa_system_vgpr_workitem_id 1
		.amdhsa_next_free_vgpr 6
		.amdhsa_next_free_sgpr 15
		.amdhsa_accum_offset 8
		.amdhsa_reserve_vcc 1
		.amdhsa_reserve_flat_scratch 0
		.amdhsa_float_round_mode_32 0
		.amdhsa_float_round_mode_16_64 0
		.amdhsa_float_denorm_mode_32 3
		.amdhsa_float_denorm_mode_16_64 3
		.amdhsa_dx10_clamp 1
		.amdhsa_ieee_mode 1
		.amdhsa_fp16_overflow 0
		.amdhsa_tg_split 0
		.amdhsa_exception_fp_ieee_invalid_op 0
		.amdhsa_exception_fp_denorm_src 0
		.amdhsa_exception_fp_ieee_div_zero 0
		.amdhsa_exception_fp_ieee_overflow 0
		.amdhsa_exception_fp_ieee_underflow 0
		.amdhsa_exception_fp_ieee_inexact 0
		.amdhsa_exception_int_div_zero 0
	.end_amdhsa_kernel
	.section	.text._ZN9rocsolver6v33100L8addmatA1IfPfEEviiT0_iilPT_,"axG",@progbits,_ZN9rocsolver6v33100L8addmatA1IfPfEEviiT0_iilPT_,comdat
.Lfunc_end53:
	.size	_ZN9rocsolver6v33100L8addmatA1IfPfEEviiT0_iilPT_, .Lfunc_end53-_ZN9rocsolver6v33100L8addmatA1IfPfEEviiT0_iilPT_
                                        ; -- End function
	.section	.AMDGPU.csdata,"",@progbits
; Kernel info:
; codeLenInByte = 308
; NumSgprs: 19
; NumVgprs: 6
; NumAgprs: 0
; TotalNumVgprs: 6
; ScratchSize: 0
; MemoryBound: 0
; FloatMode: 240
; IeeeMode: 1
; LDSByteSize: 0 bytes/workgroup (compile time only)
; SGPRBlocks: 2
; VGPRBlocks: 0
; NumSGPRsForWavesPerEU: 19
; NumVGPRsForWavesPerEU: 6
; AccumOffset: 8
; Occupancy: 8
; WaveLimiterHint : 0
; COMPUTE_PGM_RSRC2:SCRATCH_EN: 0
; COMPUTE_PGM_RSRC2:USER_SGPR: 6
; COMPUTE_PGM_RSRC2:TRAP_HANDLER: 0
; COMPUTE_PGM_RSRC2:TGID_X_EN: 1
; COMPUTE_PGM_RSRC2:TGID_Y_EN: 1
; COMPUTE_PGM_RSRC2:TGID_Z_EN: 1
; COMPUTE_PGM_RSRC2:TIDIG_COMP_CNT: 1
; COMPUTE_PGM_RSRC3_GFX90A:ACCUM_OFFSET: 1
; COMPUTE_PGM_RSRC3_GFX90A:TG_SPLIT: 0
	.section	.text._ZN9rocsolver6v33100L8copy_matIfPfS2_NS0_7no_maskEEEviiT0_iilT1_iilT2_13rocblas_fill_17rocblas_diagonal_,"axG",@progbits,_ZN9rocsolver6v33100L8copy_matIfPfS2_NS0_7no_maskEEEviiT0_iilT1_iilT2_13rocblas_fill_17rocblas_diagonal_,comdat
	.globl	_ZN9rocsolver6v33100L8copy_matIfPfS2_NS0_7no_maskEEEviiT0_iilT1_iilT2_13rocblas_fill_17rocblas_diagonal_ ; -- Begin function _ZN9rocsolver6v33100L8copy_matIfPfS2_NS0_7no_maskEEEviiT0_iilT1_iilT2_13rocblas_fill_17rocblas_diagonal_
	.p2align	8
	.type	_ZN9rocsolver6v33100L8copy_matIfPfS2_NS0_7no_maskEEEviiT0_iilT1_iilT2_13rocblas_fill_17rocblas_diagonal_,@function
_ZN9rocsolver6v33100L8copy_matIfPfS2_NS0_7no_maskEEEviiT0_iilT1_iilT2_13rocblas_fill_17rocblas_diagonal_: ; @_ZN9rocsolver6v33100L8copy_matIfPfS2_NS0_7no_maskEEEviiT0_iilT1_iilT2_13rocblas_fill_17rocblas_diagonal_
; %bb.0:
	s_load_dword s2, s[4:5], 0x54
	s_load_dwordx2 s[0:1], s[4:5], 0x0
	v_bfe_u32 v1, v0, 10, 10
	v_and_b32_e32 v0, 0x3ff, v0
	s_waitcnt lgkmcnt(0)
	s_lshr_b32 s3, s2, 16
	s_and_b32 s2, s2, 0xffff
	s_mul_i32 s7, s7, s3
	s_mul_i32 s6, s6, s2
	v_add_u32_e32 v1, s7, v1
	v_add_u32_e32 v0, s6, v0
	v_cmp_gt_u32_e32 vcc, s0, v0
	v_cmp_gt_u32_e64 s[0:1], s1, v1
	s_and_b64 s[0:1], s[0:1], vcc
	s_and_saveexec_b64 s[2:3], s[0:1]
	s_cbranch_execz .LBB54_14
; %bb.1:
	s_load_dwordx2 s[2:3], s[4:5], 0x3c
	s_waitcnt lgkmcnt(0)
	s_cmpk_lt_i32 s2, 0x7a
	s_cbranch_scc1 .LBB54_4
; %bb.2:
	s_cmpk_gt_i32 s2, 0x7a
	s_cbranch_scc0 .LBB54_5
; %bb.3:
	s_cmpk_lg_i32 s2, 0x7b
	s_mov_b64 s[6:7], -1
	s_cselect_b64 s[10:11], -1, 0
	s_cbranch_execz .LBB54_6
	s_branch .LBB54_7
.LBB54_4:
	s_mov_b64 s[10:11], 0
	s_mov_b64 s[6:7], 0
	s_cbranch_execnz .LBB54_8
	s_branch .LBB54_10
.LBB54_5:
	s_mov_b64 s[6:7], 0
	s_mov_b64 s[10:11], 0
.LBB54_6:
	v_cmp_gt_u32_e32 vcc, v0, v1
	v_cmp_le_u32_e64 s[0:1], v0, v1
	s_andn2_b64 s[6:7], s[6:7], exec
	s_and_b64 s[12:13], vcc, exec
	s_andn2_b64 s[10:11], s[10:11], exec
	s_and_b64 s[0:1], s[0:1], exec
	s_or_b64 s[6:7], s[6:7], s[12:13]
	s_or_b64 s[10:11], s[10:11], s[0:1]
.LBB54_7:
	s_branch .LBB54_10
.LBB54_8:
	s_cmpk_eq_i32 s2, 0x79
	s_mov_b64 s[10:11], -1
	s_cbranch_scc0 .LBB54_10
; %bb.9:
	v_cmp_gt_u32_e32 vcc, v1, v0
	v_cmp_le_u32_e64 s[0:1], v1, v0
	s_andn2_b64 s[6:7], s[6:7], exec
	s_and_b64 s[10:11], vcc, exec
	s_or_b64 s[6:7], s[6:7], s[10:11]
	s_orn2_b64 s[10:11], s[0:1], exec
.LBB54_10:
	s_and_saveexec_b64 s[0:1], s[10:11]
; %bb.11:
	s_cmpk_eq_i32 s3, 0x83
	s_cselect_b64 s[2:3], -1, 0
	v_cmp_eq_u32_e32 vcc, v0, v1
	s_and_b64 s[2:3], s[2:3], vcc
	s_andn2_b64 s[6:7], s[6:7], exec
	s_and_b64 s[2:3], s[2:3], exec
	s_or_b64 s[6:7], s[6:7], s[2:3]
; %bb.12:
	s_or_b64 exec, exec, s[0:1]
	s_and_b64 exec, exec, s[6:7]
	s_cbranch_execz .LBB54_14
; %bb.13:
	s_load_dwordx8 s[12:19], s[4:5], 0x8
	s_waitcnt lgkmcnt(0)
	s_mul_i32 s3, s8, s17
	s_mul_hi_u32 s6, s8, s16
	s_mul_i32 s2, s8, s16
	s_add_i32 s3, s6, s3
	s_ashr_i32 s1, s14, 31
	s_lshl_b64 s[2:3], s[2:3], 2
	s_mov_b32 s0, s14
	s_add_u32 s2, s12, s2
	s_addc_u32 s3, s13, s3
	s_lshl_b64 s[0:1], s[0:1], 2
	s_add_u32 s2, s2, s0
	s_addc_u32 s3, s3, s1
	v_mad_u64_u32 v[2:3], s[0:1], v1, s15, v[0:1]
	v_mov_b32_e32 v3, 0
	v_lshlrev_b64 v[4:5], 2, v[2:3]
	v_mov_b32_e32 v2, s3
	v_add_co_u32_e32 v4, vcc, s2, v4
	v_addc_co_u32_e32 v5, vcc, v2, v5, vcc
	global_load_dword v2, v[4:5], off
	s_load_dwordx4 s[0:3], s[4:5], 0x28
	s_waitcnt lgkmcnt(0)
	s_ashr_i32 s5, s0, 31
	s_mov_b32 s4, s0
	s_mul_i32 s0, s8, s3
	s_mul_hi_u32 s3, s8, s2
	s_add_i32 s3, s3, s0
	s_mul_i32 s2, s8, s2
	s_lshl_b64 s[2:3], s[2:3], 2
	s_add_u32 s0, s18, s2
	s_addc_u32 s6, s19, s3
	s_lshl_b64 s[2:3], s[4:5], 2
	s_add_u32 s2, s0, s2
	v_mad_u64_u32 v[0:1], s[0:1], v1, s1, v[0:1]
	v_mov_b32_e32 v1, v3
	s_addc_u32 s3, s6, s3
	v_lshlrev_b64 v[0:1], 2, v[0:1]
	v_mov_b32_e32 v3, s3
	v_add_co_u32_e32 v0, vcc, s2, v0
	v_addc_co_u32_e32 v1, vcc, v3, v1, vcc
	s_waitcnt vmcnt(0)
	global_store_dword v[0:1], v2, off
.LBB54_14:
	s_endpgm
	.section	.rodata,"a",@progbits
	.p2align	6, 0x0
	.amdhsa_kernel _ZN9rocsolver6v33100L8copy_matIfPfS2_NS0_7no_maskEEEviiT0_iilT1_iilT2_13rocblas_fill_17rocblas_diagonal_
		.amdhsa_group_segment_fixed_size 0
		.amdhsa_private_segment_fixed_size 0
		.amdhsa_kernarg_size 328
		.amdhsa_user_sgpr_count 6
		.amdhsa_user_sgpr_private_segment_buffer 1
		.amdhsa_user_sgpr_dispatch_ptr 0
		.amdhsa_user_sgpr_queue_ptr 0
		.amdhsa_user_sgpr_kernarg_segment_ptr 1
		.amdhsa_user_sgpr_dispatch_id 0
		.amdhsa_user_sgpr_flat_scratch_init 0
		.amdhsa_user_sgpr_kernarg_preload_length 0
		.amdhsa_user_sgpr_kernarg_preload_offset 0
		.amdhsa_user_sgpr_private_segment_size 0
		.amdhsa_uses_dynamic_stack 0
		.amdhsa_system_sgpr_private_segment_wavefront_offset 0
		.amdhsa_system_sgpr_workgroup_id_x 1
		.amdhsa_system_sgpr_workgroup_id_y 1
		.amdhsa_system_sgpr_workgroup_id_z 1
		.amdhsa_system_sgpr_workgroup_info 0
		.amdhsa_system_vgpr_workitem_id 1
		.amdhsa_next_free_vgpr 6
		.amdhsa_next_free_sgpr 20
		.amdhsa_accum_offset 8
		.amdhsa_reserve_vcc 1
		.amdhsa_reserve_flat_scratch 0
		.amdhsa_float_round_mode_32 0
		.amdhsa_float_round_mode_16_64 0
		.amdhsa_float_denorm_mode_32 3
		.amdhsa_float_denorm_mode_16_64 3
		.amdhsa_dx10_clamp 1
		.amdhsa_ieee_mode 1
		.amdhsa_fp16_overflow 0
		.amdhsa_tg_split 0
		.amdhsa_exception_fp_ieee_invalid_op 0
		.amdhsa_exception_fp_denorm_src 0
		.amdhsa_exception_fp_ieee_div_zero 0
		.amdhsa_exception_fp_ieee_overflow 0
		.amdhsa_exception_fp_ieee_underflow 0
		.amdhsa_exception_fp_ieee_inexact 0
		.amdhsa_exception_int_div_zero 0
	.end_amdhsa_kernel
	.section	.text._ZN9rocsolver6v33100L8copy_matIfPfS2_NS0_7no_maskEEEviiT0_iilT1_iilT2_13rocblas_fill_17rocblas_diagonal_,"axG",@progbits,_ZN9rocsolver6v33100L8copy_matIfPfS2_NS0_7no_maskEEEviiT0_iilT1_iilT2_13rocblas_fill_17rocblas_diagonal_,comdat
.Lfunc_end54:
	.size	_ZN9rocsolver6v33100L8copy_matIfPfS2_NS0_7no_maskEEEviiT0_iilT1_iilT2_13rocblas_fill_17rocblas_diagonal_, .Lfunc_end54-_ZN9rocsolver6v33100L8copy_matIfPfS2_NS0_7no_maskEEEviiT0_iilT1_iilT2_13rocblas_fill_17rocblas_diagonal_
                                        ; -- End function
	.section	.AMDGPU.csdata,"",@progbits
; Kernel info:
; codeLenInByte = 492
; NumSgprs: 24
; NumVgprs: 6
; NumAgprs: 0
; TotalNumVgprs: 6
; ScratchSize: 0
; MemoryBound: 0
; FloatMode: 240
; IeeeMode: 1
; LDSByteSize: 0 bytes/workgroup (compile time only)
; SGPRBlocks: 2
; VGPRBlocks: 0
; NumSGPRsForWavesPerEU: 24
; NumVGPRsForWavesPerEU: 6
; AccumOffset: 8
; Occupancy: 8
; WaveLimiterHint : 0
; COMPUTE_PGM_RSRC2:SCRATCH_EN: 0
; COMPUTE_PGM_RSRC2:USER_SGPR: 6
; COMPUTE_PGM_RSRC2:TRAP_HANDLER: 0
; COMPUTE_PGM_RSRC2:TGID_X_EN: 1
; COMPUTE_PGM_RSRC2:TGID_Y_EN: 1
; COMPUTE_PGM_RSRC2:TGID_Z_EN: 1
; COMPUTE_PGM_RSRC2:TIDIG_COMP_CNT: 1
; COMPUTE_PGM_RSRC3_GFX90A:ACCUM_OFFSET: 1
; COMPUTE_PGM_RSRC3_GFX90A:TG_SPLIT: 0
	.section	.text._ZN9rocsolver6v33100L18geqr2_kernel_smallILi256EfifPfEEvT1_S3_T3_lS3_lPT2_lPT0_l,"axG",@progbits,_ZN9rocsolver6v33100L18geqr2_kernel_smallILi256EfifPfEEvT1_S3_T3_lS3_lPT2_lPT0_l,comdat
	.globl	_ZN9rocsolver6v33100L18geqr2_kernel_smallILi256EfifPfEEvT1_S3_T3_lS3_lPT2_lPT0_l ; -- Begin function _ZN9rocsolver6v33100L18geqr2_kernel_smallILi256EfifPfEEvT1_S3_T3_lS3_lPT2_lPT0_l
	.p2align	8
	.type	_ZN9rocsolver6v33100L18geqr2_kernel_smallILi256EfifPfEEvT1_S3_T3_lS3_lPT2_lPT0_l,@function
_ZN9rocsolver6v33100L18geqr2_kernel_smallILi256EfifPfEEvT1_S3_T3_lS3_lPT2_lPT0_l: ; @_ZN9rocsolver6v33100L18geqr2_kernel_smallILi256EfifPfEEvT1_S3_T3_lS3_lPT2_lPT0_l
; %bb.0:
	s_load_dwordx8 s[12:19], s[4:5], 0x20
	s_load_dwordx2 s[20:21], s[4:5], 0x0
	s_load_dwordx4 s[0:3], s[4:5], 0x8
	s_load_dword s33, s[4:5], 0x18
	s_load_dwordx2 s[22:23], s[4:5], 0x40
	s_ashr_i32 s6, s7, 31
	s_waitcnt lgkmcnt(0)
	s_mul_i32 s4, s7, s13
	s_mul_hi_u32 s5, s7, s12
	s_add_i32 s4, s5, s4
	s_mul_i32 s5, s6, s12
	s_add_i32 s5, s4, s5
	s_mul_i32 s4, s7, s12
	s_lshl_b64 s[4:5], s[4:5], 2
	s_add_u32 s4, s0, s4
	s_addc_u32 s5, s1, s5
	s_lshl_b64 s[0:1], s[2:3], 2
	s_add_u32 s40, s4, s0
	v_and_b32_e32 v2, 0x7f, v0
	s_addc_u32 s41, s5, s1
	v_cmp_gt_i32_e64 s[0:1], s20, v2
	v_lshrrev_b32_e32 v4, 7, v0
	v_lshl_add_u32 v6, v2, 2, 0
	s_and_saveexec_b64 s[24:25], s[0:1]
	s_cbranch_execz .LBB55_15
; %bb.1:
	s_lshl_b32 s42, s33, 1
	s_sub_i32 s10, 0, s42
	s_cmp_lt_i32 s42, 0
	v_lshrrev_b32_e32 v8, 7, v0
	s_cselect_b64 s[4:5], -1, 0
	v_xad_u32 v5, v8, -1, s21
	s_and_b64 s[8:9], s[4:5], exec
	v_lshrrev_b32_e32 v7, 1, v5
	s_cselect_b32 s8, s10, s42
	v_add_u32_e32 v10, 1, v7
	v_cmp_gt_u32_e64 s[26:27], 26, v5
	v_cmp_lt_u32_e64 s[2:3], 25, v5
	v_mul_lo_u32 v5, s8, v7
	v_mul_hi_u32 v7, s8, v7
	v_cmp_ne_u32_e64 s[10:11], 0, v7
	v_and_b32_e32 v7, -2, v10
	v_mul_lo_u32 v1, v8, s33
	v_lshl_or_b32 v11, v7, 1, v8
	v_cmp_gt_i32_e32 vcc, s21, v8
	s_mov_b32 s43, 0
	v_add_u32_e32 v3, v1, v2
	v_or_b32_e32 v9, 2, v8
	s_mov_b32 s44, s33
	s_mov_b32 s45, s20
	s_mov_b32 s46, s20
	v_cmp_ne_u32_e64 s[8:9], v10, v7
	v_lshl_add_u32 v10, v2, 2, 0
	s_lshl_b32 s47, s20, 2
	s_lshl_b32 s48, s20, 3
	s_mov_b64 s[28:29], 0
	v_mul_lo_u32 v18, s33, v11
	v_mov_b32_e32 v12, v2
	s_branch .LBB55_3
.LBB55_2:                               ;   in Loop: Header=BB55_3 Depth=1
	s_or_b64 exec, exec, s[30:31]
	v_add_u32_e32 v12, 0x80, v12
	s_add_i32 s43, s43, 1
	v_cmp_le_i32_e64 s[12:13], s20, v12
	s_or_b64 s[28:29], s[12:13], s[28:29]
	v_add_u32_e32 v10, 0x200, v10
	s_andn2_b64 exec, exec, s[28:29]
	s_cbranch_execz .LBB55_15
.LBB55_3:                               ; =>This Loop Header: Depth=1
                                        ;     Child Loop BB55_7 Depth 2
                                        ;     Child Loop BB55_14 Depth 2
	s_and_saveexec_b64 s[30:31], vcc
	s_cbranch_execz .LBB55_2
; %bb.4:                                ;   in Loop: Header=BB55_3 Depth=1
	s_mov_b64 s[12:13], s[26:27]
	v_mov_b32_e32 v13, v8
	v_mov_b32_e32 v16, v1
	s_and_saveexec_b64 s[34:35], s[2:3]
	s_cbranch_execz .LBB55_12
; %bb.5:                                ;   in Loop: Header=BB55_3 Depth=1
	v_lshl_add_u32 v13, s43, 7, v3
	v_sub_u32_e32 v15, v13, v5
	v_add_u32_e32 v14, v13, v5
	v_cmp_gt_i32_e64 s[12:13], v15, v13
	v_cndmask_b32_e64 v15, 0, 1, s[12:13]
	v_cmp_lt_i32_e64 s[12:13], v14, v13
	v_cndmask_b32_e64 v13, 0, 1, s[12:13]
	v_cndmask_b32_e64 v13, v13, v15, s[4:5]
	v_and_b32_e32 v13, 1, v13
	v_cmp_eq_u32_e64 s[12:13], 1, v13
	s_or_b64 s[36:37], s[12:13], s[10:11]
	s_mov_b64 s[12:13], -1
	s_xor_b64 s[38:39], s[36:37], -1
	v_mov_b32_e32 v13, v8
	v_mov_b32_e32 v16, v1
	s_and_saveexec_b64 s[36:37], s[38:39]
	s_cbranch_execz .LBB55_11
; %bb.6:                                ;   in Loop: Header=BB55_3 Depth=1
	v_lshl_add_u32 v16, v12, 2, 0
	v_mov_b32_e32 v13, v12
	s_mov_b64 s[38:39], 0
	v_mov_b32_e32 v17, v7
	v_pk_mov_b32 v[14:15], v[8:9], v[8:9] op_sel:[0,1]
.LBB55_7:                               ;   Parent Loop BB55_3 Depth=1
                                        ; =>  This Inner Loop Header: Depth=2
	v_mad_u64_u32 v[20:21], s[12:13], v14, s33, v[12:13]
	v_mov_b32_e32 v22, v13
	v_ashrrev_i32_e32 v21, 31, v20
	v_mad_u64_u32 v[22:23], s[12:13], v15, s44, v[22:23]
	v_lshlrev_b64 v[20:21], 2, v[20:21]
	v_mov_b32_e32 v19, s41
	v_ashrrev_i32_e32 v23, 31, v22
	v_add_co_u32_e64 v20, s[12:13], s40, v20
	v_addc_co_u32_e64 v21, s[12:13], v19, v21, s[12:13]
	v_lshlrev_b64 v[22:23], 2, v[22:23]
	v_mov_b32_e32 v24, s41
	v_add_co_u32_e64 v22, s[12:13], s40, v22
	v_addc_co_u32_e64 v23, s[12:13], v24, v23, s[12:13]
	global_load_dword v19, v[20:21], off
	s_nop 0
	global_load_dword v20, v[22:23], off
	v_add_u32_e32 v17, -2, v17
	v_mul_lo_u32 v22, v14, s45
	v_cmp_eq_u32_e64 s[12:13], 0, v17
	v_mul_lo_u32 v21, v15, s46
	v_add_u32_e32 v14, 4, v14
	v_lshl_add_u32 v22, v22, 2, v16
	v_add_u32_e32 v15, 4, v15
	s_or_b64 s[38:39], s[12:13], s[38:39]
	v_lshl_add_u32 v21, v21, 2, v16
	s_waitcnt vmcnt(1)
	ds_write_b32 v22, v19
	s_waitcnt vmcnt(0)
	ds_write_b32 v21, v20
	s_andn2_b64 exec, exec, s[38:39]
	s_cbranch_execnz .LBB55_7
; %bb.8:                                ;   in Loop: Header=BB55_3 Depth=1
	s_or_b64 exec, exec, s[38:39]
	s_mov_b64 s[12:13], 0
	s_and_saveexec_b64 s[38:39], s[8:9]
	s_xor_b64 s[38:39], exec, s[38:39]
; %bb.9:                                ;   in Loop: Header=BB55_3 Depth=1
	s_mov_b64 s[12:13], exec
; %bb.10:                               ;   in Loop: Header=BB55_3 Depth=1
	s_or_b64 exec, exec, s[38:39]
	s_orn2_b64 s[12:13], s[12:13], exec
	v_mov_b32_e32 v13, v11
	v_mov_b32_e32 v16, v18
.LBB55_11:                              ;   in Loop: Header=BB55_3 Depth=1
	s_or_b64 exec, exec, s[36:37]
	s_andn2_b64 s[36:37], s[26:27], exec
	s_and_b64 s[12:13], s[12:13], exec
	s_or_b64 s[12:13], s[36:37], s[12:13]
.LBB55_12:                              ;   in Loop: Header=BB55_3 Depth=1
	s_or_b64 exec, exec, s[34:35]
	s_and_b64 exec, exec, s[12:13]
	s_cbranch_execz .LBB55_2
; %bb.13:                               ;   in Loop: Header=BB55_3 Depth=1
	v_mad_u64_u32 v[14:15], s[12:13], s47, v13, v[10:11]
	v_add_u32_e32 v16, v12, v16
	s_mov_b64 s[34:35], 0
.LBB55_14:                              ;   Parent Loop BB55_3 Depth=1
                                        ; =>  This Inner Loop Header: Depth=2
	v_ashrrev_i32_e32 v17, 31, v16
	v_lshlrev_b64 v[20:21], 2, v[16:17]
	v_mov_b32_e32 v15, s41
	v_add_co_u32_e64 v20, s[12:13], s40, v20
	v_addc_co_u32_e64 v21, s[12:13], v15, v21, s[12:13]
	global_load_dword v15, v[20:21], off
	v_add_u32_e32 v13, 2, v13
	v_cmp_le_i32_e64 s[12:13], s21, v13
	v_add_u32_e32 v16, s42, v16
	s_or_b64 s[34:35], s[12:13], s[34:35]
	s_waitcnt vmcnt(0)
	ds_write_b32 v14, v15
	v_add_u32_e32 v14, s48, v14
	s_andn2_b64 exec, exec, s[34:35]
	s_cbranch_execnz .LBB55_14
	s_branch .LBB55_2
.LBB55_15:
	s_or_b64 exec, exec, s[24:25]
	s_min_i32 s24, s21, s20
	s_cmp_lt_i32 s24, 1
	s_waitcnt lgkmcnt(0)
	s_barrier
	s_cbranch_scc1 .LBB55_53
; %bb.16:
	s_mul_i32 s2, s7, s17
	s_mul_hi_u32 s3, s7, s16
	s_add_i32 s2, s3, s2
	s_mul_i32 s3, s6, s16
	s_add_i32 s3, s2, s3
	s_mul_i32 s2, s7, s16
	s_lshl_b64 s[2:3], s[2:3], 2
	s_add_u32 s25, s14, s2
	v_mbcnt_lo_u32_b32 v1, -1, 0
	s_addc_u32 s26, s15, s3
	s_mul_i32 s2, s7, s23
	s_mul_hi_u32 s3, s7, s22
	v_mbcnt_hi_u32_b32 v9, -1, v1
	s_add_i32 s2, s3, s2
	s_mul_i32 s3, s6, s22
	v_and_b32_e32 v10, 63, v9
	s_add_i32 s3, s2, s3
	s_mul_i32 s2, s7, s22
	v_cmp_ne_u32_e32 vcc, 63, v10
	s_lshl_b64 s[2:3], s[2:3], 2
	v_addc_co_u32_e32 v1, vcc, 0, v9, vcc
	s_add_u32 s27, s18, s2
	s_mul_i32 s2, s21, s20
	v_cmp_gt_u32_e32 vcc, 62, v10
	s_addc_u32 s28, s19, s3
	s_lshl_b32 s2, s2, 2
	v_cndmask_b32_e64 v3, 0, 1, vcc
	v_cmp_gt_u32_e32 vcc, 60, v10
	s_add_i32 s29, s2, 0
	s_lshl_b32 s2, s21, 2
	v_cndmask_b32_e64 v5, 0, 1, vcc
	v_cmp_gt_u32_e32 vcc, 56, v10
	s_add_i32 s30, s29, s2
	v_cndmask_b32_e64 v7, 0, 1, vcc
	v_cmp_gt_u32_e32 vcc, 48, v10
	v_cndmask_b32_e64 v8, 0, 1, vcc
	v_cmp_gt_u32_e32 vcc, 32, v10
	s_cmp_eq_u64 s[14:15], 0
	v_cndmask_b32_e64 v10, 0, 1, vcc
	s_cselect_b64 s[12:13], -1, 0
	s_cmp_lg_u64 s[14:15], 0
	v_lshlrev_b32_e32 v3, 1, v3
	v_lshlrev_b32_e32 v5, 2, v5
	;; [unrolled: 1-line block ×5, first 2 shown]
	s_cselect_b64 s[14:15], -1, 0
	s_lshl_b32 s31, s20, 2
	v_mul_lo_u32 v11, s20, v0
	s_mov_b32 s11, 0
	v_add_lshl_u32 v3, v3, v9, 2
	v_add_lshl_u32 v5, v5, v9, 2
	;; [unrolled: 1-line block ×5, first 2 shown]
	v_and_b32_e32 v10, 63, v0
	v_lshrrev_b32_e32 v13, 4, v0
	v_lshlrev_b32_e32 v12, 2, v0
	v_add_u32_e32 v11, s20, v11
	s_add_i32 s6, s31, 0
	v_lshlrev_b32_e32 v1, 2, v1
	v_cmp_eq_u32_e64 s[2:3], 0, v10
	v_cmp_eq_u32_e64 s[4:5], 0, v0
	v_add3_u32 v10, v12, 0, 4
	s_add_i32 s34, s31, 4
	v_lshl_add_u32 v11, v11, 2, 0
	s_lshl_b32 s35, s20, 10
	v_add_u32_e32 v12, s6, v12
	v_add_u32_e32 v13, s30, v13
	v_mov_b32_e32 v14, 0
	s_mov_b32 s36, 0xf800000
	v_mov_b32_e32 v15, 0x260
	s_mov_b32 s37, 0
	s_mov_b32 s10, s11
	s_branch .LBB55_18
.LBB55_17:                              ;   in Loop: Header=BB55_18 Depth=1
	s_or_b64 exec, exec, s[6:7]
	s_add_i32 s10, s10, 1
	s_add_i32 s37, s37, s34
	v_add_u32_e32 v10, s34, v10
	v_add_u32_e32 v11, s34, v11
	s_cmp_eq_u32 s10, s24
	v_add_u32_e32 v12, s34, v12
	s_waitcnt lgkmcnt(0)
	s_barrier
	s_cbranch_scc1 .LBB55_53
.LBB55_18:                              ; =>This Loop Header: Depth=1
                                        ;     Child Loop BB55_20 Depth 2
                                        ;     Child Loop BB55_34 Depth 2
	;; [unrolled: 1-line block ×3, first 2 shown]
                                        ;       Child Loop BB55_41 Depth 3
                                        ;     Child Loop BB55_45 Depth 2
                                        ;       Child Loop BB55_47 Depth 3
	s_sub_i32 s38, s20, s10
	s_add_i32 s42, s38, -1
	v_cmp_gt_i32_e64 s[6:7], s42, v0
	v_mov_b32_e32 v16, 0
	s_and_saveexec_b64 s[8:9], s[6:7]
	s_cbranch_execz .LBB55_22
; %bb.19:                               ;   in Loop: Header=BB55_18 Depth=1
	s_mov_b64 s[16:17], 0
	v_mov_b32_e32 v16, 0
	v_mov_b32_e32 v17, v10
	;; [unrolled: 1-line block ×3, first 2 shown]
.LBB55_20:                              ;   Parent Loop BB55_18 Depth=1
                                        ; =>  This Inner Loop Header: Depth=2
	ds_read_b32 v19, v17
	v_add_u32_e32 v18, 0x100, v18
	v_cmp_le_i32_e32 vcc, s42, v18
	v_add_u32_e32 v17, 0x400, v17
	s_or_b64 s[16:17], vcc, s[16:17]
	s_waitcnt lgkmcnt(0)
	v_mul_f32_e32 v19, v19, v19
	v_add_f32_e32 v16, v16, v19
	s_andn2_b64 exec, exec, s[16:17]
	s_cbranch_execnz .LBB55_20
; %bb.21:                               ;   in Loop: Header=BB55_18 Depth=1
	s_or_b64 exec, exec, s[16:17]
.LBB55_22:                              ;   in Loop: Header=BB55_18 Depth=1
	s_or_b64 exec, exec, s[8:9]
	ds_bpermute_b32 v17, v1, v16
	s_waitcnt lgkmcnt(0)
	v_add_f32_e32 v16, v16, v17
	ds_bpermute_b32 v17, v3, v16
	s_waitcnt lgkmcnt(0)
	v_add_f32_e32 v16, v16, v17
	ds_bpermute_b32 v17, v5, v16
	s_waitcnt lgkmcnt(0)
	v_add_f32_e32 v16, v16, v17
	ds_bpermute_b32 v17, v7, v16
	s_waitcnt lgkmcnt(0)
	v_add_f32_e32 v16, v16, v17
	ds_bpermute_b32 v17, v8, v16
	s_waitcnt lgkmcnt(0)
	v_add_f32_e32 v16, v16, v17
	ds_bpermute_b32 v17, v9, v16
	s_waitcnt lgkmcnt(0)
	v_add_f32_e32 v16, v16, v17
	s_and_saveexec_b64 s[8:9], s[2:3]
	s_cbranch_execz .LBB55_24
; %bb.23:                               ;   in Loop: Header=BB55_18 Depth=1
	ds_write_b32 v13, v16 offset:4
.LBB55_24:                              ;   in Loop: Header=BB55_18 Depth=1
	s_or_b64 exec, exec, s[8:9]
	s_lshl_b32 s8, s10, 2
	s_add_i32 s39, s8, 0
	s_mul_i32 s8, s10, s20
	s_lshl_b32 s8, s8, 2
	s_add_i32 s39, s39, s8
	s_waitcnt lgkmcnt(0)
	s_barrier
	s_and_saveexec_b64 s[16:17], s[4:5]
	s_cbranch_execz .LBB55_32
; %bb.25:                               ;   in Loop: Header=BB55_18 Depth=1
	v_mov_b32_e32 v17, s30
	ds_read2_b32 v[18:19], v17 offset0:2 offset1:3
	ds_read_b32 v17, v17 offset:16
	s_mov_b64 s[8:9], 0
	s_mov_b64 s[18:19], 0
                                        ; implicit-def: $sgpr43
                                        ; implicit-def: $sgpr44
                                        ; implicit-def: $sgpr45
	s_waitcnt lgkmcnt(1)
	v_add_f32_e32 v16, v16, v18
	v_add_f32_e32 v16, v16, v19
	s_waitcnt lgkmcnt(0)
	v_add_f32_e32 v18, v16, v17
	v_cmp_nlt_f32_e32 vcc, 0, v18
                                        ; implicit-def: $vgpr16
	s_and_saveexec_b64 s[22:23], vcc
	s_xor_b64 s[22:23], exec, s[22:23]
	s_cbranch_execnz .LBB55_48
; %bb.26:                               ;   in Loop: Header=BB55_18 Depth=1
	s_or_saveexec_b64 s[22:23], s[22:23]
	v_mov_b32_e32 v17, s45
	s_xor_b64 exec, exec, s[22:23]
	s_cbranch_execnz .LBB55_52
.LBB55_27:                              ;   in Loop: Header=BB55_18 Depth=1
	s_or_b64 exec, exec, s[22:23]
	s_and_saveexec_b64 s[22:23], s[18:19]
	s_cbranch_execz .LBB55_29
.LBB55_28:                              ;   in Loop: Header=BB55_18 Depth=1
	s_lshl_b64 s[18:19], s[10:11], 2
	s_add_u32 s18, s25, s18
	s_addc_u32 s19, s26, s19
	s_waitcnt lgkmcnt(0)
	global_store_dword v14, v16, s[18:19]
	v_mov_b32_e32 v16, 1.0
	s_or_b64 s[8:9], s[8:9], exec
.LBB55_29:                              ;   in Loop: Header=BB55_18 Depth=1
	s_or_b64 exec, exec, s[22:23]
	v_mov_b32_e32 v18, s44
	v_mov_b32_e32 v19, s43
	s_and_saveexec_b64 s[18:19], s[8:9]
	s_cbranch_execz .LBB55_31
; %bb.30:                               ;   in Loop: Header=BB55_18 Depth=1
	v_mov_b32_e32 v18, s39
	s_waitcnt lgkmcnt(0)
	ds_write_b32 v18, v16
	v_mov_b32_e32 v16, s30
	ds_read_b32 v18, v16
	v_mov_b32_e32 v19, v17
.LBB55_31:                              ;   in Loop: Header=BB55_18 Depth=1
	s_or_b64 exec, exec, s[18:19]
	s_lshl_b64 s[8:9], s[10:11], 2
	s_add_u32 s8, s27, s8
	s_addc_u32 s9, s28, s9
	s_waitcnt lgkmcnt(0)
	v_mov_b32_e32 v16, s30
	global_store_dword v14, v18, s[8:9]
	ds_write_b32 v16, v19 offset:4
.LBB55_32:                              ;   in Loop: Header=BB55_18 Depth=1
	s_or_b64 exec, exec, s[16:17]
	s_waitcnt lgkmcnt(0)
	s_barrier
	s_and_saveexec_b64 s[8:9], s[6:7]
	s_cbranch_execz .LBB55_35
; %bb.33:                               ;   in Loop: Header=BB55_18 Depth=1
	s_mov_b32 s16, 0
	s_mov_b64 s[6:7], 0
	v_mov_b32_e32 v16, v0
.LBB55_34:                              ;   Parent Loop BB55_18 Depth=1
                                        ; =>  This Inner Loop Header: Depth=2
	v_mov_b32_e32 v17, s30
	v_add_u32_e32 v18, s16, v10
	ds_read_b32 v17, v17 offset:4
	ds_read_b32 v19, v18
	v_add_u32_e32 v16, 0x100, v16
	s_addk_i32 s16, 0x400
	v_cmp_le_i32_e32 vcc, s42, v16
	s_or_b64 s[6:7], vcc, s[6:7]
	s_waitcnt lgkmcnt(0)
	v_mul_f32_e32 v17, v17, v19
	ds_write_b32 v18, v17
	s_andn2_b64 exec, exec, s[6:7]
	s_cbranch_execnz .LBB55_34
.LBB55_35:                              ;   in Loop: Header=BB55_18 Depth=1
	s_or_b64 exec, exec, s[8:9]
	s_not_b32 s18, s10
	s_add_i32 s18, s18, s21
	v_cmp_gt_i32_e32 vcc, s18, v0
	s_waitcnt lgkmcnt(0)
	s_barrier
	s_and_saveexec_b64 s[6:7], vcc
	s_cbranch_execz .LBB55_42
; %bb.36:                               ;   in Loop: Header=BB55_18 Depth=1
	s_cmp_gt_i32 s38, 0
	s_mov_b64 s[8:9], 0
	s_cselect_b64 s[16:17], -1, 0
	v_mov_b32_e32 v16, v11
	v_mov_b32_e32 v17, v0
	s_branch .LBB55_39
.LBB55_37:                              ;   in Loop: Header=BB55_39 Depth=2
	v_mov_b32_e32 v18, 0
.LBB55_38:                              ;   in Loop: Header=BB55_39 Depth=2
	v_mov_b32_e32 v19, s30
	ds_read_b32 v19, v19
	v_lshl_add_u32 v20, v17, 2, s29
	v_add_u32_e32 v17, 0x100, v17
	v_cmp_le_i32_e32 vcc, s18, v17
	s_or_b64 s[8:9], vcc, s[8:9]
	s_waitcnt lgkmcnt(0)
	v_mul_f32_e32 v18, v18, v19
	v_add_u32_e32 v16, s35, v16
	ds_write_b32 v20, v18
	s_andn2_b64 exec, exec, s[8:9]
	s_cbranch_execz .LBB55_42
.LBB55_39:                              ;   Parent Loop BB55_18 Depth=1
                                        ; =>  This Loop Header: Depth=2
                                        ;       Child Loop BB55_41 Depth 3
	s_andn2_b64 vcc, exec, s[16:17]
	s_cbranch_vccnz .LBB55_37
; %bb.40:                               ;   in Loop: Header=BB55_39 Depth=2
	s_mov_b32 s19, 0
	v_mov_b32_e32 v18, 0
	s_mov_b32 s22, s37
	v_mov_b32_e32 v19, v16
.LBB55_41:                              ;   Parent Loop BB55_18 Depth=1
                                        ;     Parent Loop BB55_39 Depth=2
                                        ; =>    This Inner Loop Header: Depth=3
	v_mov_b32_e32 v21, s22
	ds_read_b32 v20, v19
	ds_read_b32 v21, v21
	s_add_i32 s19, s19, 1
	s_add_i32 s22, s22, 4
	v_add_u32_e32 v19, 4, v19
	s_cmp_ge_i32 s19, s38
	s_waitcnt lgkmcnt(0)
	v_fmac_f32_e32 v18, v20, v21
	s_cbranch_scc0 .LBB55_41
	s_branch .LBB55_38
.LBB55_42:                              ;   in Loop: Header=BB55_18 Depth=1
	s_or_b64 exec, exec, s[6:7]
	v_cmp_gt_i32_e32 vcc, s38, v0
	s_waitcnt lgkmcnt(0)
	s_barrier
	s_and_saveexec_b64 s[6:7], vcc
	s_cbranch_execz .LBB55_17
; %bb.43:                               ;   in Loop: Header=BB55_18 Depth=1
	s_cmp_gt_i32 s18, 0
	s_mov_b64 s[8:9], 0
	s_cselect_b64 s[16:17], -1, 0
	v_mov_b32_e32 v16, v12
	v_mov_b32_e32 v17, v0
	s_branch .LBB55_45
.LBB55_44:                              ;   in Loop: Header=BB55_45 Depth=2
	v_add_u32_e32 v17, 0x100, v17
	v_cmp_le_i32_e32 vcc, s38, v17
	s_or_b64 s[8:9], vcc, s[8:9]
	v_add_u32_e32 v16, 0x400, v16
	s_andn2_b64 exec, exec, s[8:9]
	s_cbranch_execz .LBB55_17
.LBB55_45:                              ;   Parent Loop BB55_18 Depth=1
                                        ; =>  This Loop Header: Depth=2
                                        ;       Child Loop BB55_47 Depth 3
	s_andn2_b64 vcc, exec, s[16:17]
	s_cbranch_vccnz .LBB55_44
; %bb.46:                               ;   in Loop: Header=BB55_45 Depth=2
	v_lshl_add_u32 v18, v17, 2, s39
	s_mov_b32 s19, 0
	s_mov_b32 s22, s29
	v_mov_b32_e32 v19, v16
.LBB55_47:                              ;   Parent Loop BB55_18 Depth=1
                                        ;     Parent Loop BB55_45 Depth=2
                                        ; =>    This Inner Loop Header: Depth=3
	v_mov_b32_e32 v22, s22
	ds_read_b32 v20, v19
	ds_read_b32 v21, v18
	;; [unrolled: 1-line block ×3, first 2 shown]
	s_add_i32 s19, s19, 1
	s_add_i32 s22, s22, 4
	s_cmp_ge_i32 s19, s18
	s_waitcnt lgkmcnt(0)
	v_fma_f32 v20, -v21, v22, v20
	ds_write_b32 v19, v20
	v_add_u32_e32 v19, s31, v19
	s_cbranch_scc0 .LBB55_47
	s_branch .LBB55_44
.LBB55_48:                              ;   in Loop: Header=BB55_18 Depth=1
	v_mov_b32_e32 v16, s30
	s_and_b64 vcc, exec, s[14:15]
	ds_write_b32 v16, v14
	s_cbranch_vccz .LBB55_50
; %bb.49:                               ;   in Loop: Header=BB55_18 Depth=1
	v_mov_b32_e32 v16, s39
	ds_read_b32 v16, v16
	s_mov_b64 s[18:19], -1
	s_mov_b32 s45, 1.0
	s_branch .LBB55_51
.LBB55_50:                              ;   in Loop: Header=BB55_18 Depth=1
                                        ; implicit-def: $vgpr16
                                        ; implicit-def: $sgpr45
.LBB55_51:                              ;   in Loop: Header=BB55_18 Depth=1
	s_mov_b32 s44, 0
	s_mov_b32 s43, 1.0
	s_and_b64 s[18:19], s[18:19], exec
                                        ; implicit-def: $vgpr18
	s_or_saveexec_b64 s[22:23], s[22:23]
	v_mov_b32_e32 v17, s45
	s_xor_b64 exec, exec, s[22:23]
	s_cbranch_execz .LBB55_27
.LBB55_52:                              ;   in Loop: Header=BB55_18 Depth=1
	s_waitcnt lgkmcnt(0)
	v_mov_b32_e32 v16, s39
	ds_read_b32 v17, v16
	s_andn2_b64 s[18:19], s[18:19], exec
	s_and_b64 s[46:47], s[14:15], exec
	s_or_b64 s[18:19], s[18:19], s[46:47]
	s_waitcnt lgkmcnt(0)
	v_fmac_f32_e32 v18, v17, v17
	v_mul_f32_e32 v16, 0x4f800000, v18
	v_cmp_gt_f32_e32 vcc, s36, v18
	v_cndmask_b32_e32 v16, v18, v16, vcc
	v_sqrt_f32_e32 v18, v16
	v_add_u32_e32 v19, -1, v18
	v_add_u32_e32 v20, 1, v18
	v_fma_f32 v21, -v19, v18, v16
	v_fma_f32 v22, -v20, v18, v16
	v_cmp_ge_f32_e64 s[8:9], 0, v21
	v_cndmask_b32_e64 v18, v18, v19, s[8:9]
	v_cmp_lt_f32_e64 s[8:9], 0, v22
	v_cndmask_b32_e64 v18, v18, v20, s[8:9]
	v_mul_f32_e32 v19, 0x37800000, v18
	v_cndmask_b32_e32 v18, v18, v19, vcc
	v_cmp_class_f32_e32 vcc, v16, v15
	v_cndmask_b32_e32 v16, v18, v16, vcc
	v_cmp_le_f32_e32 vcc, 0, v17
	v_cndmask_b32_e64 v16, v16, -v16, vcc
	v_sub_f32_e32 v18, v17, v16
	v_div_scale_f32 v19, s[8:9], v18, v18, 1.0
	v_rcp_f32_e32 v20, v19
	v_div_scale_f32 v21, vcc, 1.0, v18, 1.0
	v_fma_f32 v22, -v19, v20, 1.0
	v_fmac_f32_e32 v20, v22, v20
	v_mul_f32_e32 v22, v21, v20
	v_fma_f32 v23, -v19, v22, v21
	v_fmac_f32_e32 v22, v23, v20
	v_fma_f32 v19, -v19, v22, v21
	v_sub_f32_e32 v21, v16, v17
	v_div_scale_f32 v23, s[8:9], v16, v16, v21
	v_rcp_f32_e32 v24, v23
	v_div_fmas_f32 v17, v19, v20, v22
	v_div_fixup_f32 v17, v17, v18, 1.0
	s_and_b64 s[8:9], s[12:13], exec
	v_fma_f32 v18, -v23, v24, 1.0
	v_fmac_f32_e32 v24, v18, v24
	v_div_scale_f32 v18, vcc, v21, v16, v21
	v_mul_f32_e32 v19, v18, v24
	v_fma_f32 v20, -v23, v19, v18
	v_fmac_f32_e32 v19, v20, v24
	v_fma_f32 v18, -v23, v19, v18
	v_div_fmas_f32 v18, v18, v24, v19
	v_div_fixup_f32 v18, v18, v16, v21
	v_mov_b32_e32 v19, s30
	ds_write_b32 v19, v18
	s_or_b64 exec, exec, s[22:23]
	s_and_saveexec_b64 s[22:23], s[18:19]
	s_cbranch_execnz .LBB55_28
	s_branch .LBB55_29
.LBB55_53:
	s_and_saveexec_b64 s[2:3], s[0:1]
	s_cbranch_execz .LBB55_68
; %bb.54:
	s_lshl_b32 s24, s33, 1
	s_sub_i32 s6, 0, s24
	v_xad_u32 v0, v4, -1, s21
	s_cmp_lt_i32 s24, 0
	v_lshrrev_b32_e32 v1, 1, v0
	s_cselect_b64 s[2:3], -1, 0
	v_add_u32_e32 v3, 1, v1
	s_and_b64 s[4:5], s[2:3], exec
	s_cselect_b32 s4, s6, s24
	v_and_b32_e32 v12, -2, v3
	v_mul_lo_u32 v7, v4, s33
	v_cmp_gt_u32_e64 s[12:13], 26, v0
	v_cmp_lt_u32_e64 s[0:1], 25, v0
	v_mul_hi_u32 v0, s4, v1
	v_lshl_or_b32 v13, v12, 1, v4
	v_cmp_gt_i32_e32 vcc, s21, v4
	s_mov_b32 s25, 0
	v_add_u32_e32 v10, v7, v2
	v_mul_lo_u32 v11, s4, v1
	v_cmp_ne_u32_e64 s[4:5], 0, v0
	v_or_b32_e32 v5, 2, v4
	s_mov_b32 s26, s20
	s_mov_b32 s27, s20
	;; [unrolled: 1-line block ×3, first 2 shown]
	v_cmp_ne_u32_e64 s[6:7], v3, v12
	s_lshl_b32 s29, s20, 2
	s_lshl_b32 s30, s20, 3
	s_mov_b64 s[14:15], 0
	v_mul_lo_u32 v14, s33, v13
	s_branch .LBB55_56
.LBB55_55:                              ;   in Loop: Header=BB55_56 Depth=1
	s_or_b64 exec, exec, s[16:17]
	v_add_u32_e32 v2, 0x80, v2
	s_add_i32 s25, s25, 1
	v_cmp_le_i32_e64 s[8:9], s20, v2
	s_or_b64 s[14:15], s[8:9], s[14:15]
	v_add_u32_e32 v6, 0x200, v6
	s_andn2_b64 exec, exec, s[14:15]
	s_cbranch_execz .LBB55_68
.LBB55_56:                              ; =>This Loop Header: Depth=1
                                        ;     Child Loop BB55_60 Depth 2
                                        ;     Child Loop BB55_67 Depth 2
	s_and_saveexec_b64 s[16:17], vcc
	s_cbranch_execz .LBB55_55
; %bb.57:                               ;   in Loop: Header=BB55_56 Depth=1
	s_mov_b64 s[8:9], s[12:13]
	v_mov_b32_e32 v3, v4
	v_mov_b32_e32 v0, v7
	s_and_saveexec_b64 s[10:11], s[0:1]
	s_cbranch_execz .LBB55_65
; %bb.58:                               ;   in Loop: Header=BB55_56 Depth=1
	v_lshl_add_u32 v0, s25, 7, v10
	v_sub_u32_e32 v3, v0, v11
	v_add_u32_e32 v1, v0, v11
	v_cmp_gt_i32_e64 s[8:9], v3, v0
	v_cndmask_b32_e64 v3, 0, 1, s[8:9]
	v_cmp_lt_i32_e64 s[8:9], v1, v0
	v_cndmask_b32_e64 v0, 0, 1, s[8:9]
	v_cndmask_b32_e64 v0, v0, v3, s[2:3]
	v_and_b32_e32 v0, 1, v0
	v_cmp_eq_u32_e64 s[8:9], 1, v0
	s_or_b64 s[18:19], s[8:9], s[4:5]
	s_mov_b64 s[8:9], -1
	s_xor_b64 s[22:23], s[18:19], -1
	v_mov_b32_e32 v3, v4
	v_mov_b32_e32 v0, v7
	s_and_saveexec_b64 s[18:19], s[22:23]
	s_cbranch_execz .LBB55_64
; %bb.59:                               ;   in Loop: Header=BB55_56 Depth=1
	v_lshl_add_u32 v8, v2, 2, 0
	v_mov_b32_e32 v3, v2
	s_mov_b64 s[22:23], 0
	v_mov_b32_e32 v9, v12
	v_pk_mov_b32 v[0:1], v[4:5], v[4:5] op_sel:[0,1]
.LBB55_60:                              ;   Parent Loop BB55_56 Depth=1
                                        ; =>  This Inner Loop Header: Depth=2
	v_mul_lo_u32 v15, v1, s27
	v_mul_lo_u32 v19, v0, s26
	v_mad_u64_u32 v[16:17], s[8:9], v0, s33, v[2:3]
	v_mov_b32_e32 v18, v3
	v_lshl_add_u32 v22, v19, 2, v8
	v_lshl_add_u32 v15, v15, 2, v8
	v_add_u32_e32 v9, -2, v9
	v_mad_u64_u32 v[18:19], s[8:9], v1, s28, v[18:19]
	v_ashrrev_i32_e32 v17, 31, v16
	ds_read_b32 v22, v22
	ds_read_b32 v15, v15
	v_cmp_eq_u32_e64 s[8:9], 0, v9
	v_lshlrev_b64 v[16:17], 2, v[16:17]
	v_mov_b32_e32 v20, s41
	v_ashrrev_i32_e32 v19, 31, v18
	s_or_b64 s[22:23], s[8:9], s[22:23]
	v_add_co_u32_e64 v16, s[8:9], s40, v16
	v_addc_co_u32_e64 v17, s[8:9], v20, v17, s[8:9]
	v_lshlrev_b64 v[18:19], 2, v[18:19]
	v_mov_b32_e32 v21, s41
	v_add_u32_e32 v0, 4, v0
	v_add_u32_e32 v1, 4, v1
	v_add_co_u32_e64 v18, s[8:9], s40, v18
	v_addc_co_u32_e64 v19, s[8:9], v21, v19, s[8:9]
	s_waitcnt lgkmcnt(1)
	global_store_dword v[16:17], v22, off
	s_waitcnt lgkmcnt(0)
	global_store_dword v[18:19], v15, off
	s_andn2_b64 exec, exec, s[22:23]
	s_cbranch_execnz .LBB55_60
; %bb.61:                               ;   in Loop: Header=BB55_56 Depth=1
	s_or_b64 exec, exec, s[22:23]
	s_mov_b64 s[8:9], 0
	s_and_saveexec_b64 s[22:23], s[6:7]
	s_xor_b64 s[22:23], exec, s[22:23]
; %bb.62:                               ;   in Loop: Header=BB55_56 Depth=1
	s_mov_b64 s[8:9], exec
; %bb.63:                               ;   in Loop: Header=BB55_56 Depth=1
	s_or_b64 exec, exec, s[22:23]
	s_orn2_b64 s[8:9], s[8:9], exec
	v_mov_b32_e32 v3, v13
	v_mov_b32_e32 v0, v14
.LBB55_64:                              ;   in Loop: Header=BB55_56 Depth=1
	s_or_b64 exec, exec, s[18:19]
	s_andn2_b64 s[18:19], s[12:13], exec
	s_and_b64 s[8:9], s[8:9], exec
	s_or_b64 s[8:9], s[18:19], s[8:9]
.LBB55_65:                              ;   in Loop: Header=BB55_56 Depth=1
	s_or_b64 exec, exec, s[10:11]
	s_and_b64 exec, exec, s[8:9]
	s_cbranch_execz .LBB55_55
; %bb.66:                               ;   in Loop: Header=BB55_56 Depth=1
	v_add_u32_e32 v0, v2, v0
	v_mad_u64_u32 v[8:9], s[8:9], s29, v3, v[6:7]
	s_mov_b64 s[18:19], 0
.LBB55_67:                              ;   Parent Loop BB55_56 Depth=1
                                        ; =>  This Inner Loop Header: Depth=2
	ds_read_b32 v9, v8
	v_ashrrev_i32_e32 v1, 31, v0
	v_add_u32_e32 v3, 2, v3
	v_lshlrev_b64 v[16:17], 2, v[0:1]
	v_mov_b32_e32 v15, s41
	v_cmp_le_i32_e64 s[8:9], s21, v3
	v_add_co_u32_e64 v16, s[10:11], s40, v16
	v_add_u32_e32 v8, s30, v8
	v_add_u32_e32 v0, s24, v0
	v_addc_co_u32_e64 v17, s[10:11], v15, v17, s[10:11]
	s_or_b64 s[18:19], s[8:9], s[18:19]
	s_waitcnt lgkmcnt(0)
	global_store_dword v[16:17], v9, off
	s_andn2_b64 exec, exec, s[18:19]
	s_cbranch_execnz .LBB55_67
	s_branch .LBB55_55
.LBB55_68:
	s_endpgm
	.section	.rodata,"a",@progbits
	.p2align	6, 0x0
	.amdhsa_kernel _ZN9rocsolver6v33100L18geqr2_kernel_smallILi256EfifPfEEvT1_S3_T3_lS3_lPT2_lPT0_l
		.amdhsa_group_segment_fixed_size 0
		.amdhsa_private_segment_fixed_size 0
		.amdhsa_kernarg_size 72
		.amdhsa_user_sgpr_count 6
		.amdhsa_user_sgpr_private_segment_buffer 1
		.amdhsa_user_sgpr_dispatch_ptr 0
		.amdhsa_user_sgpr_queue_ptr 0
		.amdhsa_user_sgpr_kernarg_segment_ptr 1
		.amdhsa_user_sgpr_dispatch_id 0
		.amdhsa_user_sgpr_flat_scratch_init 0
		.amdhsa_user_sgpr_kernarg_preload_length 0
		.amdhsa_user_sgpr_kernarg_preload_offset 0
		.amdhsa_user_sgpr_private_segment_size 0
		.amdhsa_uses_dynamic_stack 0
		.amdhsa_system_sgpr_private_segment_wavefront_offset 0
		.amdhsa_system_sgpr_workgroup_id_x 1
		.amdhsa_system_sgpr_workgroup_id_y 0
		.amdhsa_system_sgpr_workgroup_id_z 1
		.amdhsa_system_sgpr_workgroup_info 0
		.amdhsa_system_vgpr_workitem_id 0
		.amdhsa_next_free_vgpr 25
		.amdhsa_next_free_sgpr 49
		.amdhsa_accum_offset 28
		.amdhsa_reserve_vcc 1
		.amdhsa_reserve_flat_scratch 0
		.amdhsa_float_round_mode_32 0
		.amdhsa_float_round_mode_16_64 0
		.amdhsa_float_denorm_mode_32 3
		.amdhsa_float_denorm_mode_16_64 3
		.amdhsa_dx10_clamp 1
		.amdhsa_ieee_mode 1
		.amdhsa_fp16_overflow 0
		.amdhsa_tg_split 0
		.amdhsa_exception_fp_ieee_invalid_op 0
		.amdhsa_exception_fp_denorm_src 0
		.amdhsa_exception_fp_ieee_div_zero 0
		.amdhsa_exception_fp_ieee_overflow 0
		.amdhsa_exception_fp_ieee_underflow 0
		.amdhsa_exception_fp_ieee_inexact 0
		.amdhsa_exception_int_div_zero 0
	.end_amdhsa_kernel
	.section	.text._ZN9rocsolver6v33100L18geqr2_kernel_smallILi256EfifPfEEvT1_S3_T3_lS3_lPT2_lPT0_l,"axG",@progbits,_ZN9rocsolver6v33100L18geqr2_kernel_smallILi256EfifPfEEvT1_S3_T3_lS3_lPT2_lPT0_l,comdat
.Lfunc_end55:
	.size	_ZN9rocsolver6v33100L18geqr2_kernel_smallILi256EfifPfEEvT1_S3_T3_lS3_lPT2_lPT0_l, .Lfunc_end55-_ZN9rocsolver6v33100L18geqr2_kernel_smallILi256EfifPfEEvT1_S3_T3_lS3_lPT2_lPT0_l
                                        ; -- End function
	.section	.AMDGPU.csdata,"",@progbits
; Kernel info:
; codeLenInByte = 3380
; NumSgprs: 53
; NumVgprs: 25
; NumAgprs: 0
; TotalNumVgprs: 25
; ScratchSize: 0
; MemoryBound: 0
; FloatMode: 240
; IeeeMode: 1
; LDSByteSize: 0 bytes/workgroup (compile time only)
; SGPRBlocks: 6
; VGPRBlocks: 3
; NumSGPRsForWavesPerEU: 53
; NumVGPRsForWavesPerEU: 25
; AccumOffset: 28
; Occupancy: 8
; WaveLimiterHint : 0
; COMPUTE_PGM_RSRC2:SCRATCH_EN: 0
; COMPUTE_PGM_RSRC2:USER_SGPR: 6
; COMPUTE_PGM_RSRC2:TRAP_HANDLER: 0
; COMPUTE_PGM_RSRC2:TGID_X_EN: 1
; COMPUTE_PGM_RSRC2:TGID_Y_EN: 0
; COMPUTE_PGM_RSRC2:TGID_Z_EN: 1
; COMPUTE_PGM_RSRC2:TIDIG_COMP_CNT: 0
; COMPUTE_PGM_RSRC3_GFX90A:ACCUM_OFFSET: 6
; COMPUTE_PGM_RSRC3_GFX90A:TG_SPLIT: 0
	.section	.text._ZN9rocsolver6v33100L16gesdd_flip_signsIffEEviPT0_lPT_ilS5_ili,"axG",@progbits,_ZN9rocsolver6v33100L16gesdd_flip_signsIffEEviPT0_lPT_ilS5_ili,comdat
	.globl	_ZN9rocsolver6v33100L16gesdd_flip_signsIffEEviPT0_lPT_ilS5_ili ; -- Begin function _ZN9rocsolver6v33100L16gesdd_flip_signsIffEEviPT0_lPT_ilS5_ili
	.p2align	8
	.type	_ZN9rocsolver6v33100L16gesdd_flip_signsIffEEviPT0_lPT_ilS5_ili,@function
_ZN9rocsolver6v33100L16gesdd_flip_signsIffEEviPT0_lPT_ilS5_ili: ; @_ZN9rocsolver6v33100L16gesdd_flip_signsIffEEviPT0_lPT_ilS5_ili
; %bb.0:
	s_load_dword s33, s[4:5], 0x48
	s_waitcnt lgkmcnt(0)
	s_cmp_ge_i32 s7, s33
	s_cbranch_scc1 .LBB56_13
; %bb.1:
	s_load_dword s36, s[4:5], 0x0
	s_load_dwordx4 s[8:11], s[4:5], 0x8
	s_load_dwordx2 s[16:17], s[4:5], 0x40
	s_load_dwordx2 s[18:19], s[4:5], 0x50
	s_load_dword s0, s[4:5], 0x5c
	s_load_dwordx2 s[20:21], s[4:5], 0x18
	s_load_dword s22, s[4:5], 0x20
	s_load_dwordx4 s[12:15], s[4:5], 0x28
	s_load_dword s37, s[4:5], 0x38
	s_waitcnt lgkmcnt(0)
	s_and_b32 s4, s0, 0xffff
	s_cmp_gt_i32 s36, 0
	s_mul_i32 s6, s6, s4
	s_cselect_b64 s[2:3], -1, 0
	v_add_u32_e32 v2, s6, v0
	v_cndmask_b32_e64 v0, 0, 1, s[2:3]
	v_cmp_gt_i32_e64 s[0:1], s36, v2
	s_add_i32 s6, s22, 1
	s_mul_i32 s18, s18, s4
	s_lshl_b64 s[10:11], s[10:11], 2
	v_cmp_ne_u32_e64 s[2:3], 1, v0
	v_mov_b32_e32 v3, 0
	s_branch .LBB56_3
.LBB56_2:                               ;   in Loop: Header=BB56_3 Depth=1
	s_or_b64 exec, exec, s[22:23]
	s_add_i32 s7, s7, s19
	s_cmp_lt_i32 s7, s33
	s_cbranch_scc0 .LBB56_13
.LBB56_3:                               ; =>This Loop Header: Depth=1
                                        ;     Child Loop BB56_6 Depth 2
                                        ;       Child Loop BB56_9 Depth 3
	s_and_saveexec_b64 s[22:23], s[0:1]
	s_cbranch_execz .LBB56_2
; %bb.4:                                ;   in Loop: Header=BB56_3 Depth=1
	s_ashr_i32 s26, s7, 31
	s_mul_hi_u32 s4, s10, s7
	s_mul_i32 s5, s10, s26
	s_add_i32 s4, s4, s5
	s_mul_i32 s5, s11, s7
	s_add_i32 s4, s4, s5
	s_mul_i32 s5, s10, s7
	s_add_u32 s24, s8, s5
	s_addc_u32 s25, s9, s4
	s_mul_i32 s4, s7, s13
	s_mul_hi_u32 s5, s7, s12
	s_add_i32 s4, s5, s4
	s_mul_i32 s5, s26, s12
	s_add_i32 s5, s4, s5
	s_mul_i32 s4, s7, s12
	s_lshl_b64 s[4:5], s[4:5], 2
	s_add_u32 s38, s20, s4
	s_addc_u32 s39, s21, s5
	s_mul_i32 s4, s7, s17
	s_mul_hi_u32 s5, s7, s16
	s_add_i32 s4, s5, s4
	s_mul_i32 s26, s26, s16
	s_add_i32 s5, s4, s26
	s_mul_i32 s4, s7, s16
	s_lshl_b64 s[4:5], s[4:5], 2
	s_add_u32 s40, s14, s4
	s_addc_u32 s41, s15, s5
	s_mov_b64 s[26:27], 0
	v_mov_b32_e32 v4, v2
	s_branch .LBB56_6
.LBB56_5:                               ;   in Loop: Header=BB56_6 Depth=2
	v_add_u32_e32 v4, s18, v4
	v_cmp_le_i32_e32 vcc, s36, v4
	s_or_b64 s[26:27], vcc, s[26:27]
	s_andn2_b64 exec, exec, s[26:27]
	s_cbranch_execz .LBB56_2
.LBB56_6:                               ;   Parent Loop BB56_3 Depth=1
                                        ; =>  This Loop Header: Depth=2
                                        ;       Child Loop BB56_9 Depth 3
	s_and_b64 vcc, exec, s[2:3]
	s_cbranch_vccnz .LBB56_5
; %bb.7:                                ;   in Loop: Header=BB56_6 Depth=2
	s_mov_b32 s28, 0
	v_cmp_eq_u32_e64 s[4:5], 0, v4
	s_mov_b64 s[30:31], s[24:25]
	v_mov_b32_e32 v0, v4
	s_mov_b32 s42, s36
	s_branch .LBB56_9
.LBB56_8:                               ;   in Loop: Header=BB56_9 Depth=3
	s_or_b64 exec, exec, s[34:35]
	s_add_i32 s42, s42, -1
	s_add_i32 s28, s28, s6
	s_add_u32 s30, s30, 4
	s_addc_u32 s31, s31, 0
	s_cmp_lg_u32 s42, 0
	v_add_u32_e32 v0, s37, v0
	s_cbranch_scc0 .LBB56_5
.LBB56_9:                               ;   Parent Loop BB56_3 Depth=1
                                        ;     Parent Loop BB56_6 Depth=2
                                        ; =>    This Inner Loop Header: Depth=3
	s_ashr_i32 s29, s28, 31
	s_lshl_b64 s[34:35], s[28:29], 2
	s_add_u32 s34, s38, s34
	s_addc_u32 s35, s39, s35
	global_load_dword v5, v3, s[34:35]
	s_waitcnt vmcnt(0)
	v_cmp_ngt_f32_e32 vcc, 0, v5
	s_cbranch_vccnz .LBB56_11
; %bb.10:                               ;   in Loop: Header=BB56_9 Depth=3
	v_ashrrev_i32_e32 v1, 31, v0
	v_lshlrev_b64 v[6:7], 2, v[0:1]
	v_mov_b32_e32 v1, s41
	v_add_co_u32_e32 v6, vcc, s40, v6
	v_addc_co_u32_e32 v7, vcc, v1, v7, vcc
	global_load_dword v1, v[6:7], off
	s_waitcnt vmcnt(0)
	v_xor_b32_e32 v1, 0x80000000, v1
	global_store_dword v[6:7], v1, off
.LBB56_11:                              ;   in Loop: Header=BB56_9 Depth=3
	s_and_saveexec_b64 s[34:35], s[4:5]
	s_cbranch_execz .LBB56_8
; %bb.12:                               ;   in Loop: Header=BB56_9 Depth=3
	v_and_b32_e32 v1, 0x7fffffff, v5
	global_store_dword v3, v1, s[30:31]
	s_branch .LBB56_8
.LBB56_13:
	s_endpgm
	.section	.rodata,"a",@progbits
	.p2align	6, 0x0
	.amdhsa_kernel _ZN9rocsolver6v33100L16gesdd_flip_signsIffEEviPT0_lPT_ilS5_ili
		.amdhsa_group_segment_fixed_size 0
		.amdhsa_private_segment_fixed_size 0
		.amdhsa_kernarg_size 336
		.amdhsa_user_sgpr_count 6
		.amdhsa_user_sgpr_private_segment_buffer 1
		.amdhsa_user_sgpr_dispatch_ptr 0
		.amdhsa_user_sgpr_queue_ptr 0
		.amdhsa_user_sgpr_kernarg_segment_ptr 1
		.amdhsa_user_sgpr_dispatch_id 0
		.amdhsa_user_sgpr_flat_scratch_init 0
		.amdhsa_user_sgpr_kernarg_preload_length 0
		.amdhsa_user_sgpr_kernarg_preload_offset 0
		.amdhsa_user_sgpr_private_segment_size 0
		.amdhsa_uses_dynamic_stack 0
		.amdhsa_system_sgpr_private_segment_wavefront_offset 0
		.amdhsa_system_sgpr_workgroup_id_x 1
		.amdhsa_system_sgpr_workgroup_id_y 1
		.amdhsa_system_sgpr_workgroup_id_z 0
		.amdhsa_system_sgpr_workgroup_info 0
		.amdhsa_system_vgpr_workitem_id 0
		.amdhsa_next_free_vgpr 8
		.amdhsa_next_free_sgpr 43
		.amdhsa_accum_offset 8
		.amdhsa_reserve_vcc 1
		.amdhsa_reserve_flat_scratch 0
		.amdhsa_float_round_mode_32 0
		.amdhsa_float_round_mode_16_64 0
		.amdhsa_float_denorm_mode_32 3
		.amdhsa_float_denorm_mode_16_64 3
		.amdhsa_dx10_clamp 1
		.amdhsa_ieee_mode 1
		.amdhsa_fp16_overflow 0
		.amdhsa_tg_split 0
		.amdhsa_exception_fp_ieee_invalid_op 0
		.amdhsa_exception_fp_denorm_src 0
		.amdhsa_exception_fp_ieee_div_zero 0
		.amdhsa_exception_fp_ieee_overflow 0
		.amdhsa_exception_fp_ieee_underflow 0
		.amdhsa_exception_fp_ieee_inexact 0
		.amdhsa_exception_int_div_zero 0
	.end_amdhsa_kernel
	.section	.text._ZN9rocsolver6v33100L16gesdd_flip_signsIffEEviPT0_lPT_ilS5_ili,"axG",@progbits,_ZN9rocsolver6v33100L16gesdd_flip_signsIffEEviPT0_lPT_ilS5_ili,comdat
.Lfunc_end56:
	.size	_ZN9rocsolver6v33100L16gesdd_flip_signsIffEEviPT0_lPT_ilS5_ili, .Lfunc_end56-_ZN9rocsolver6v33100L16gesdd_flip_signsIffEEviPT0_lPT_ilS5_ili
                                        ; -- End function
	.section	.AMDGPU.csdata,"",@progbits
; Kernel info:
; codeLenInByte = 516
; NumSgprs: 47
; NumVgprs: 8
; NumAgprs: 0
; TotalNumVgprs: 8
; ScratchSize: 0
; MemoryBound: 0
; FloatMode: 240
; IeeeMode: 1
; LDSByteSize: 0 bytes/workgroup (compile time only)
; SGPRBlocks: 5
; VGPRBlocks: 0
; NumSGPRsForWavesPerEU: 47
; NumVGPRsForWavesPerEU: 8
; AccumOffset: 8
; Occupancy: 8
; WaveLimiterHint : 0
; COMPUTE_PGM_RSRC2:SCRATCH_EN: 0
; COMPUTE_PGM_RSRC2:USER_SGPR: 6
; COMPUTE_PGM_RSRC2:TRAP_HANDLER: 0
; COMPUTE_PGM_RSRC2:TGID_X_EN: 1
; COMPUTE_PGM_RSRC2:TGID_Y_EN: 1
; COMPUTE_PGM_RSRC2:TGID_Z_EN: 0
; COMPUTE_PGM_RSRC2:TIDIG_COMP_CNT: 0
; COMPUTE_PGM_RSRC3_GFX90A:ACCUM_OFFSET: 1
; COMPUTE_PGM_RSRC3_GFX90A:TG_SPLIT: 0
	.section	.text._ZN9rocsolver6v33100L16org2r_init_identIfPfEEviiiT0_iil,"axG",@progbits,_ZN9rocsolver6v33100L16org2r_init_identIfPfEEviiiT0_iil,comdat
	.globl	_ZN9rocsolver6v33100L16org2r_init_identIfPfEEviiiT0_iil ; -- Begin function _ZN9rocsolver6v33100L16org2r_init_identIfPfEEviiiT0_iil
	.p2align	8
	.type	_ZN9rocsolver6v33100L16org2r_init_identIfPfEEviiiT0_iil,@function
_ZN9rocsolver6v33100L16org2r_init_identIfPfEEviiiT0_iil: ; @_ZN9rocsolver6v33100L16org2r_init_identIfPfEEviiiT0_iil
; %bb.0:
	s_load_dword s9, s[4:5], 0x34
	s_load_dwordx4 s[0:3], s[4:5], 0x0
	v_bfe_u32 v1, v0, 10, 10
	v_and_b32_e32 v0, 0x3ff, v0
	s_waitcnt lgkmcnt(0)
	s_lshr_b32 s3, s9, 16
	s_and_b32 s9, s9, 0xffff
	s_mul_i32 s7, s7, s3
	s_mul_i32 s6, s6, s9
	v_add_u32_e32 v2, s7, v1
	v_add_u32_e32 v4, s6, v0
	v_cmp_gt_u32_e32 vcc, s0, v4
	v_cmp_gt_u32_e64 s[0:1], s1, v2
	s_and_b64 s[0:1], vcc, s[0:1]
	s_and_saveexec_b64 s[6:7], s[0:1]
	s_cbranch_execz .LBB57_5
; %bb.1:
	s_load_dwordx2 s[0:1], s[4:5], 0x18
	v_cmp_ne_u32_e32 vcc, v4, v2
	s_mov_b64 s[10:11], 0
                                        ; implicit-def: $vgpr3
                                        ; implicit-def: $vgpr0
	s_and_saveexec_b64 s[6:7], vcc
	s_xor_b64 s[6:7], exec, s[6:7]
	s_cbranch_execnz .LBB57_6
; %bb.2:
	s_andn2_saveexec_b64 s[2:3], s[6:7]
	s_cbranch_execnz .LBB57_13
.LBB57_3:
	s_or_b64 exec, exec, s[2:3]
	s_and_b64 exec, exec, s[10:11]
	s_cbranch_execz .LBB57_5
.LBB57_4:
	s_load_dwordx2 s[2:3], s[4:5], 0x20
	s_load_dwordx2 s[6:7], s[4:5], 0x10
	s_waitcnt lgkmcnt(0)
	s_ashr_i32 s1, s0, 31
	v_mov_b32_e32 v1, 0
	v_lshlrev_b64 v[0:1], 2, v[0:1]
	s_mul_i32 s3, s8, s3
	s_mul_hi_u32 s4, s8, s2
	s_mul_i32 s2, s8, s2
	s_add_i32 s3, s4, s3
	s_lshl_b64 s[2:3], s[2:3], 2
	s_add_u32 s2, s6, s2
	s_addc_u32 s3, s7, s3
	s_lshl_b64 s[0:1], s[0:1], 2
	s_add_u32 s0, s2, s0
	s_addc_u32 s1, s3, s1
	v_mov_b32_e32 v2, s1
	v_add_co_u32_e32 v0, vcc, s0, v0
	v_addc_co_u32_e32 v1, vcc, v2, v1, vcc
	global_store_dword v[0:1], v3, off
.LBB57_5:
	s_endpgm
.LBB57_6:
	v_cmp_le_u32_e32 vcc, v2, v4
                                        ; implicit-def: $sgpr9
                                        ; implicit-def: $vgpr0
	s_and_saveexec_b64 s[12:13], vcc
	s_xor_b64 s[12:13], exec, s[12:13]
	s_cbranch_execz .LBB57_10
; %bb.7:
	v_cmp_le_u32_e32 vcc, s2, v2
	s_mov_b64 s[2:3], 0
                                        ; implicit-def: $sgpr9
                                        ; implicit-def: $vgpr0
	s_and_saveexec_b64 s[10:11], vcc
	s_xor_b64 s[10:11], exec, s[10:11]
	s_cbranch_execz .LBB57_9
; %bb.8:
	s_mov_b64 s[2:3], exec
	s_waitcnt lgkmcnt(0)
	v_mad_u64_u32 v[0:1], s[14:15], v2, s1, v[4:5]
	s_mov_b32 s9, 0
.LBB57_9:
	s_or_b64 exec, exec, s[10:11]
	s_and_b64 s[10:11], s[2:3], exec
                                        ; implicit-def: $vgpr4
                                        ; implicit-def: $vgpr2
.LBB57_10:
	s_or_saveexec_b64 s[2:3], s[12:13]
	v_mov_b32_e32 v3, s9
	s_xor_b64 exec, exec, s[2:3]
	s_cbranch_execz .LBB57_12
; %bb.11:
	s_waitcnt lgkmcnt(0)
	v_mad_u64_u32 v[0:1], s[12:13], v2, s1, v[4:5]
	v_mov_b32_e32 v3, 0
	s_or_b64 s[10:11], s[10:11], exec
.LBB57_12:
	s_or_b64 exec, exec, s[2:3]
	s_and_b64 s[10:11], s[10:11], exec
                                        ; implicit-def: $vgpr2
	s_andn2_saveexec_b64 s[2:3], s[6:7]
	s_cbranch_execz .LBB57_3
.LBB57_13:
	s_waitcnt lgkmcnt(0)
	v_mad_u64_u32 v[0:1], s[6:7], v2, s1, v[2:3]
	v_mov_b32_e32 v3, 1.0
	s_or_b64 s[10:11], s[10:11], exec
	s_or_b64 exec, exec, s[2:3]
	s_and_b64 exec, exec, s[10:11]
	s_cbranch_execnz .LBB57_4
	s_branch .LBB57_5
	.section	.rodata,"a",@progbits
	.p2align	6, 0x0
	.amdhsa_kernel _ZN9rocsolver6v33100L16org2r_init_identIfPfEEviiiT0_iil
		.amdhsa_group_segment_fixed_size 0
		.amdhsa_private_segment_fixed_size 0
		.amdhsa_kernarg_size 296
		.amdhsa_user_sgpr_count 6
		.amdhsa_user_sgpr_private_segment_buffer 1
		.amdhsa_user_sgpr_dispatch_ptr 0
		.amdhsa_user_sgpr_queue_ptr 0
		.amdhsa_user_sgpr_kernarg_segment_ptr 1
		.amdhsa_user_sgpr_dispatch_id 0
		.amdhsa_user_sgpr_flat_scratch_init 0
		.amdhsa_user_sgpr_kernarg_preload_length 0
		.amdhsa_user_sgpr_kernarg_preload_offset 0
		.amdhsa_user_sgpr_private_segment_size 0
		.amdhsa_uses_dynamic_stack 0
		.amdhsa_system_sgpr_private_segment_wavefront_offset 0
		.amdhsa_system_sgpr_workgroup_id_x 1
		.amdhsa_system_sgpr_workgroup_id_y 1
		.amdhsa_system_sgpr_workgroup_id_z 1
		.amdhsa_system_sgpr_workgroup_info 0
		.amdhsa_system_vgpr_workitem_id 1
		.amdhsa_next_free_vgpr 6
		.amdhsa_next_free_sgpr 16
		.amdhsa_accum_offset 8
		.amdhsa_reserve_vcc 1
		.amdhsa_reserve_flat_scratch 0
		.amdhsa_float_round_mode_32 0
		.amdhsa_float_round_mode_16_64 0
		.amdhsa_float_denorm_mode_32 3
		.amdhsa_float_denorm_mode_16_64 3
		.amdhsa_dx10_clamp 1
		.amdhsa_ieee_mode 1
		.amdhsa_fp16_overflow 0
		.amdhsa_tg_split 0
		.amdhsa_exception_fp_ieee_invalid_op 0
		.amdhsa_exception_fp_denorm_src 0
		.amdhsa_exception_fp_ieee_div_zero 0
		.amdhsa_exception_fp_ieee_overflow 0
		.amdhsa_exception_fp_ieee_underflow 0
		.amdhsa_exception_fp_ieee_inexact 0
		.amdhsa_exception_int_div_zero 0
	.end_amdhsa_kernel
	.section	.text._ZN9rocsolver6v33100L16org2r_init_identIfPfEEviiiT0_iil,"axG",@progbits,_ZN9rocsolver6v33100L16org2r_init_identIfPfEEviiiT0_iil,comdat
.Lfunc_end57:
	.size	_ZN9rocsolver6v33100L16org2r_init_identIfPfEEviiiT0_iil, .Lfunc_end57-_ZN9rocsolver6v33100L16org2r_init_identIfPfEEviiiT0_iil
                                        ; -- End function
	.section	.AMDGPU.csdata,"",@progbits
; Kernel info:
; codeLenInByte = 388
; NumSgprs: 20
; NumVgprs: 6
; NumAgprs: 0
; TotalNumVgprs: 6
; ScratchSize: 0
; MemoryBound: 0
; FloatMode: 240
; IeeeMode: 1
; LDSByteSize: 0 bytes/workgroup (compile time only)
; SGPRBlocks: 2
; VGPRBlocks: 0
; NumSGPRsForWavesPerEU: 20
; NumVGPRsForWavesPerEU: 6
; AccumOffset: 8
; Occupancy: 8
; WaveLimiterHint : 0
; COMPUTE_PGM_RSRC2:SCRATCH_EN: 0
; COMPUTE_PGM_RSRC2:USER_SGPR: 6
; COMPUTE_PGM_RSRC2:TRAP_HANDLER: 0
; COMPUTE_PGM_RSRC2:TGID_X_EN: 1
; COMPUTE_PGM_RSRC2:TGID_Y_EN: 1
; COMPUTE_PGM_RSRC2:TGID_Z_EN: 1
; COMPUTE_PGM_RSRC2:TIDIG_COMP_CNT: 1
; COMPUTE_PGM_RSRC3_GFX90A:ACCUM_OFFSET: 1
; COMPUTE_PGM_RSRC3_GFX90A:TG_SPLIT: 0
	.section	.text._ZN9rocsolver6v33100L12subtract_tauIfPfEEviiT0_iilPT_l,"axG",@progbits,_ZN9rocsolver6v33100L12subtract_tauIfPfEEviiT0_iilPT_l,comdat
	.globl	_ZN9rocsolver6v33100L12subtract_tauIfPfEEviiT0_iilPT_l ; -- Begin function _ZN9rocsolver6v33100L12subtract_tauIfPfEEviiT0_iilPT_l
	.p2align	8
	.type	_ZN9rocsolver6v33100L12subtract_tauIfPfEEviiT0_iilPT_l,@function
_ZN9rocsolver6v33100L12subtract_tauIfPfEEviiT0_iilPT_l: ; @_ZN9rocsolver6v33100L12subtract_tauIfPfEEviiT0_iilPT_l
; %bb.0:
	s_load_dwordx2 s[12:13], s[4:5], 0x10
	s_load_dwordx4 s[0:3], s[4:5], 0x18
	s_load_dwordx4 s[8:11], s[4:5], 0x0
	s_load_dwordx2 s[14:15], s[4:5], 0x28
	v_mov_b32_e32 v0, 0
	s_waitcnt lgkmcnt(0)
	s_ashr_i32 s5, s12, 31
	s_mul_i32 s1, s6, s1
	s_mul_hi_u32 s7, s6, s0
	s_add_i32 s1, s7, s1
	s_mul_i32 s0, s6, s0
	s_lshl_b64 s[0:1], s[0:1], 2
	s_mov_b32 s4, s12
	s_add_u32 s7, s10, s0
	s_addc_u32 s10, s11, s1
	s_lshl_b64 s[0:1], s[4:5], 2
	s_add_u32 s4, s7, s0
	s_addc_u32 s5, s10, s1
	s_mul_i32 s0, s6, s15
	s_mul_hi_u32 s1, s6, s14
	s_add_i32 s1, s1, s0
	s_mul_i32 s0, s6, s14
	s_lshl_b64 s[0:1], s[0:1], 2
	s_add_u32 s0, s2, s0
	s_addc_u32 s1, s3, s1
	s_load_dword s2, s[0:1], 0x0
	s_waitcnt lgkmcnt(0)
	s_xor_b32 s3, s2, 0x80000000
	v_mov_b32_e32 v1, s3
	global_store_dword v0, v1, s[0:1]
	s_mul_i32 s0, s13, s9
	s_add_i32 s0, s0, s8
	s_ashr_i32 s1, s0, 31
	s_lshl_b64 s[0:1], s[0:1], 2
	s_add_u32 s0, s4, s0
	v_sub_f32_e64 v1, 1.0, s2
	s_addc_u32 s1, s5, s1
	global_store_dword v0, v1, s[0:1]
	s_endpgm
	.section	.rodata,"a",@progbits
	.p2align	6, 0x0
	.amdhsa_kernel _ZN9rocsolver6v33100L12subtract_tauIfPfEEviiT0_iilPT_l
		.amdhsa_group_segment_fixed_size 0
		.amdhsa_private_segment_fixed_size 0
		.amdhsa_kernarg_size 48
		.amdhsa_user_sgpr_count 6
		.amdhsa_user_sgpr_private_segment_buffer 1
		.amdhsa_user_sgpr_dispatch_ptr 0
		.amdhsa_user_sgpr_queue_ptr 0
		.amdhsa_user_sgpr_kernarg_segment_ptr 1
		.amdhsa_user_sgpr_dispatch_id 0
		.amdhsa_user_sgpr_flat_scratch_init 0
		.amdhsa_user_sgpr_kernarg_preload_length 0
		.amdhsa_user_sgpr_kernarg_preload_offset 0
		.amdhsa_user_sgpr_private_segment_size 0
		.amdhsa_uses_dynamic_stack 0
		.amdhsa_system_sgpr_private_segment_wavefront_offset 0
		.amdhsa_system_sgpr_workgroup_id_x 1
		.amdhsa_system_sgpr_workgroup_id_y 0
		.amdhsa_system_sgpr_workgroup_id_z 0
		.amdhsa_system_sgpr_workgroup_info 0
		.amdhsa_system_vgpr_workitem_id 0
		.amdhsa_next_free_vgpr 2
		.amdhsa_next_free_sgpr 16
		.amdhsa_accum_offset 4
		.amdhsa_reserve_vcc 0
		.amdhsa_reserve_flat_scratch 0
		.amdhsa_float_round_mode_32 0
		.amdhsa_float_round_mode_16_64 0
		.amdhsa_float_denorm_mode_32 3
		.amdhsa_float_denorm_mode_16_64 3
		.amdhsa_dx10_clamp 1
		.amdhsa_ieee_mode 1
		.amdhsa_fp16_overflow 0
		.amdhsa_tg_split 0
		.amdhsa_exception_fp_ieee_invalid_op 0
		.amdhsa_exception_fp_denorm_src 0
		.amdhsa_exception_fp_ieee_div_zero 0
		.amdhsa_exception_fp_ieee_overflow 0
		.amdhsa_exception_fp_ieee_underflow 0
		.amdhsa_exception_fp_ieee_inexact 0
		.amdhsa_exception_int_div_zero 0
	.end_amdhsa_kernel
	.section	.text._ZN9rocsolver6v33100L12subtract_tauIfPfEEviiT0_iilPT_l,"axG",@progbits,_ZN9rocsolver6v33100L12subtract_tauIfPfEEviiT0_iilPT_l,comdat
.Lfunc_end58:
	.size	_ZN9rocsolver6v33100L12subtract_tauIfPfEEviiT0_iilPT_l, .Lfunc_end58-_ZN9rocsolver6v33100L12subtract_tauIfPfEEviiT0_iilPT_l
                                        ; -- End function
	.section	.AMDGPU.csdata,"",@progbits
; Kernel info:
; codeLenInByte = 192
; NumSgprs: 20
; NumVgprs: 2
; NumAgprs: 0
; TotalNumVgprs: 2
; ScratchSize: 0
; MemoryBound: 0
; FloatMode: 240
; IeeeMode: 1
; LDSByteSize: 0 bytes/workgroup (compile time only)
; SGPRBlocks: 2
; VGPRBlocks: 0
; NumSGPRsForWavesPerEU: 20
; NumVGPRsForWavesPerEU: 2
; AccumOffset: 4
; Occupancy: 8
; WaveLimiterHint : 0
; COMPUTE_PGM_RSRC2:SCRATCH_EN: 0
; COMPUTE_PGM_RSRC2:USER_SGPR: 6
; COMPUTE_PGM_RSRC2:TRAP_HANDLER: 0
; COMPUTE_PGM_RSRC2:TGID_X_EN: 1
; COMPUTE_PGM_RSRC2:TGID_Y_EN: 0
; COMPUTE_PGM_RSRC2:TGID_Z_EN: 0
; COMPUTE_PGM_RSRC2:TIDIG_COMP_CNT: 0
; COMPUTE_PGM_RSRC3_GFX90A:ACCUM_OFFSET: 0
; COMPUTE_PGM_RSRC3_GFX90A:TG_SPLIT: 0
	.section	.text._ZN9rocsolver6v33100L6restauIfEEviPT_l,"axG",@progbits,_ZN9rocsolver6v33100L6restauIfEEviPT_l,comdat
	.globl	_ZN9rocsolver6v33100L6restauIfEEviPT_l ; -- Begin function _ZN9rocsolver6v33100L6restauIfEEviPT_l
	.p2align	8
	.type	_ZN9rocsolver6v33100L6restauIfEEviPT_l,@function
_ZN9rocsolver6v33100L6restauIfEEviPT_l: ; @_ZN9rocsolver6v33100L6restauIfEEviPT_l
; %bb.0:
	s_load_dword s0, s[4:5], 0x24
	s_load_dword s1, s[4:5], 0x0
	s_waitcnt lgkmcnt(0)
	s_and_b32 s0, s0, 0xffff
	s_mul_i32 s6, s6, s0
	v_add_u32_e32 v0, s6, v0
	v_cmp_gt_u32_e32 vcc, s1, v0
	s_and_saveexec_b64 s[0:1], vcc
	s_cbranch_execz .LBB59_2
; %bb.1:
	s_load_dwordx4 s[0:3], s[4:5], 0x8
	v_mov_b32_e32 v1, 0
	v_lshlrev_b64 v[0:1], 2, v[0:1]
	s_waitcnt lgkmcnt(0)
	s_mul_i32 s3, s7, s3
	s_mul_hi_u32 s4, s7, s2
	s_mul_i32 s2, s7, s2
	s_add_i32 s3, s4, s3
	s_lshl_b64 s[2:3], s[2:3], 2
	s_add_u32 s0, s0, s2
	s_addc_u32 s1, s1, s3
	v_mov_b32_e32 v2, s1
	v_add_co_u32_e32 v0, vcc, s0, v0
	v_addc_co_u32_e32 v1, vcc, v2, v1, vcc
	global_load_dword v2, v[0:1], off
	s_waitcnt vmcnt(0)
	v_xor_b32_e32 v2, 0x80000000, v2
	global_store_dword v[0:1], v2, off
.LBB59_2:
	s_endpgm
	.section	.rodata,"a",@progbits
	.p2align	6, 0x0
	.amdhsa_kernel _ZN9rocsolver6v33100L6restauIfEEviPT_l
		.amdhsa_group_segment_fixed_size 0
		.amdhsa_private_segment_fixed_size 0
		.amdhsa_kernarg_size 280
		.amdhsa_user_sgpr_count 6
		.amdhsa_user_sgpr_private_segment_buffer 1
		.amdhsa_user_sgpr_dispatch_ptr 0
		.amdhsa_user_sgpr_queue_ptr 0
		.amdhsa_user_sgpr_kernarg_segment_ptr 1
		.amdhsa_user_sgpr_dispatch_id 0
		.amdhsa_user_sgpr_flat_scratch_init 0
		.amdhsa_user_sgpr_kernarg_preload_length 0
		.amdhsa_user_sgpr_kernarg_preload_offset 0
		.amdhsa_user_sgpr_private_segment_size 0
		.amdhsa_uses_dynamic_stack 0
		.amdhsa_system_sgpr_private_segment_wavefront_offset 0
		.amdhsa_system_sgpr_workgroup_id_x 1
		.amdhsa_system_sgpr_workgroup_id_y 1
		.amdhsa_system_sgpr_workgroup_id_z 0
		.amdhsa_system_sgpr_workgroup_info 0
		.amdhsa_system_vgpr_workitem_id 0
		.amdhsa_next_free_vgpr 3
		.amdhsa_next_free_sgpr 8
		.amdhsa_accum_offset 4
		.amdhsa_reserve_vcc 1
		.amdhsa_reserve_flat_scratch 0
		.amdhsa_float_round_mode_32 0
		.amdhsa_float_round_mode_16_64 0
		.amdhsa_float_denorm_mode_32 3
		.amdhsa_float_denorm_mode_16_64 3
		.amdhsa_dx10_clamp 1
		.amdhsa_ieee_mode 1
		.amdhsa_fp16_overflow 0
		.amdhsa_tg_split 0
		.amdhsa_exception_fp_ieee_invalid_op 0
		.amdhsa_exception_fp_denorm_src 0
		.amdhsa_exception_fp_ieee_div_zero 0
		.amdhsa_exception_fp_ieee_overflow 0
		.amdhsa_exception_fp_ieee_underflow 0
		.amdhsa_exception_fp_ieee_inexact 0
		.amdhsa_exception_int_div_zero 0
	.end_amdhsa_kernel
	.section	.text._ZN9rocsolver6v33100L6restauIfEEviPT_l,"axG",@progbits,_ZN9rocsolver6v33100L6restauIfEEviPT_l,comdat
.Lfunc_end59:
	.size	_ZN9rocsolver6v33100L6restauIfEEviPT_l, .Lfunc_end59-_ZN9rocsolver6v33100L6restauIfEEviPT_l
                                        ; -- End function
	.section	.AMDGPU.csdata,"",@progbits
; Kernel info:
; codeLenInByte = 144
; NumSgprs: 12
; NumVgprs: 3
; NumAgprs: 0
; TotalNumVgprs: 3
; ScratchSize: 0
; MemoryBound: 0
; FloatMode: 240
; IeeeMode: 1
; LDSByteSize: 0 bytes/workgroup (compile time only)
; SGPRBlocks: 1
; VGPRBlocks: 0
; NumSGPRsForWavesPerEU: 12
; NumVGPRsForWavesPerEU: 3
; AccumOffset: 4
; Occupancy: 8
; WaveLimiterHint : 0
; COMPUTE_PGM_RSRC2:SCRATCH_EN: 0
; COMPUTE_PGM_RSRC2:USER_SGPR: 6
; COMPUTE_PGM_RSRC2:TRAP_HANDLER: 0
; COMPUTE_PGM_RSRC2:TGID_X_EN: 1
; COMPUTE_PGM_RSRC2:TGID_Y_EN: 1
; COMPUTE_PGM_RSRC2:TGID_Z_EN: 0
; COMPUTE_PGM_RSRC2:TIDIG_COMP_CNT: 0
; COMPUTE_PGM_RSRC3_GFX90A:ACCUM_OFFSET: 0
; COMPUTE_PGM_RSRC3_GFX90A:TG_SPLIT: 0
	.section	.text._ZN9rocsolver6v33100L8set_zeroIfPfEEviiT0_iil13rocblas_fill_,"axG",@progbits,_ZN9rocsolver6v33100L8set_zeroIfPfEEviiT0_iil13rocblas_fill_,comdat
	.globl	_ZN9rocsolver6v33100L8set_zeroIfPfEEviiT0_iil13rocblas_fill_ ; -- Begin function _ZN9rocsolver6v33100L8set_zeroIfPfEEviiT0_iil13rocblas_fill_
	.p2align	8
	.type	_ZN9rocsolver6v33100L8set_zeroIfPfEEviiT0_iil13rocblas_fill_,@function
_ZN9rocsolver6v33100L8set_zeroIfPfEEviiT0_iil13rocblas_fill_: ; @_ZN9rocsolver6v33100L8set_zeroIfPfEEviiT0_iil13rocblas_fill_
; %bb.0:
	s_load_dword s2, s[4:5], 0x34
	s_load_dwordx2 s[0:1], s[4:5], 0x0
	v_and_b32_e32 v1, 0x3ff, v0
	v_bfe_u32 v0, v0, 10, 10
	s_waitcnt lgkmcnt(0)
	s_lshr_b32 s3, s2, 16
	s_and_b32 s2, s2, 0xffff
	s_mul_i32 s6, s6, s2
	s_mul_i32 s7, s7, s3
	v_add_u32_e32 v2, s6, v1
	v_add_u32_e32 v0, s7, v0
	v_cmp_gt_u32_e32 vcc, s0, v2
	v_cmp_gt_u32_e64 s[0:1], s1, v0
	s_and_b64 s[0:1], vcc, s[0:1]
	s_and_saveexec_b64 s[2:3], s[0:1]
	s_cbranch_execz .LBB60_12
; %bb.1:
	s_load_dword s6, s[4:5], 0x20
	s_waitcnt lgkmcnt(0)
	s_cmpk_lt_i32 s6, 0x7a
	s_cbranch_scc1 .LBB60_4
; %bb.2:
	s_cmpk_gt_i32 s6, 0x7a
	s_cbranch_scc0 .LBB60_5
; %bb.3:
	s_cmpk_eq_i32 s6, 0x7b
	s_cselect_b64 s[0:1], -1, 0
	s_cbranch_execz .LBB60_6
	s_branch .LBB60_7
.LBB60_4:
	s_mov_b64 s[0:1], 0
	s_cbranch_execnz .LBB60_8
	s_branch .LBB60_10
.LBB60_5:
	s_mov_b64 s[0:1], 0
.LBB60_6:
	v_cmp_gt_u32_e32 vcc, v0, v2
	s_andn2_b64 s[0:1], s[0:1], exec
	s_and_b64 s[2:3], vcc, exec
	s_or_b64 s[0:1], s[0:1], s[2:3]
.LBB60_7:
	s_branch .LBB60_10
.LBB60_8:
	s_cmpk_eq_i32 s6, 0x79
	s_cbranch_scc0 .LBB60_10
; %bb.9:
	v_cmp_gt_u32_e32 vcc, v2, v0
	s_andn2_b64 s[0:1], s[0:1], exec
	s_and_b64 s[2:3], vcc, exec
	s_or_b64 s[0:1], s[0:1], s[2:3]
.LBB60_10:
	s_and_b64 exec, exec, s[0:1]
	s_cbranch_execz .LBB60_12
; %bb.11:
	s_load_dwordx4 s[0:3], s[4:5], 0x8
	s_load_dwordx2 s[6:7], s[4:5], 0x18
	s_waitcnt lgkmcnt(0)
	s_ashr_i32 s5, s2, 31
	s_mov_b32 s4, s2
	s_mul_i32 s2, s8, s7
	s_mul_hi_u32 s7, s8, s6
	s_add_i32 s7, s7, s2
	s_mul_i32 s6, s8, s6
	s_lshl_b64 s[6:7], s[6:7], 2
	s_add_u32 s2, s0, s6
	s_addc_u32 s6, s1, s7
	s_lshl_b64 s[0:1], s[4:5], 2
	s_add_u32 s2, s2, s0
	s_addc_u32 s4, s6, s1
	v_mad_u64_u32 v[0:1], s[0:1], v0, s3, v[2:3]
	v_mov_b32_e32 v1, 0
	v_lshlrev_b64 v[2:3], 2, v[0:1]
	v_mov_b32_e32 v0, s4
	v_add_co_u32_e32 v2, vcc, s2, v2
	v_addc_co_u32_e32 v3, vcc, v0, v3, vcc
	global_store_dword v[2:3], v1, off
.LBB60_12:
	s_endpgm
	.section	.rodata,"a",@progbits
	.p2align	6, 0x0
	.amdhsa_kernel _ZN9rocsolver6v33100L8set_zeroIfPfEEviiT0_iil13rocblas_fill_
		.amdhsa_group_segment_fixed_size 0
		.amdhsa_private_segment_fixed_size 0
		.amdhsa_kernarg_size 296
		.amdhsa_user_sgpr_count 6
		.amdhsa_user_sgpr_private_segment_buffer 1
		.amdhsa_user_sgpr_dispatch_ptr 0
		.amdhsa_user_sgpr_queue_ptr 0
		.amdhsa_user_sgpr_kernarg_segment_ptr 1
		.amdhsa_user_sgpr_dispatch_id 0
		.amdhsa_user_sgpr_flat_scratch_init 0
		.amdhsa_user_sgpr_kernarg_preload_length 0
		.amdhsa_user_sgpr_kernarg_preload_offset 0
		.amdhsa_user_sgpr_private_segment_size 0
		.amdhsa_uses_dynamic_stack 0
		.amdhsa_system_sgpr_private_segment_wavefront_offset 0
		.amdhsa_system_sgpr_workgroup_id_x 1
		.amdhsa_system_sgpr_workgroup_id_y 1
		.amdhsa_system_sgpr_workgroup_id_z 1
		.amdhsa_system_sgpr_workgroup_info 0
		.amdhsa_system_vgpr_workitem_id 1
		.amdhsa_next_free_vgpr 4
		.amdhsa_next_free_sgpr 9
		.amdhsa_accum_offset 4
		.amdhsa_reserve_vcc 1
		.amdhsa_reserve_flat_scratch 0
		.amdhsa_float_round_mode_32 0
		.amdhsa_float_round_mode_16_64 0
		.amdhsa_float_denorm_mode_32 3
		.amdhsa_float_denorm_mode_16_64 3
		.amdhsa_dx10_clamp 1
		.amdhsa_ieee_mode 1
		.amdhsa_fp16_overflow 0
		.amdhsa_tg_split 0
		.amdhsa_exception_fp_ieee_invalid_op 0
		.amdhsa_exception_fp_denorm_src 0
		.amdhsa_exception_fp_ieee_div_zero 0
		.amdhsa_exception_fp_ieee_overflow 0
		.amdhsa_exception_fp_ieee_underflow 0
		.amdhsa_exception_fp_ieee_inexact 0
		.amdhsa_exception_int_div_zero 0
	.end_amdhsa_kernel
	.section	.text._ZN9rocsolver6v33100L8set_zeroIfPfEEviiT0_iil13rocblas_fill_,"axG",@progbits,_ZN9rocsolver6v33100L8set_zeroIfPfEEviiT0_iil13rocblas_fill_,comdat
.Lfunc_end60:
	.size	_ZN9rocsolver6v33100L8set_zeroIfPfEEviiT0_iil13rocblas_fill_, .Lfunc_end60-_ZN9rocsolver6v33100L8set_zeroIfPfEEviiT0_iil13rocblas_fill_
                                        ; -- End function
	.section	.AMDGPU.csdata,"",@progbits
; Kernel info:
; codeLenInByte = 312
; NumSgprs: 13
; NumVgprs: 4
; NumAgprs: 0
; TotalNumVgprs: 4
; ScratchSize: 0
; MemoryBound: 0
; FloatMode: 240
; IeeeMode: 1
; LDSByteSize: 0 bytes/workgroup (compile time only)
; SGPRBlocks: 1
; VGPRBlocks: 0
; NumSGPRsForWavesPerEU: 13
; NumVGPRsForWavesPerEU: 4
; AccumOffset: 4
; Occupancy: 8
; WaveLimiterHint : 0
; COMPUTE_PGM_RSRC2:SCRATCH_EN: 0
; COMPUTE_PGM_RSRC2:USER_SGPR: 6
; COMPUTE_PGM_RSRC2:TRAP_HANDLER: 0
; COMPUTE_PGM_RSRC2:TGID_X_EN: 1
; COMPUTE_PGM_RSRC2:TGID_Y_EN: 1
; COMPUTE_PGM_RSRC2:TGID_Z_EN: 1
; COMPUTE_PGM_RSRC2:TIDIG_COMP_CNT: 1
; COMPUTE_PGM_RSRC3_GFX90A:ACCUM_OFFSET: 0
; COMPUTE_PGM_RSRC3_GFX90A:TG_SPLIT: 0
	.section	.text._ZN9rocsolver6v33100L14copy_trans_matIffPfS2_NS0_7no_maskEEEv18rocblas_operation_iiT1_iilT2_iilT3_13rocblas_fill_17rocblas_diagonal_,"axG",@progbits,_ZN9rocsolver6v33100L14copy_trans_matIffPfS2_NS0_7no_maskEEEv18rocblas_operation_iiT1_iilT2_iilT3_13rocblas_fill_17rocblas_diagonal_,comdat
	.globl	_ZN9rocsolver6v33100L14copy_trans_matIffPfS2_NS0_7no_maskEEEv18rocblas_operation_iiT1_iilT2_iilT3_13rocblas_fill_17rocblas_diagonal_ ; -- Begin function _ZN9rocsolver6v33100L14copy_trans_matIffPfS2_NS0_7no_maskEEEv18rocblas_operation_iiT1_iilT2_iilT3_13rocblas_fill_17rocblas_diagonal_
	.p2align	8
	.type	_ZN9rocsolver6v33100L14copy_trans_matIffPfS2_NS0_7no_maskEEEv18rocblas_operation_iiT1_iilT2_iilT3_13rocblas_fill_17rocblas_diagonal_,@function
_ZN9rocsolver6v33100L14copy_trans_matIffPfS2_NS0_7no_maskEEEv18rocblas_operation_iiT1_iilT2_iilT3_13rocblas_fill_17rocblas_diagonal_: ; @_ZN9rocsolver6v33100L14copy_trans_matIffPfS2_NS0_7no_maskEEEv18rocblas_operation_iiT1_iilT2_iilT3_13rocblas_fill_17rocblas_diagonal_
; %bb.0:
	s_load_dword s0, s[4:5], 0x5c
	s_load_dwordx4 s[20:23], s[4:5], 0x0
	v_bfe_u32 v1, v0, 10, 10
	v_and_b32_e32 v0, 0x3ff, v0
	s_waitcnt lgkmcnt(0)
	s_lshr_b32 s1, s0, 16
	s_and_b32 s0, s0, 0xffff
	s_mul_i32 s7, s7, s1
	s_mul_i32 s6, s6, s0
	v_add_u32_e32 v2, s7, v1
	v_add_u32_e32 v0, s6, v0
	v_cmp_gt_u32_e32 vcc, s21, v0
	v_cmp_gt_u32_e64 s[0:1], s22, v2
	s_and_b64 s[0:1], s[0:1], vcc
	s_and_saveexec_b64 s[2:3], s[0:1]
	s_cbranch_execz .LBB61_24
; %bb.1:
	s_load_dwordx2 s[2:3], s[4:5], 0x44
	s_waitcnt lgkmcnt(0)
	s_cmpk_lt_i32 s2, 0x7a
	s_cbranch_scc1 .LBB61_4
; %bb.2:
	s_cmpk_gt_i32 s2, 0x7a
	s_cbranch_scc0 .LBB61_5
; %bb.3:
	s_cmpk_lg_i32 s2, 0x7b
	s_mov_b64 s[6:7], -1
	s_cselect_b64 s[10:11], -1, 0
	s_cbranch_execz .LBB61_6
	s_branch .LBB61_7
.LBB61_4:
	s_mov_b64 s[10:11], 0
	s_mov_b64 s[6:7], 0
	s_cbranch_execnz .LBB61_8
	s_branch .LBB61_10
.LBB61_5:
	s_mov_b64 s[6:7], 0
	s_mov_b64 s[10:11], 0
.LBB61_6:
	v_cmp_gt_u32_e32 vcc, v0, v2
	v_cmp_le_u32_e64 s[0:1], v0, v2
	s_andn2_b64 s[6:7], s[6:7], exec
	s_and_b64 s[12:13], vcc, exec
	s_andn2_b64 s[10:11], s[10:11], exec
	s_and_b64 s[0:1], s[0:1], exec
	s_or_b64 s[6:7], s[6:7], s[12:13]
	s_or_b64 s[10:11], s[10:11], s[0:1]
.LBB61_7:
	s_branch .LBB61_10
.LBB61_8:
	s_cmpk_eq_i32 s2, 0x79
	s_mov_b64 s[10:11], -1
	s_cbranch_scc0 .LBB61_10
; %bb.9:
	v_cmp_gt_u32_e32 vcc, v2, v0
	v_cmp_le_u32_e64 s[0:1], v2, v0
	s_andn2_b64 s[6:7], s[6:7], exec
	s_and_b64 s[10:11], vcc, exec
	s_or_b64 s[6:7], s[6:7], s[10:11]
	s_orn2_b64 s[10:11], s[0:1], exec
.LBB61_10:
	s_and_saveexec_b64 s[0:1], s[10:11]
; %bb.11:
	s_cmpk_eq_i32 s3, 0x83
	s_cselect_b64 s[2:3], -1, 0
	v_cmp_eq_u32_e32 vcc, v0, v2
	s_and_b64 s[2:3], s[2:3], vcc
	s_andn2_b64 s[6:7], s[6:7], exec
	s_and_b64 s[2:3], s[2:3], exec
	s_or_b64 s[6:7], s[6:7], s[2:3]
; %bb.12:
	s_or_b64 exec, exec, s[0:1]
	s_and_b64 exec, exec, s[6:7]
	s_cbranch_execz .LBB61_24
; %bb.13:
	s_load_dwordx8 s[12:19], s[4:5], 0x10
	s_waitcnt lgkmcnt(0)
	s_mul_i32 s3, s8, s17
	s_mul_hi_u32 s6, s8, s16
	s_mul_i32 s2, s8, s16
	s_add_i32 s3, s6, s3
	s_ashr_i32 s1, s14, 31
	s_lshl_b64 s[2:3], s[2:3], 2
	s_mov_b32 s0, s14
	s_add_u32 s2, s12, s2
	s_addc_u32 s3, s13, s3
	s_lshl_b64 s[0:1], s[0:1], 2
	s_add_u32 s2, s2, s0
	s_addc_u32 s3, s3, s1
	v_mad_u64_u32 v[4:5], s[0:1], v2, s15, v[0:1]
	v_mov_b32_e32 v5, 0
	v_lshlrev_b64 v[4:5], 2, v[4:5]
	v_mov_b32_e32 v1, s3
	v_add_co_u32_e32 v4, vcc, s2, v4
	v_addc_co_u32_e32 v5, vcc, v1, v5, vcc
	global_load_dword v1, v[4:5], off
	s_load_dwordx2 s[0:1], s[4:5], 0x30
	s_cmpk_lt_i32 s20, 0x71
	s_mov_b64 s[2:3], 0
	s_cbranch_scc1 .LBB61_16
; %bb.14:
	s_cmpk_eq_i32 s20, 0x71
	s_cbranch_scc0 .LBB61_17
; %bb.15:
	s_waitcnt lgkmcnt(0)
	v_mad_u64_u32 v[4:5], s[6:7], v0, s1, v[2:3]
	s_mov_b64 s[6:7], 0
	s_branch .LBB61_18
.LBB61_16:
                                        ; implicit-def: $vgpr4
	s_mov_b64 s[6:7], 0
	s_cbranch_execnz .LBB61_19
	s_branch .LBB61_20
.LBB61_17:
	s_mov_b64 s[6:7], -1
                                        ; implicit-def: $vgpr4
.LBB61_18:
	s_branch .LBB61_20
.LBB61_19:
	s_cmpk_lg_i32 s20, 0x70
	s_mov_b64 s[2:3], -1
	s_cselect_b64 s[6:7], -1, 0
                                        ; implicit-def: $vgpr4
.LBB61_20:
	s_andn2_b64 vcc, exec, s[6:7]
	s_cbranch_vccz .LBB61_25
; %bb.21:
	s_andn2_b64 vcc, exec, s[2:3]
	s_cbranch_vccnz .LBB61_23
.LBB61_22:
	s_waitcnt lgkmcnt(0)
	v_mad_u64_u32 v[4:5], s[2:3], v0, s1, v[2:3]
.LBB61_23:
	s_load_dwordx2 s[2:3], s[4:5], 0x38
	s_waitcnt lgkmcnt(0)
	s_ashr_i32 s1, s0, 31
	v_mov_b32_e32 v5, 0
	v_lshlrev_b64 v[2:3], 2, v[4:5]
	s_mul_i32 s3, s8, s3
	s_mul_hi_u32 s4, s8, s2
	s_mul_i32 s2, s8, s2
	s_add_i32 s3, s4, s3
	s_lshl_b64 s[2:3], s[2:3], 2
	s_add_u32 s2, s18, s2
	s_addc_u32 s3, s19, s3
	s_lshl_b64 s[0:1], s[0:1], 2
	s_add_u32 s0, s2, s0
	s_addc_u32 s1, s3, s1
	v_mov_b32_e32 v0, s1
	v_add_co_u32_e32 v2, vcc, s0, v2
	v_addc_co_u32_e32 v3, vcc, v0, v3, vcc
	s_waitcnt vmcnt(0)
	global_store_dword v[2:3], v1, off
.LBB61_24:
	s_endpgm
.LBB61_25:
	s_waitcnt vmcnt(0) lgkmcnt(0)
	v_mad_u64_u32 v[4:5], s[2:3], v2, s1, v[0:1]
	s_cbranch_execz .LBB61_22
	s_branch .LBB61_23
	.section	.rodata,"a",@progbits
	.p2align	6, 0x0
	.amdhsa_kernel _ZN9rocsolver6v33100L14copy_trans_matIffPfS2_NS0_7no_maskEEEv18rocblas_operation_iiT1_iilT2_iilT3_13rocblas_fill_17rocblas_diagonal_
		.amdhsa_group_segment_fixed_size 0
		.amdhsa_private_segment_fixed_size 0
		.amdhsa_kernarg_size 336
		.amdhsa_user_sgpr_count 6
		.amdhsa_user_sgpr_private_segment_buffer 1
		.amdhsa_user_sgpr_dispatch_ptr 0
		.amdhsa_user_sgpr_queue_ptr 0
		.amdhsa_user_sgpr_kernarg_segment_ptr 1
		.amdhsa_user_sgpr_dispatch_id 0
		.amdhsa_user_sgpr_flat_scratch_init 0
		.amdhsa_user_sgpr_kernarg_preload_length 0
		.amdhsa_user_sgpr_kernarg_preload_offset 0
		.amdhsa_user_sgpr_private_segment_size 0
		.amdhsa_uses_dynamic_stack 0
		.amdhsa_system_sgpr_private_segment_wavefront_offset 0
		.amdhsa_system_sgpr_workgroup_id_x 1
		.amdhsa_system_sgpr_workgroup_id_y 1
		.amdhsa_system_sgpr_workgroup_id_z 1
		.amdhsa_system_sgpr_workgroup_info 0
		.amdhsa_system_vgpr_workitem_id 1
		.amdhsa_next_free_vgpr 6
		.amdhsa_next_free_sgpr 24
		.amdhsa_accum_offset 8
		.amdhsa_reserve_vcc 1
		.amdhsa_reserve_flat_scratch 0
		.amdhsa_float_round_mode_32 0
		.amdhsa_float_round_mode_16_64 0
		.amdhsa_float_denorm_mode_32 3
		.amdhsa_float_denorm_mode_16_64 3
		.amdhsa_dx10_clamp 1
		.amdhsa_ieee_mode 1
		.amdhsa_fp16_overflow 0
		.amdhsa_tg_split 0
		.amdhsa_exception_fp_ieee_invalid_op 0
		.amdhsa_exception_fp_denorm_src 0
		.amdhsa_exception_fp_ieee_div_zero 0
		.amdhsa_exception_fp_ieee_overflow 0
		.amdhsa_exception_fp_ieee_underflow 0
		.amdhsa_exception_fp_ieee_inexact 0
		.amdhsa_exception_int_div_zero 0
	.end_amdhsa_kernel
	.section	.text._ZN9rocsolver6v33100L14copy_trans_matIffPfS2_NS0_7no_maskEEEv18rocblas_operation_iiT1_iilT2_iilT3_13rocblas_fill_17rocblas_diagonal_,"axG",@progbits,_ZN9rocsolver6v33100L14copy_trans_matIffPfS2_NS0_7no_maskEEEv18rocblas_operation_iiT1_iilT2_iilT3_13rocblas_fill_17rocblas_diagonal_,comdat
.Lfunc_end61:
	.size	_ZN9rocsolver6v33100L14copy_trans_matIffPfS2_NS0_7no_maskEEEv18rocblas_operation_iiT1_iilT2_iilT3_13rocblas_fill_17rocblas_diagonal_, .Lfunc_end61-_ZN9rocsolver6v33100L14copy_trans_matIffPfS2_NS0_7no_maskEEEv18rocblas_operation_iiT1_iilT2_iilT3_13rocblas_fill_17rocblas_diagonal_
                                        ; -- End function
	.section	.AMDGPU.csdata,"",@progbits
; Kernel info:
; codeLenInByte = 608
; NumSgprs: 28
; NumVgprs: 6
; NumAgprs: 0
; TotalNumVgprs: 6
; ScratchSize: 0
; MemoryBound: 0
; FloatMode: 240
; IeeeMode: 1
; LDSByteSize: 0 bytes/workgroup (compile time only)
; SGPRBlocks: 3
; VGPRBlocks: 0
; NumSGPRsForWavesPerEU: 28
; NumVGPRsForWavesPerEU: 6
; AccumOffset: 8
; Occupancy: 8
; WaveLimiterHint : 0
; COMPUTE_PGM_RSRC2:SCRATCH_EN: 0
; COMPUTE_PGM_RSRC2:USER_SGPR: 6
; COMPUTE_PGM_RSRC2:TRAP_HANDLER: 0
; COMPUTE_PGM_RSRC2:TGID_X_EN: 1
; COMPUTE_PGM_RSRC2:TGID_Y_EN: 1
; COMPUTE_PGM_RSRC2:TGID_Z_EN: 1
; COMPUTE_PGM_RSRC2:TIDIG_COMP_CNT: 1
; COMPUTE_PGM_RSRC3_GFX90A:ACCUM_OFFSET: 1
; COMPUTE_PGM_RSRC3_GFX90A:TG_SPLIT: 0
	.section	.text._ZN9rocsolver6v33100L16orgl2_init_identIfPfEEviiiT0_iil,"axG",@progbits,_ZN9rocsolver6v33100L16orgl2_init_identIfPfEEviiiT0_iil,comdat
	.globl	_ZN9rocsolver6v33100L16orgl2_init_identIfPfEEviiiT0_iil ; -- Begin function _ZN9rocsolver6v33100L16orgl2_init_identIfPfEEviiiT0_iil
	.p2align	8
	.type	_ZN9rocsolver6v33100L16orgl2_init_identIfPfEEviiiT0_iil,@function
_ZN9rocsolver6v33100L16orgl2_init_identIfPfEEviiiT0_iil: ; @_ZN9rocsolver6v33100L16orgl2_init_identIfPfEEviiiT0_iil
; %bb.0:
	s_load_dword s9, s[4:5], 0x34
	s_load_dwordx4 s[0:3], s[4:5], 0x0
	v_bfe_u32 v1, v0, 10, 10
	v_and_b32_e32 v0, 0x3ff, v0
	s_waitcnt lgkmcnt(0)
	s_lshr_b32 s3, s9, 16
	s_and_b32 s9, s9, 0xffff
	s_mul_i32 s7, s7, s3
	s_mul_i32 s6, s6, s9
	v_add_u32_e32 v2, s7, v1
	v_add_u32_e32 v4, s6, v0
	v_cmp_gt_u32_e32 vcc, s0, v4
	v_cmp_gt_u32_e64 s[0:1], s1, v2
	s_and_b64 s[0:1], vcc, s[0:1]
	s_and_saveexec_b64 s[6:7], s[0:1]
	s_cbranch_execz .LBB62_5
; %bb.1:
	s_load_dwordx2 s[0:1], s[4:5], 0x18
	v_cmp_ne_u32_e32 vcc, v4, v2
	s_mov_b64 s[10:11], 0
                                        ; implicit-def: $vgpr3
                                        ; implicit-def: $vgpr0
	s_and_saveexec_b64 s[6:7], vcc
	s_xor_b64 s[6:7], exec, s[6:7]
	s_cbranch_execnz .LBB62_6
; %bb.2:
	s_andn2_saveexec_b64 s[2:3], s[6:7]
	s_cbranch_execnz .LBB62_13
.LBB62_3:
	s_or_b64 exec, exec, s[2:3]
	s_and_b64 exec, exec, s[10:11]
	s_cbranch_execz .LBB62_5
.LBB62_4:
	s_load_dwordx2 s[2:3], s[4:5], 0x20
	s_load_dwordx2 s[6:7], s[4:5], 0x10
	s_waitcnt lgkmcnt(0)
	s_ashr_i32 s1, s0, 31
	v_mov_b32_e32 v1, 0
	v_lshlrev_b64 v[0:1], 2, v[0:1]
	s_mul_i32 s3, s8, s3
	s_mul_hi_u32 s4, s8, s2
	s_mul_i32 s2, s8, s2
	s_add_i32 s3, s4, s3
	s_lshl_b64 s[2:3], s[2:3], 2
	s_add_u32 s2, s6, s2
	s_addc_u32 s3, s7, s3
	s_lshl_b64 s[0:1], s[0:1], 2
	s_add_u32 s0, s2, s0
	s_addc_u32 s1, s3, s1
	v_mov_b32_e32 v2, s1
	v_add_co_u32_e32 v0, vcc, s0, v0
	v_addc_co_u32_e32 v1, vcc, v2, v1, vcc
	global_store_dword v[0:1], v3, off
.LBB62_5:
	s_endpgm
.LBB62_6:
	v_cmp_ge_u32_e32 vcc, v2, v4
                                        ; implicit-def: $sgpr9
                                        ; implicit-def: $vgpr0
	s_and_saveexec_b64 s[12:13], vcc
	s_xor_b64 s[12:13], exec, s[12:13]
	s_cbranch_execz .LBB62_10
; %bb.7:
	v_cmp_le_u32_e32 vcc, s2, v4
	s_mov_b64 s[2:3], 0
                                        ; implicit-def: $sgpr9
                                        ; implicit-def: $vgpr0
	s_and_saveexec_b64 s[10:11], vcc
	s_xor_b64 s[10:11], exec, s[10:11]
	s_cbranch_execz .LBB62_9
; %bb.8:
	s_mov_b64 s[2:3], exec
	s_waitcnt lgkmcnt(0)
	v_mad_u64_u32 v[0:1], s[14:15], v2, s1, v[4:5]
	s_mov_b32 s9, 0
.LBB62_9:
	s_or_b64 exec, exec, s[10:11]
	s_and_b64 s[10:11], s[2:3], exec
                                        ; implicit-def: $vgpr4
                                        ; implicit-def: $vgpr2
.LBB62_10:
	s_or_saveexec_b64 s[2:3], s[12:13]
	v_mov_b32_e32 v3, s9
	s_xor_b64 exec, exec, s[2:3]
	s_cbranch_execz .LBB62_12
; %bb.11:
	s_waitcnt lgkmcnt(0)
	v_mad_u64_u32 v[0:1], s[12:13], v2, s1, v[4:5]
	v_mov_b32_e32 v3, 0
	s_or_b64 s[10:11], s[10:11], exec
.LBB62_12:
	s_or_b64 exec, exec, s[2:3]
	s_and_b64 s[10:11], s[10:11], exec
                                        ; implicit-def: $vgpr2
	s_andn2_saveexec_b64 s[2:3], s[6:7]
	s_cbranch_execz .LBB62_3
.LBB62_13:
	s_waitcnt lgkmcnt(0)
	v_mad_u64_u32 v[0:1], s[6:7], v2, s1, v[2:3]
	v_mov_b32_e32 v3, 1.0
	s_or_b64 s[10:11], s[10:11], exec
	s_or_b64 exec, exec, s[2:3]
	s_and_b64 exec, exec, s[10:11]
	s_cbranch_execnz .LBB62_4
	s_branch .LBB62_5
	.section	.rodata,"a",@progbits
	.p2align	6, 0x0
	.amdhsa_kernel _ZN9rocsolver6v33100L16orgl2_init_identIfPfEEviiiT0_iil
		.amdhsa_group_segment_fixed_size 0
		.amdhsa_private_segment_fixed_size 0
		.amdhsa_kernarg_size 296
		.amdhsa_user_sgpr_count 6
		.amdhsa_user_sgpr_private_segment_buffer 1
		.amdhsa_user_sgpr_dispatch_ptr 0
		.amdhsa_user_sgpr_queue_ptr 0
		.amdhsa_user_sgpr_kernarg_segment_ptr 1
		.amdhsa_user_sgpr_dispatch_id 0
		.amdhsa_user_sgpr_flat_scratch_init 0
		.amdhsa_user_sgpr_kernarg_preload_length 0
		.amdhsa_user_sgpr_kernarg_preload_offset 0
		.amdhsa_user_sgpr_private_segment_size 0
		.amdhsa_uses_dynamic_stack 0
		.amdhsa_system_sgpr_private_segment_wavefront_offset 0
		.amdhsa_system_sgpr_workgroup_id_x 1
		.amdhsa_system_sgpr_workgroup_id_y 1
		.amdhsa_system_sgpr_workgroup_id_z 1
		.amdhsa_system_sgpr_workgroup_info 0
		.amdhsa_system_vgpr_workitem_id 1
		.amdhsa_next_free_vgpr 6
		.amdhsa_next_free_sgpr 16
		.amdhsa_accum_offset 8
		.amdhsa_reserve_vcc 1
		.amdhsa_reserve_flat_scratch 0
		.amdhsa_float_round_mode_32 0
		.amdhsa_float_round_mode_16_64 0
		.amdhsa_float_denorm_mode_32 3
		.amdhsa_float_denorm_mode_16_64 3
		.amdhsa_dx10_clamp 1
		.amdhsa_ieee_mode 1
		.amdhsa_fp16_overflow 0
		.amdhsa_tg_split 0
		.amdhsa_exception_fp_ieee_invalid_op 0
		.amdhsa_exception_fp_denorm_src 0
		.amdhsa_exception_fp_ieee_div_zero 0
		.amdhsa_exception_fp_ieee_overflow 0
		.amdhsa_exception_fp_ieee_underflow 0
		.amdhsa_exception_fp_ieee_inexact 0
		.amdhsa_exception_int_div_zero 0
	.end_amdhsa_kernel
	.section	.text._ZN9rocsolver6v33100L16orgl2_init_identIfPfEEviiiT0_iil,"axG",@progbits,_ZN9rocsolver6v33100L16orgl2_init_identIfPfEEviiiT0_iil,comdat
.Lfunc_end62:
	.size	_ZN9rocsolver6v33100L16orgl2_init_identIfPfEEviiiT0_iil, .Lfunc_end62-_ZN9rocsolver6v33100L16orgl2_init_identIfPfEEviiiT0_iil
                                        ; -- End function
	.section	.AMDGPU.csdata,"",@progbits
; Kernel info:
; codeLenInByte = 388
; NumSgprs: 20
; NumVgprs: 6
; NumAgprs: 0
; TotalNumVgprs: 6
; ScratchSize: 0
; MemoryBound: 0
; FloatMode: 240
; IeeeMode: 1
; LDSByteSize: 0 bytes/workgroup (compile time only)
; SGPRBlocks: 2
; VGPRBlocks: 0
; NumSGPRsForWavesPerEU: 20
; NumVGPRsForWavesPerEU: 6
; AccumOffset: 8
; Occupancy: 8
; WaveLimiterHint : 0
; COMPUTE_PGM_RSRC2:SCRATCH_EN: 0
; COMPUTE_PGM_RSRC2:USER_SGPR: 6
; COMPUTE_PGM_RSRC2:TRAP_HANDLER: 0
; COMPUTE_PGM_RSRC2:TGID_X_EN: 1
; COMPUTE_PGM_RSRC2:TGID_Y_EN: 1
; COMPUTE_PGM_RSRC2:TGID_Z_EN: 1
; COMPUTE_PGM_RSRC2:TIDIG_COMP_CNT: 1
; COMPUTE_PGM_RSRC3_GFX90A:ACCUM_OFFSET: 1
; COMPUTE_PGM_RSRC3_GFX90A:TG_SPLIT: 0
	.section	.text._ZN9rocsolver6v33100L6iota_nIdEEvPT_jS2_,"axG",@progbits,_ZN9rocsolver6v33100L6iota_nIdEEvPT_jS2_,comdat
	.globl	_ZN9rocsolver6v33100L6iota_nIdEEvPT_jS2_ ; -- Begin function _ZN9rocsolver6v33100L6iota_nIdEEvPT_jS2_
	.p2align	8
	.type	_ZN9rocsolver6v33100L6iota_nIdEEvPT_jS2_,@function
_ZN9rocsolver6v33100L6iota_nIdEEvPT_jS2_: ; @_ZN9rocsolver6v33100L6iota_nIdEEvPT_jS2_
; %bb.0:
	s_load_dword s0, s[4:5], 0x8
	s_waitcnt lgkmcnt(0)
	v_cmp_gt_u32_e32 vcc, s0, v0
	s_and_saveexec_b64 s[0:1], vcc
	s_cbranch_execz .LBB63_2
; %bb.1:
	s_load_dwordx2 s[0:1], s[4:5], 0x10
	s_load_dwordx2 s[2:3], s[4:5], 0x0
	v_lshlrev_b32_e32 v2, 3, v0
	v_cvt_f64_u32_e32 v[0:1], v0
	s_waitcnt lgkmcnt(0)
	v_add_f64 v[0:1], v[0:1], s[0:1]
	global_store_dwordx2 v2, v[0:1], s[2:3]
.LBB63_2:
	s_endpgm
	.section	.rodata,"a",@progbits
	.p2align	6, 0x0
	.amdhsa_kernel _ZN9rocsolver6v33100L6iota_nIdEEvPT_jS2_
		.amdhsa_group_segment_fixed_size 0
		.amdhsa_private_segment_fixed_size 0
		.amdhsa_kernarg_size 24
		.amdhsa_user_sgpr_count 6
		.amdhsa_user_sgpr_private_segment_buffer 1
		.amdhsa_user_sgpr_dispatch_ptr 0
		.amdhsa_user_sgpr_queue_ptr 0
		.amdhsa_user_sgpr_kernarg_segment_ptr 1
		.amdhsa_user_sgpr_dispatch_id 0
		.amdhsa_user_sgpr_flat_scratch_init 0
		.amdhsa_user_sgpr_kernarg_preload_length 0
		.amdhsa_user_sgpr_kernarg_preload_offset 0
		.amdhsa_user_sgpr_private_segment_size 0
		.amdhsa_uses_dynamic_stack 0
		.amdhsa_system_sgpr_private_segment_wavefront_offset 0
		.amdhsa_system_sgpr_workgroup_id_x 1
		.amdhsa_system_sgpr_workgroup_id_y 0
		.amdhsa_system_sgpr_workgroup_id_z 0
		.amdhsa_system_sgpr_workgroup_info 0
		.amdhsa_system_vgpr_workitem_id 0
		.amdhsa_next_free_vgpr 3
		.amdhsa_next_free_sgpr 6
		.amdhsa_accum_offset 4
		.amdhsa_reserve_vcc 1
		.amdhsa_reserve_flat_scratch 0
		.amdhsa_float_round_mode_32 0
		.amdhsa_float_round_mode_16_64 0
		.amdhsa_float_denorm_mode_32 3
		.amdhsa_float_denorm_mode_16_64 3
		.amdhsa_dx10_clamp 1
		.amdhsa_ieee_mode 1
		.amdhsa_fp16_overflow 0
		.amdhsa_tg_split 0
		.amdhsa_exception_fp_ieee_invalid_op 0
		.amdhsa_exception_fp_denorm_src 0
		.amdhsa_exception_fp_ieee_div_zero 0
		.amdhsa_exception_fp_ieee_overflow 0
		.amdhsa_exception_fp_ieee_underflow 0
		.amdhsa_exception_fp_ieee_inexact 0
		.amdhsa_exception_int_div_zero 0
	.end_amdhsa_kernel
	.section	.text._ZN9rocsolver6v33100L6iota_nIdEEvPT_jS2_,"axG",@progbits,_ZN9rocsolver6v33100L6iota_nIdEEvPT_jS2_,comdat
.Lfunc_end63:
	.size	_ZN9rocsolver6v33100L6iota_nIdEEvPT_jS2_, .Lfunc_end63-_ZN9rocsolver6v33100L6iota_nIdEEvPT_jS2_
                                        ; -- End function
	.section	.AMDGPU.csdata,"",@progbits
; Kernel info:
; codeLenInByte = 72
; NumSgprs: 10
; NumVgprs: 3
; NumAgprs: 0
; TotalNumVgprs: 3
; ScratchSize: 0
; MemoryBound: 0
; FloatMode: 240
; IeeeMode: 1
; LDSByteSize: 0 bytes/workgroup (compile time only)
; SGPRBlocks: 1
; VGPRBlocks: 0
; NumSGPRsForWavesPerEU: 10
; NumVGPRsForWavesPerEU: 3
; AccumOffset: 4
; Occupancy: 8
; WaveLimiterHint : 0
; COMPUTE_PGM_RSRC2:SCRATCH_EN: 0
; COMPUTE_PGM_RSRC2:USER_SGPR: 6
; COMPUTE_PGM_RSRC2:TRAP_HANDLER: 0
; COMPUTE_PGM_RSRC2:TGID_X_EN: 1
; COMPUTE_PGM_RSRC2:TGID_Y_EN: 0
; COMPUTE_PGM_RSRC2:TGID_Z_EN: 0
; COMPUTE_PGM_RSRC2:TIDIG_COMP_CNT: 0
; COMPUTE_PGM_RSRC3_GFX90A:ACCUM_OFFSET: 0
; COMPUTE_PGM_RSRC3_GFX90A:TG_SPLIT: 0
	.section	.text._ZN9rocsolver6v33100L16syev_scalar_caseIdPdTnNSt9enable_ifIXnt18rocblas_is_complexIT_EEiE4typeELi0EEEv14rocblas_evect_T0_lPS4_li,"axG",@progbits,_ZN9rocsolver6v33100L16syev_scalar_caseIdPdTnNSt9enable_ifIXnt18rocblas_is_complexIT_EEiE4typeELi0EEEv14rocblas_evect_T0_lPS4_li,comdat
	.globl	_ZN9rocsolver6v33100L16syev_scalar_caseIdPdTnNSt9enable_ifIXnt18rocblas_is_complexIT_EEiE4typeELi0EEEv14rocblas_evect_T0_lPS4_li ; -- Begin function _ZN9rocsolver6v33100L16syev_scalar_caseIdPdTnNSt9enable_ifIXnt18rocblas_is_complexIT_EEiE4typeELi0EEEv14rocblas_evect_T0_lPS4_li
	.p2align	8
	.type	_ZN9rocsolver6v33100L16syev_scalar_caseIdPdTnNSt9enable_ifIXnt18rocblas_is_complexIT_EEiE4typeELi0EEEv14rocblas_evect_T0_lPS4_li,@function
_ZN9rocsolver6v33100L16syev_scalar_caseIdPdTnNSt9enable_ifIXnt18rocblas_is_complexIT_EEiE4typeELi0EEEv14rocblas_evect_T0_lPS4_li: ; @_ZN9rocsolver6v33100L16syev_scalar_caseIdPdTnNSt9enable_ifIXnt18rocblas_is_complexIT_EEiE4typeELi0EEEv14rocblas_evect_T0_lPS4_li
; %bb.0:
	s_load_dword s0, s[4:5], 0x3c
	s_load_dword s1, s[4:5], 0x28
	s_waitcnt lgkmcnt(0)
	s_and_b32 s0, s0, 0xffff
	s_mul_i32 s6, s6, s0
	v_add_u32_e32 v2, s6, v0
	v_cmp_gt_i32_e32 vcc, s1, v2
	s_and_saveexec_b64 s[0:1], vcc
	s_cbranch_execz .LBB64_3
; %bb.1:
	s_load_dwordx8 s[8:15], s[4:5], 0x8
	v_ashrrev_i32_e32 v3, 31, v2
	s_load_dword s2, s[4:5], 0x0
	s_waitcnt lgkmcnt(0)
	v_mul_lo_u32 v4, v2, s11
	v_mul_lo_u32 v5, v3, s10
	v_mad_u64_u32 v[0:1], s[0:1], v2, s10, 0
	v_add3_u32 v1, v1, v4, v5
	v_lshlrev_b64 v[0:1], 3, v[0:1]
	v_mov_b32_e32 v4, s9
	v_add_co_u32_e32 v0, vcc, s8, v0
	v_addc_co_u32_e32 v1, vcc, v4, v1, vcc
	global_load_dwordx2 v[4:5], v[0:1], off
	v_mul_lo_u32 v6, v2, s15
	v_mul_lo_u32 v7, v3, s14
	v_mad_u64_u32 v[2:3], s[0:1], v2, s14, 0
	v_add3_u32 v3, v3, v6, v7
	v_lshlrev_b64 v[2:3], 3, v[2:3]
	v_mov_b32_e32 v6, s13
	v_add_co_u32_e32 v2, vcc, s12, v2
	v_addc_co_u32_e32 v3, vcc, v6, v3, vcc
	s_cmpk_lg_i32 s2, 0xd3
	s_waitcnt vmcnt(0)
	global_store_dwordx2 v[2:3], v[4:5], off
	s_cbranch_scc1 .LBB64_3
; %bb.2:
	v_mov_b32_e32 v2, 0
	v_mov_b32_e32 v3, 0x3ff00000
	global_store_dwordx2 v[0:1], v[2:3], off
.LBB64_3:
	s_endpgm
	.section	.rodata,"a",@progbits
	.p2align	6, 0x0
	.amdhsa_kernel _ZN9rocsolver6v33100L16syev_scalar_caseIdPdTnNSt9enable_ifIXnt18rocblas_is_complexIT_EEiE4typeELi0EEEv14rocblas_evect_T0_lPS4_li
		.amdhsa_group_segment_fixed_size 0
		.amdhsa_private_segment_fixed_size 0
		.amdhsa_kernarg_size 304
		.amdhsa_user_sgpr_count 6
		.amdhsa_user_sgpr_private_segment_buffer 1
		.amdhsa_user_sgpr_dispatch_ptr 0
		.amdhsa_user_sgpr_queue_ptr 0
		.amdhsa_user_sgpr_kernarg_segment_ptr 1
		.amdhsa_user_sgpr_dispatch_id 0
		.amdhsa_user_sgpr_flat_scratch_init 0
		.amdhsa_user_sgpr_kernarg_preload_length 0
		.amdhsa_user_sgpr_kernarg_preload_offset 0
		.amdhsa_user_sgpr_private_segment_size 0
		.amdhsa_uses_dynamic_stack 0
		.amdhsa_system_sgpr_private_segment_wavefront_offset 0
		.amdhsa_system_sgpr_workgroup_id_x 1
		.amdhsa_system_sgpr_workgroup_id_y 0
		.amdhsa_system_sgpr_workgroup_id_z 0
		.amdhsa_system_sgpr_workgroup_info 0
		.amdhsa_system_vgpr_workitem_id 0
		.amdhsa_next_free_vgpr 8
		.amdhsa_next_free_sgpr 16
		.amdhsa_accum_offset 8
		.amdhsa_reserve_vcc 1
		.amdhsa_reserve_flat_scratch 0
		.amdhsa_float_round_mode_32 0
		.amdhsa_float_round_mode_16_64 0
		.amdhsa_float_denorm_mode_32 3
		.amdhsa_float_denorm_mode_16_64 3
		.amdhsa_dx10_clamp 1
		.amdhsa_ieee_mode 1
		.amdhsa_fp16_overflow 0
		.amdhsa_tg_split 0
		.amdhsa_exception_fp_ieee_invalid_op 0
		.amdhsa_exception_fp_denorm_src 0
		.amdhsa_exception_fp_ieee_div_zero 0
		.amdhsa_exception_fp_ieee_overflow 0
		.amdhsa_exception_fp_ieee_underflow 0
		.amdhsa_exception_fp_ieee_inexact 0
		.amdhsa_exception_int_div_zero 0
	.end_amdhsa_kernel
	.section	.text._ZN9rocsolver6v33100L16syev_scalar_caseIdPdTnNSt9enable_ifIXnt18rocblas_is_complexIT_EEiE4typeELi0EEEv14rocblas_evect_T0_lPS4_li,"axG",@progbits,_ZN9rocsolver6v33100L16syev_scalar_caseIdPdTnNSt9enable_ifIXnt18rocblas_is_complexIT_EEiE4typeELi0EEEv14rocblas_evect_T0_lPS4_li,comdat
.Lfunc_end64:
	.size	_ZN9rocsolver6v33100L16syev_scalar_caseIdPdTnNSt9enable_ifIXnt18rocblas_is_complexIT_EEiE4typeELi0EEEv14rocblas_evect_T0_lPS4_li, .Lfunc_end64-_ZN9rocsolver6v33100L16syev_scalar_caseIdPdTnNSt9enable_ifIXnt18rocblas_is_complexIT_EEiE4typeELi0EEEv14rocblas_evect_T0_lPS4_li
                                        ; -- End function
	.section	.AMDGPU.csdata,"",@progbits
; Kernel info:
; codeLenInByte = 228
; NumSgprs: 20
; NumVgprs: 8
; NumAgprs: 0
; TotalNumVgprs: 8
; ScratchSize: 0
; MemoryBound: 0
; FloatMode: 240
; IeeeMode: 1
; LDSByteSize: 0 bytes/workgroup (compile time only)
; SGPRBlocks: 2
; VGPRBlocks: 0
; NumSGPRsForWavesPerEU: 20
; NumVGPRsForWavesPerEU: 8
; AccumOffset: 8
; Occupancy: 8
; WaveLimiterHint : 0
; COMPUTE_PGM_RSRC2:SCRATCH_EN: 0
; COMPUTE_PGM_RSRC2:USER_SGPR: 6
; COMPUTE_PGM_RSRC2:TRAP_HANDLER: 0
; COMPUTE_PGM_RSRC2:TGID_X_EN: 1
; COMPUTE_PGM_RSRC2:TGID_Y_EN: 0
; COMPUTE_PGM_RSRC2:TGID_Z_EN: 0
; COMPUTE_PGM_RSRC2:TIDIG_COMP_CNT: 0
; COMPUTE_PGM_RSRC3_GFX90A:ACCUM_OFFSET: 1
; COMPUTE_PGM_RSRC3_GFX90A:TG_SPLIT: 0
	.section	.text._ZN9rocsolver6v33100L24sytd2_lower_kernel_smallILi256EdidPdEEvT1_T3_lS3_lPT2_lS6_lPT0_l,"axG",@progbits,_ZN9rocsolver6v33100L24sytd2_lower_kernel_smallILi256EdidPdEEvT1_T3_lS3_lPT2_lS6_lPT0_l,comdat
	.globl	_ZN9rocsolver6v33100L24sytd2_lower_kernel_smallILi256EdidPdEEvT1_T3_lS3_lPT2_lS6_lPT0_l ; -- Begin function _ZN9rocsolver6v33100L24sytd2_lower_kernel_smallILi256EdidPdEEvT1_T3_lS3_lPT2_lS6_lPT0_l
	.p2align	8
	.type	_ZN9rocsolver6v33100L24sytd2_lower_kernel_smallILi256EdidPdEEvT1_T3_lS3_lPT2_lS6_lPT0_l,@function
_ZN9rocsolver6v33100L24sytd2_lower_kernel_smallILi256EdidPdEEvT1_T3_lS3_lPT2_lS6_lPT0_l: ; @_ZN9rocsolver6v33100L24sytd2_lower_kernel_smallILi256EdidPdEEvT1_T3_lS3_lPT2_lS6_lPT0_l
; %bb.0:
	s_load_dwordx2 s[8:9], s[4:5], 0x20
	s_load_dword s33, s[4:5], 0x0
	s_load_dwordx4 s[0:3], s[4:5], 0x8
	s_load_dword s38, s[4:5], 0x18
	s_ashr_i32 s6, s7, 31
	s_waitcnt lgkmcnt(0)
	s_mul_i32 s9, s7, s9
	s_mul_hi_u32 s10, s7, s8
	s_add_i32 s9, s10, s9
	s_mul_i32 s10, s6, s8
	s_add_i32 s9, s9, s10
	s_mul_i32 s8, s7, s8
	s_lshl_b64 s[8:9], s[8:9], 3
	s_add_u32 s8, s0, s8
	s_addc_u32 s9, s1, s9
	s_lshl_b64 s[0:1], s[2:3], 3
	s_add_u32 s36, s8, s0
	v_and_b32_e32 v2, 0x7f, v0
	s_addc_u32 s37, s9, s1
	v_cmp_gt_i32_e64 s[0:1], s33, v2
	v_lshrrev_b32_e32 v3, 7, v0
	v_lshlrev_b32_e32 v16, 3, v2
	s_and_saveexec_b64 s[8:9], s[0:1]
	s_cbranch_execz .LBB65_6
; %bb.1:
	v_lshrrev_b32_e32 v1, 7, v0
	v_mul_lo_u32 v4, s33, v1
	v_lshl_add_u32 v4, v4, 3, v16
	v_add3_u32 v8, v4, 0, 8
	v_mad_u64_u32 v[4:5], s[2:3], s38, v1, v[2:3]
	v_cmp_gt_u32_e32 vcc, s33, v1
	s_lshl_b32 s16, s33, 4
	s_lshl_b32 s17, s38, 1
	s_mov_b64 s[10:11], 0
	v_mov_b32_e32 v5, v2
	s_branch .LBB65_3
.LBB65_2:                               ;   in Loop: Header=BB65_3 Depth=1
	s_or_b64 exec, exec, s[12:13]
	v_add_u32_e32 v5, 0x80, v5
	v_cmp_le_i32_e64 s[2:3], s33, v5
	v_add_u32_e32 v8, 0x400, v8
	s_or_b64 s[10:11], s[2:3], s[10:11]
	v_add_u32_e32 v4, 0x80, v4
	s_andn2_b64 exec, exec, s[10:11]
	s_cbranch_execz .LBB65_6
.LBB65_3:                               ; =>This Loop Header: Depth=1
                                        ;     Child Loop BB65_5 Depth 2
	s_and_saveexec_b64 s[12:13], vcc
	s_cbranch_execz .LBB65_2
; %bb.4:                                ;   in Loop: Header=BB65_3 Depth=1
	s_mov_b64 s[14:15], 0
	v_mov_b32_e32 v6, v4
	v_mov_b32_e32 v9, v8
	;; [unrolled: 1-line block ×3, first 2 shown]
.LBB65_5:                               ;   Parent Loop BB65_3 Depth=1
                                        ; =>  This Inner Loop Header: Depth=2
	v_ashrrev_i32_e32 v7, 31, v6
	v_lshlrev_b64 v[12:13], 3, v[6:7]
	v_mov_b32_e32 v11, s37
	v_add_co_u32_e64 v12, s[2:3], s36, v12
	v_addc_co_u32_e64 v13, s[2:3], v11, v13, s[2:3]
	global_load_dwordx2 v[12:13], v[12:13], off
	v_add_u32_e32 v10, 2, v10
	v_cmp_le_i32_e64 s[2:3], s33, v10
	v_add_u32_e32 v6, s17, v6
	s_or_b64 s[14:15], s[2:3], s[14:15]
	s_waitcnt vmcnt(0)
	ds_write_b64 v9, v[12:13]
	v_add_u32_e32 v9, s16, v9
	s_andn2_b64 exec, exec, s[14:15]
	s_cbranch_execnz .LBB65_5
	s_branch .LBB65_2
.LBB65_6:
	s_or_b64 exec, exec, s[8:9]
	s_waitcnt lgkmcnt(0)
	s_barrier
	s_and_saveexec_b64 s[8:9], s[0:1]
	s_cbranch_execz .LBB65_14
; %bb.7:
	v_lshrrev_b32_e32 v1, 7, v0
	v_mul_lo_u32 v4, s33, v2
	v_lshlrev_b32_e32 v5, 3, v1
	v_lshl_add_u32 v4, v4, 3, v5
	v_mul_lo_u32 v5, s33, v1
	v_lshl_add_u32 v5, v5, 3, v16
	v_cmp_gt_u32_e32 vcc, s33, v1
	v_add3_u32 v4, v4, 0, 8
	s_lshl_b32 s18, s33, 10
	v_add3_u32 v5, v5, 0, 8
	s_lshl_b32 s19, s33, 4
	s_mov_b64 s[10:11], 0
	v_mov_b32_e32 v6, v2
	s_branch .LBB65_9
.LBB65_8:                               ;   in Loop: Header=BB65_9 Depth=1
	s_or_b64 exec, exec, s[12:13]
	v_add_u32_e32 v6, 0x80, v6
	v_cmp_le_i32_e64 s[2:3], s33, v6
	v_add_u32_e32 v4, s18, v4
	s_or_b64 s[10:11], s[2:3], s[10:11]
	v_add_u32_e32 v5, 0x400, v5
	s_andn2_b64 exec, exec, s[10:11]
	s_cbranch_execz .LBB65_14
.LBB65_9:                               ; =>This Loop Header: Depth=1
                                        ;     Child Loop BB65_12 Depth 2
	s_and_saveexec_b64 s[12:13], vcc
	s_cbranch_execz .LBB65_8
; %bb.10:                               ;   in Loop: Header=BB65_9 Depth=1
	s_mov_b64 s[14:15], 0
	v_mov_b32_e32 v7, v5
	v_mov_b32_e32 v8, v4
	v_mov_b32_e32 v9, v1
	s_branch .LBB65_12
.LBB65_11:                              ;   in Loop: Header=BB65_12 Depth=2
	s_or_b64 exec, exec, s[16:17]
	v_add_u32_e32 v9, 2, v9
	v_cmp_le_i32_e64 s[2:3], s33, v9
	v_add_u32_e32 v8, 16, v8
	s_or_b64 s[14:15], s[2:3], s[14:15]
	v_add_u32_e32 v7, s19, v7
	s_andn2_b64 exec, exec, s[14:15]
	s_cbranch_execz .LBB65_8
.LBB65_12:                              ;   Parent Loop BB65_9 Depth=1
                                        ; =>  This Inner Loop Header: Depth=2
	v_cmp_lt_u32_e64 s[2:3], v6, v9
	s_and_saveexec_b64 s[16:17], s[2:3]
	s_cbranch_execz .LBB65_11
; %bb.13:                               ;   in Loop: Header=BB65_12 Depth=2
	ds_read_b64 v[10:11], v8
	s_waitcnt lgkmcnt(0)
	ds_write_b64 v7, v[10:11]
	s_branch .LBB65_11
.LBB65_14:
	s_or_b64 exec, exec, s[8:9]
	s_cmp_lt_i32 s33, 2
	s_waitcnt lgkmcnt(0)
	s_barrier
	s_cbranch_scc1 .LBB65_64
; %bb.15:
	s_load_dwordx8 s[8:15], s[4:5], 0x38
	v_mbcnt_lo_u32_b32 v1, -1, 0
	v_mbcnt_hi_u32_b32 v4, -1, v1
	v_and_b32_e32 v5, 63, v4
	v_cmp_ne_u32_e32 vcc, 63, v5
	s_waitcnt lgkmcnt(0)
	s_mul_i32 s3, s7, s11
	s_mul_hi_u32 s4, s7, s10
	s_mul_i32 s5, s6, s10
	s_add_i32 s3, s4, s3
	s_mul_i32 s2, s7, s10
	s_add_i32 s3, s3, s5
	s_lshl_b64 s[2:3], s[2:3], 3
	v_addc_co_u32_e32 v1, vcc, 0, v4, vcc
	s_mul_i32 s10, s7, s15
	s_add_u32 s39, s8, s2
	s_mul_hi_u32 s2, s7, s14
	v_cmp_gt_u32_e32 vcc, 62, v5
	s_addc_u32 s40, s9, s3
	s_add_i32 s2, s2, s10
	s_mul_i32 s3, s6, s14
	v_cndmask_b32_e64 v6, 0, 1, vcc
	s_add_i32 s3, s2, s3
	s_mul_i32 s2, s7, s14
	v_lshlrev_b32_e32 v6, 1, v6
	v_cmp_gt_u32_e32 vcc, 60, v5
	s_lshl_b64 s[2:3], s[2:3], 3
	v_add_lshl_u32 v17, v6, v4, 2
	v_cndmask_b32_e64 v6, 0, 1, vcc
	s_add_u32 s41, s12, s2
	s_mul_i32 s2, s33, s33
	v_lshlrev_b32_e32 v6, 2, v6
	v_cmp_gt_u32_e32 vcc, 56, v5
	s_addc_u32 s42, s13, s3
	s_lshl_b32 s2, s2, 3
	v_add_lshl_u32 v18, v6, v4, 2
	v_cndmask_b32_e64 v6, 0, 1, vcc
	s_add_i32 s6, s2, 0
	s_lshl_b32 s44, s33, 3
	v_lshlrev_b32_e32 v6, 3, v6
	v_cmp_gt_u32_e32 vcc, 48, v5
	s_add_i32 s47, s6, s44
	v_add_lshl_u32 v19, v6, v4, 2
	v_cndmask_b32_e64 v6, 0, 1, vcc
	v_cmp_gt_u32_e32 vcc, 32, v5
	s_add_i32 s43, s6, 8
	s_add_i32 s45, s47, s44
	v_cndmask_b32_e64 v5, 0, 1, vcc
	v_lshlrev_b32_e32 v5, 5, v5
	s_cmp_eq_u64 s[8:9], 0
	v_lshlrev_b32_e32 v6, 4, v6
	v_add_lshl_u32 v21, v5, v4, 2
	s_cselect_b64 s[12:13], -1, 0
	s_cmp_lg_u64 s[8:9], 0
	v_lshlrev_b32_e32 v5, 3, v0
	v_add_lshl_u32 v20, v6, v4, 2
	s_cselect_b64 s[14:15], -1, 0
	v_add_u32_e32 v6, s6, v5
	v_add_u32_e32 v7, 16, v5
	s_add_i32 s48, s44, 8
	s_add_i32 s6, s44, 0
	v_and_b32_e32 v4, 63, v0
	v_add_u32_e32 v25, s6, v7
	s_mul_i32 s6, s33, s48
	s_mov_b32 s11, 0
	v_cmp_eq_u32_e64 s[2:3], 0, v4
	v_lshrrev_b32_e32 v4, 3, v0
	s_add_i32 s6, s6, 0
	s_mov_b32 s16, 0
	v_lshlrev_b32_e32 v1, 2, v1
	v_cmp_eq_u32_e64 s[4:5], 0, v0
	s_add_i32 s46, s33, -2
	s_add_i32 s47, s47, 8
	v_add_u32_e32 v22, 8, v6
	v_add_u32_e32 v23, 0, v7
	;; [unrolled: 1-line block ×3, first 2 shown]
	v_add3_u32 v26, s6, v5, 8
	v_add_u32_e32 v27, s45, v4
	s_brev_b32 s17, 8
	v_mov_b32_e32 v28, 0x260
	v_mov_b32_e32 v4, 0
	;; [unrolled: 1-line block ×3, first 2 shown]
	s_mov_b32 s10, s11
	s_branch .LBB65_17
.LBB65_16:                              ;   in Loop: Header=BB65_17 Depth=1
	s_or_b64 exec, exec, s[8:9]
	s_add_i32 s6, s10, 1
	v_add_u32_e32 v23, s48, v23
	v_add_u32_e32 v25, s48, v25
	s_cmp_eq_u32 s10, s46
	s_mov_b32 s10, s6
	s_waitcnt lgkmcnt(0)
	s_barrier
	s_cbranch_scc1 .LBB65_64
.LBB65_17:                              ; =>This Loop Header: Depth=1
                                        ;     Child Loop BB65_19 Depth 2
                                        ;     Child Loop BB65_22 Depth 2
	;; [unrolled: 1-line block ×4, first 2 shown]
                                        ;       Child Loop BB65_44 Depth 3
                                        ;     Child Loop BB65_47 Depth 2
                                        ;     Child Loop BB65_50 Depth 2
	;; [unrolled: 1-line block ×4, first 2 shown]
                                        ;       Child Loop BB65_62 Depth 3
	s_not_b32 s49, s10
	s_add_i32 s49, s49, s33
	v_cmp_gt_i32_e64 s[6:7], s49, v0
	s_and_saveexec_b64 s[8:9], s[6:7]
	s_cbranch_execz .LBB65_20
; %bb.18:                               ;   in Loop: Header=BB65_17 Depth=1
	s_mov_b64 s[18:19], 0
	v_mov_b32_e32 v5, v23
	v_mov_b32_e32 v6, v22
	;; [unrolled: 1-line block ×3, first 2 shown]
.LBB65_19:                              ;   Parent Loop BB65_17 Depth=1
                                        ; =>  This Inner Loop Header: Depth=2
	ds_read_b64 v[8:9], v5
	v_add_u32_e32 v7, 0x100, v7
	v_cmp_le_i32_e32 vcc, s49, v7
	v_add_u32_e32 v5, 0x800, v5
	s_or_b64 s[18:19], vcc, s[18:19]
	s_waitcnt lgkmcnt(0)
	ds_write_b64 v6, v[8:9]
	v_add_u32_e32 v6, 0x800, v6
	s_andn2_b64 exec, exec, s[18:19]
	s_cbranch_execnz .LBB65_19
.LBB65_20:                              ;   in Loop: Header=BB65_17 Depth=1
	s_or_b64 exec, exec, s[8:9]
	s_add_i32 s50, s49, -1
	v_cmp_gt_i32_e64 s[8:9], s50, v0
	v_pk_mov_b32 v[6:7], 0, 0
	s_waitcnt lgkmcnt(0)
	s_barrier
	s_and_saveexec_b64 s[18:19], s[8:9]
	s_cbranch_execz .LBB65_24
; %bb.21:                               ;   in Loop: Header=BB65_17 Depth=1
	s_mov_b64 s[20:21], 0
	v_pk_mov_b32 v[6:7], 0, 0
	v_mov_b32_e32 v5, v24
	v_mov_b32_e32 v8, v0
.LBB65_22:                              ;   Parent Loop BB65_17 Depth=1
                                        ; =>  This Inner Loop Header: Depth=2
	ds_read_b64 v[10:11], v5
	v_add_u32_e32 v8, 0x100, v8
	v_cmp_le_i32_e32 vcc, s50, v8
	v_add_u32_e32 v5, 0x800, v5
	s_or_b64 s[20:21], vcc, s[20:21]
	s_waitcnt lgkmcnt(0)
	v_mul_f64 v[10:11], v[10:11], v[10:11]
	v_add_f64 v[6:7], v[6:7], v[10:11]
	s_andn2_b64 exec, exec, s[20:21]
	s_cbranch_execnz .LBB65_22
; %bb.23:                               ;   in Loop: Header=BB65_17 Depth=1
	s_or_b64 exec, exec, s[20:21]
.LBB65_24:                              ;   in Loop: Header=BB65_17 Depth=1
	s_or_b64 exec, exec, s[18:19]
	ds_bpermute_b32 v8, v1, v6
	ds_bpermute_b32 v9, v1, v7
	s_waitcnt lgkmcnt(0)
	v_add_f64 v[6:7], v[6:7], v[8:9]
	ds_bpermute_b32 v8, v17, v6
	ds_bpermute_b32 v9, v17, v7
	s_waitcnt lgkmcnt(0)
	v_add_f64 v[6:7], v[6:7], v[8:9]
	ds_bpermute_b32 v8, v18, v6
	ds_bpermute_b32 v9, v18, v7
	s_waitcnt lgkmcnt(0)
	v_add_f64 v[6:7], v[6:7], v[8:9]
	ds_bpermute_b32 v8, v19, v6
	ds_bpermute_b32 v9, v19, v7
	s_waitcnt lgkmcnt(0)
	v_add_f64 v[6:7], v[6:7], v[8:9]
	ds_bpermute_b32 v8, v20, v6
	ds_bpermute_b32 v9, v20, v7
	s_waitcnt lgkmcnt(0)
	v_add_f64 v[6:7], v[6:7], v[8:9]
	ds_bpermute_b32 v8, v21, v6
	ds_bpermute_b32 v9, v21, v7
	s_waitcnt lgkmcnt(0)
	v_add_f64 v[6:7], v[6:7], v[8:9]
	s_and_saveexec_b64 s[18:19], s[2:3]
	s_cbranch_execz .LBB65_26
; %bb.25:                               ;   in Loop: Header=BB65_17 Depth=1
	ds_write_b64 v27, v[6:7] offset:8
.LBB65_26:                              ;   in Loop: Header=BB65_17 Depth=1
	s_or_b64 exec, exec, s[18:19]
	s_waitcnt lgkmcnt(0)
	s_barrier
	s_and_saveexec_b64 s[18:19], s[4:5]
	s_cbranch_execz .LBB65_38
; %bb.27:                               ;   in Loop: Header=BB65_17 Depth=1
	v_mov_b32_e32 v5, s45
	ds_read2_b64 v[8:11], v5 offset0:2 offset1:3
	ds_read_b64 v[12:13], v5 offset:32
	s_mov_b64 s[26:27], 0
	s_mov_b64 s[24:25], 0
                                        ; implicit-def: $sgpr22_sgpr23
                                        ; implicit-def: $sgpr20_sgpr21
                                        ; implicit-def: $sgpr34_sgpr35
                                        ; implicit-def: $sgpr30_sgpr31
	s_waitcnt lgkmcnt(1)
	v_add_f64 v[6:7], v[6:7], v[8:9]
	v_add_f64 v[6:7], v[6:7], v[10:11]
	s_waitcnt lgkmcnt(0)
	v_add_f64 v[12:13], v[6:7], v[12:13]
	v_cmp_nlt_f64_e32 vcc, 0, v[12:13]
                                        ; implicit-def: $vgpr6_vgpr7
	s_and_saveexec_b64 s[28:29], vcc
	s_xor_b64 s[28:29], exec, s[28:29]
	s_cbranch_execz .LBB65_31
; %bb.28:                               ;   in Loop: Header=BB65_17 Depth=1
	v_mov_b32_e32 v5, v4
	s_mov_b64 s[20:21], 0
	s_and_b64 vcc, exec, s[14:15]
	ds_write_b64 v4, v[4:5]
                                        ; implicit-def: $vgpr6_vgpr7
                                        ; implicit-def: $sgpr34_sgpr35
                                        ; implicit-def: $sgpr30_sgpr31
	s_cbranch_vccz .LBB65_30
; %bb.29:                               ;   in Loop: Header=BB65_17 Depth=1
	v_mov_b32_e32 v5, s43
	ds_read_b64 v[6:7], v5
	s_mov_b64 s[24:25], -1
	s_mov_b64 s[30:31], 0
	s_mov_b64 s[34:35], 1.0
.LBB65_30:                              ;   in Loop: Header=BB65_17 Depth=1
	s_mov_b64 s[22:23], 1.0
	s_and_b64 s[24:25], s[24:25], exec
                                        ; implicit-def: $vgpr12_vgpr13
.LBB65_31:                              ;   in Loop: Header=BB65_17 Depth=1
	s_or_saveexec_b64 s[28:29], s[28:29]
	v_pk_mov_b32 v[8:9], s[34:35], s[34:35] op_sel:[0,1]
	v_pk_mov_b32 v[10:11], s[30:31], s[30:31] op_sel:[0,1]
	s_xor_b64 exec, exec, s[28:29]
	s_cbranch_execz .LBB65_33
; %bb.32:                               ;   in Loop: Header=BB65_17 Depth=1
	v_mov_b32_e32 v5, s43
	ds_read_b64 v[8:9], v5
	s_andn2_b64 s[24:25], s[24:25], exec
	s_and_b64 s[30:31], s[14:15], exec
	s_or_b64 s[24:25], s[24:25], s[30:31]
	s_waitcnt lgkmcnt(0)
	v_fmac_f64_e32 v[12:13], v[8:9], v[8:9]
	v_cmp_gt_f64_e32 vcc, s[16:17], v[12:13]
	v_cndmask_b32_e64 v5, 0, 1, vcc
	v_lshlrev_b32_e32 v5, 8, v5
	v_ldexp_f64 v[6:7], v[12:13], v5
	v_rsq_f64_e32 v[10:11], v[6:7]
	v_cndmask_b32_e32 v5, 0, v29, vcc
	v_cmp_class_f64_e32 vcc, v[6:7], v28
	v_mul_f64 v[12:13], v[6:7], v[10:11]
	v_mul_f64 v[10:11], v[10:11], 0.5
	v_fma_f64 v[14:15], -v[10:11], v[12:13], 0.5
	v_fmac_f64_e32 v[12:13], v[12:13], v[14:15]
	v_fmac_f64_e32 v[10:11], v[10:11], v[14:15]
	v_fma_f64 v[14:15], -v[12:13], v[12:13], v[6:7]
	v_fmac_f64_e32 v[12:13], v[14:15], v[10:11]
	v_fma_f64 v[14:15], -v[12:13], v[12:13], v[6:7]
	v_fmac_f64_e32 v[12:13], v[14:15], v[10:11]
	v_ldexp_f64 v[10:11], v[12:13], v5
	v_cndmask_b32_e32 v5, v11, v7, vcc
	v_cndmask_b32_e32 v6, v10, v6, vcc
	v_xor_b32_e32 v7, 0x80000000, v5
	v_cmp_le_f64_e32 vcc, 0, v[8:9]
	v_cndmask_b32_e32 v7, v5, v7, vcc
	v_add_f64 v[10:11], v[8:9], -v[6:7]
	v_div_scale_f64 v[12:13], s[26:27], v[10:11], v[10:11], 1.0
	v_rcp_f64_e32 v[14:15], v[12:13]
	v_div_scale_f64 v[30:31], vcc, 1.0, v[10:11], 1.0
	v_fma_f64 v[32:33], -v[12:13], v[14:15], 1.0
	v_fmac_f64_e32 v[14:15], v[14:15], v[32:33]
	v_fma_f64 v[32:33], -v[12:13], v[14:15], 1.0
	v_fmac_f64_e32 v[14:15], v[14:15], v[32:33]
	v_mul_f64 v[32:33], v[30:31], v[14:15]
	v_fma_f64 v[12:13], -v[12:13], v[32:33], v[30:31]
	v_add_f64 v[30:31], v[6:7], -v[8:9]
	v_div_scale_f64 v[34:35], s[26:27], v[6:7], v[6:7], v[30:31]
	v_rcp_f64_e32 v[36:37], v[34:35]
	v_div_fmas_f64 v[8:9], v[12:13], v[14:15], v[32:33]
	v_div_fixup_f64 v[8:9], v[8:9], v[10:11], 1.0
	s_and_b64 s[26:27], s[12:13], exec
	v_fma_f64 v[10:11], -v[34:35], v[36:37], 1.0
	v_fmac_f64_e32 v[36:37], v[36:37], v[10:11]
	v_fma_f64 v[10:11], -v[34:35], v[36:37], 1.0
	v_fmac_f64_e32 v[36:37], v[36:37], v[10:11]
	v_div_scale_f64 v[10:11], vcc, v[30:31], v[6:7], v[30:31]
	v_mul_f64 v[12:13], v[10:11], v[36:37]
	v_fma_f64 v[10:11], -v[34:35], v[12:13], v[10:11]
	s_nop 1
	v_div_fmas_f64 v[10:11], v[10:11], v[36:37], v[12:13]
	v_div_fixup_f64 v[10:11], v[10:11], v[6:7], v[30:31]
	ds_write_b64 v4, v[10:11]
.LBB65_33:                              ;   in Loop: Header=BB65_17 Depth=1
	s_or_b64 exec, exec, s[28:29]
	s_and_saveexec_b64 s[28:29], s[24:25]
	s_cbranch_execz .LBB65_35
; %bb.34:                               ;   in Loop: Header=BB65_17 Depth=1
	s_lshl_b64 s[24:25], s[10:11], 3
	s_add_u32 s24, s39, s24
	s_addc_u32 s25, s40, s25
	s_waitcnt lgkmcnt(0)
	global_store_dwordx2 v4, v[6:7], s[24:25]
	v_mov_b32_e32 v6, 0
	v_mov_b32_e32 v7, 0x3ff00000
	s_or_b64 s[26:27], s[26:27], exec
.LBB65_35:                              ;   in Loop: Header=BB65_17 Depth=1
	s_or_b64 exec, exec, s[28:29]
	v_pk_mov_b32 v[12:13], s[20:21], s[20:21] op_sel:[0,1]
	v_pk_mov_b32 v[14:15], s[22:23], s[22:23] op_sel:[0,1]
	s_and_saveexec_b64 s[20:21], s[26:27]
	s_cbranch_execz .LBB65_37
; %bb.36:                               ;   in Loop: Header=BB65_17 Depth=1
	v_mov_b32_e32 v5, s43
	v_pk_mov_b32 v[12:13], v[10:11], v[10:11] op_sel:[0,1]
	v_pk_mov_b32 v[14:15], v[8:9], v[8:9] op_sel:[0,1]
	s_waitcnt lgkmcnt(0)
	ds_write_b64 v5, v[6:7]
.LBB65_37:                              ;   in Loop: Header=BB65_17 Depth=1
	s_or_b64 exec, exec, s[20:21]
	s_lshl_b64 s[20:21], s[10:11], 3
	s_add_u32 s20, s41, s20
	s_addc_u32 s21, s42, s21
	v_mov_b32_e32 v5, s45
	global_store_dwordx2 v4, v[12:13], s[20:21]
	ds_write_b64 v5, v[14:15] offset:8
.LBB65_38:                              ;   in Loop: Header=BB65_17 Depth=1
	s_or_b64 exec, exec, s[18:19]
	s_waitcnt lgkmcnt(0)
	s_barrier
	s_and_saveexec_b64 s[18:19], s[8:9]
	s_cbranch_execz .LBB65_41
; %bb.39:                               ;   in Loop: Header=BB65_17 Depth=1
	s_mov_b64 s[8:9], 0
	v_mov_b32_e32 v5, v24
	v_mov_b32_e32 v6, v0
.LBB65_40:                              ;   Parent Loop BB65_17 Depth=1
                                        ; =>  This Inner Loop Header: Depth=2
	v_mov_b32_e32 v7, s45
	ds_read_b64 v[8:9], v5
	ds_read_b64 v[10:11], v7 offset:8
	v_add_u32_e32 v6, 0x100, v6
	v_cmp_le_i32_e32 vcc, s50, v6
	s_or_b64 s[8:9], vcc, s[8:9]
	s_waitcnt lgkmcnt(0)
	v_mul_f64 v[8:9], v[10:11], v[8:9]
	ds_write_b64 v5, v[8:9]
	v_add_u32_e32 v5, 0x800, v5
	s_andn2_b64 exec, exec, s[8:9]
	s_cbranch_execnz .LBB65_40
.LBB65_41:                              ;   in Loop: Header=BB65_17 Depth=1
	s_or_b64 exec, exec, s[18:19]
	s_waitcnt lgkmcnt(0)
	s_barrier
	s_and_saveexec_b64 s[8:9], s[6:7]
	s_cbranch_execz .LBB65_48
; %bb.42:                               ;   in Loop: Header=BB65_17 Depth=1
	s_mov_b64 s[18:19], 0
	v_mov_b32_e32 v5, v25
	v_mov_b32_e32 v8, v0
.LBB65_43:                              ;   Parent Loop BB65_17 Depth=1
                                        ; =>  This Loop Header: Depth=2
                                        ;       Child Loop BB65_44 Depth 3
	s_mov_b32 s20, 0
	v_pk_mov_b32 v[6:7], 0, 0
	v_mov_b32_e32 v9, v5
	s_mov_b32 s21, s43
.LBB65_44:                              ;   Parent Loop BB65_17 Depth=1
                                        ;     Parent Loop BB65_43 Depth=2
                                        ; =>    This Inner Loop Header: Depth=3
	v_mov_b32_e32 v12, s21
	ds_read_b64 v[10:11], v9
	ds_read_b64 v[12:13], v12
	s_add_i32 s20, s20, 1
	s_add_i32 s21, s21, 8
	v_add_u32_e32 v9, s44, v9
	s_cmp_ge_i32 s20, s49
	s_waitcnt lgkmcnt(0)
	v_fmac_f64_e32 v[6:7], v[10:11], v[12:13]
	s_cbranch_scc0 .LBB65_44
; %bb.45:                               ;   in Loop: Header=BB65_43 Depth=2
	ds_read_b64 v[10:11], v4
	v_lshl_add_u32 v9, v8, 3, s47
	v_add_u32_e32 v8, 0x100, v8
	v_cmp_le_i32_e32 vcc, s49, v8
	s_or_b64 s[18:19], vcc, s[18:19]
	s_waitcnt lgkmcnt(0)
	v_mul_f64 v[6:7], v[6:7], v[10:11]
	v_add_u32_e32 v5, 0x800, v5
	ds_write_b64 v9, v[6:7]
	s_andn2_b64 exec, exec, s[18:19]
	s_cbranch_execnz .LBB65_43
; %bb.46:                               ;   in Loop: Header=BB65_17 Depth=1
	s_or_b64 exec, exec, s[18:19]
	s_mov_b32 s20, 0
	s_mov_b64 s[18:19], 0
	v_mov_b32_e32 v5, v0
.LBB65_47:                              ;   Parent Loop BB65_17 Depth=1
                                        ; =>  This Inner Loop Header: Depth=2
	v_add_u32_e32 v6, s20, v22
	ds_read_b64 v[6:7], v6
	v_add_u32_e32 v5, 0x100, v5
	v_add_u32_e32 v8, s20, v23
	s_addk_i32 s20, 0x800
	v_cmp_le_i32_e32 vcc, s49, v5
	s_or_b64 s[18:19], vcc, s[18:19]
	s_waitcnt lgkmcnt(0)
	ds_write_b64 v8, v[6:7]
	s_andn2_b64 exec, exec, s[18:19]
	s_cbranch_execnz .LBB65_47
.LBB65_48:                              ;   in Loop: Header=BB65_17 Depth=1
	s_or_b64 exec, exec, s[8:9]
	v_pk_mov_b32 v[6:7], 0, 0
	s_waitcnt lgkmcnt(0)
	s_barrier
	s_and_saveexec_b64 s[8:9], s[6:7]
	s_cbranch_execz .LBB65_52
; %bb.49:                               ;   in Loop: Header=BB65_17 Depth=1
	s_mov_b64 s[18:19], 0
	v_pk_mov_b32 v[6:7], 0, 0
	v_mov_b32_e32 v5, v22
	v_mov_b32_e32 v8, v26
	;; [unrolled: 1-line block ×3, first 2 shown]
.LBB65_50:                              ;   Parent Loop BB65_17 Depth=1
                                        ; =>  This Inner Loop Header: Depth=2
	ds_read_b64 v[10:11], v5
	ds_read_b64 v[12:13], v8
	v_add_u32_e32 v9, 0x100, v9
	v_cmp_le_i32_e32 vcc, s49, v9
	v_add_u32_e32 v8, 0x800, v8
	v_add_u32_e32 v5, 0x800, v5
	s_waitcnt lgkmcnt(0)
	v_mul_f64 v[10:11], v[10:11], v[12:13]
	s_or_b64 s[18:19], vcc, s[18:19]
	v_add_f64 v[6:7], v[6:7], v[10:11]
	s_andn2_b64 exec, exec, s[18:19]
	s_cbranch_execnz .LBB65_50
; %bb.51:                               ;   in Loop: Header=BB65_17 Depth=1
	s_or_b64 exec, exec, s[18:19]
.LBB65_52:                              ;   in Loop: Header=BB65_17 Depth=1
	s_or_b64 exec, exec, s[8:9]
	ds_bpermute_b32 v8, v1, v6
	ds_bpermute_b32 v9, v1, v7
	s_waitcnt lgkmcnt(0)
	v_add_f64 v[6:7], v[6:7], v[8:9]
	ds_bpermute_b32 v8, v17, v6
	ds_bpermute_b32 v9, v17, v7
	s_waitcnt lgkmcnt(0)
	v_add_f64 v[6:7], v[6:7], v[8:9]
	;; [unrolled: 4-line block ×6, first 2 shown]
	s_and_saveexec_b64 s[8:9], s[2:3]
	s_cbranch_execz .LBB65_54
; %bb.53:                               ;   in Loop: Header=BB65_17 Depth=1
	ds_write_b64 v27, v[6:7] offset:8
.LBB65_54:                              ;   in Loop: Header=BB65_17 Depth=1
	s_or_b64 exec, exec, s[8:9]
	s_waitcnt lgkmcnt(0)
	s_barrier
	s_and_saveexec_b64 s[8:9], s[4:5]
	s_cbranch_execz .LBB65_56
; %bb.55:                               ;   in Loop: Header=BB65_17 Depth=1
	v_mov_b32_e32 v5, s45
	ds_read2_b64 v[8:11], v5 offset0:2 offset1:3
	ds_read_b64 v[12:13], v5 offset:32
	ds_read_b64 v[14:15], v4
	s_waitcnt lgkmcnt(2)
	v_add_f64 v[6:7], v[6:7], v[8:9]
	v_add_f64 v[6:7], v[6:7], v[10:11]
	s_waitcnt lgkmcnt(1)
	v_add_f64 v[6:7], v[6:7], v[12:13]
	s_waitcnt lgkmcnt(0)
	v_mul_f64 v[8:9], v[14:15], -0.5
	v_mul_f64 v[6:7], v[6:7], v[8:9]
	ds_write_b64 v5, v[6:7] offset:8
.LBB65_56:                              ;   in Loop: Header=BB65_17 Depth=1
	s_or_b64 exec, exec, s[8:9]
	s_waitcnt lgkmcnt(0)
	s_barrier
	s_and_saveexec_b64 s[8:9], s[6:7]
	s_cbranch_execz .LBB65_59
; %bb.57:                               ;   in Loop: Header=BB65_17 Depth=1
	s_mov_b64 s[18:19], 0
	v_mov_b32_e32 v5, v22
	v_mov_b32_e32 v6, v26
	v_mov_b32_e32 v7, v0
.LBB65_58:                              ;   Parent Loop BB65_17 Depth=1
                                        ; =>  This Inner Loop Header: Depth=2
	v_mov_b32_e32 v12, s45
	ds_read_b64 v[8:9], v5
	ds_read_b64 v[10:11], v6
	ds_read_b64 v[12:13], v12 offset:8
	v_add_u32_e32 v7, 0x100, v7
	v_cmp_le_i32_e32 vcc, s49, v7
	s_or_b64 s[18:19], vcc, s[18:19]
	v_add_u32_e32 v5, 0x800, v5
	s_waitcnt lgkmcnt(0)
	v_fmac_f64_e32 v[10:11], v[12:13], v[8:9]
	ds_write_b64 v6, v[10:11]
	v_add_u32_e32 v6, 0x800, v6
	s_andn2_b64 exec, exec, s[18:19]
	s_cbranch_execnz .LBB65_58
.LBB65_59:                              ;   in Loop: Header=BB65_17 Depth=1
	s_or_b64 exec, exec, s[8:9]
	s_waitcnt lgkmcnt(0)
	s_barrier
	s_and_saveexec_b64 s[8:9], s[6:7]
	s_cbranch_execz .LBB65_16
; %bb.60:                               ;   in Loop: Header=BB65_17 Depth=1
	s_mov_b64 s[6:7], 0
	v_mov_b32_e32 v5, v25
	v_mov_b32_e32 v6, v0
.LBB65_61:                              ;   Parent Loop BB65_17 Depth=1
                                        ; =>  This Loop Header: Depth=2
                                        ;       Child Loop BB65_62 Depth 3
	v_lshlrev_b32_e32 v8, 3, v6
	v_add_u32_e32 v7, s43, v8
	v_add_u32_e32 v8, s47, v8
	s_mov_b32 s18, 0
	v_mov_b32_e32 v9, v5
	s_mov_b32 s19, s47
	s_mov_b32 s20, s43
.LBB65_62:                              ;   Parent Loop BB65_17 Depth=1
                                        ;     Parent Loop BB65_61 Depth=2
                                        ; =>    This Inner Loop Header: Depth=3
	ds_read_b64 v[10:11], v9
	v_mov_b32_e32 v12, s19
	v_mov_b32_e32 v32, s20
	ds_read_b64 v[12:13], v12
	ds_read_b64 v[14:15], v7
	;; [unrolled: 1-line block ×4, first 2 shown]
	s_add_i32 s18, s18, 1
	s_add_i32 s20, s20, 8
	s_waitcnt lgkmcnt(2)
	v_fma_f64 v[10:11], -v[14:15], v[12:13], v[10:11]
	s_add_i32 s19, s19, 8
	s_waitcnt lgkmcnt(0)
	v_fma_f64 v[10:11], -v[30:31], v[32:33], v[10:11]
	ds_write_b64 v9, v[10:11]
	s_cmp_ge_i32 s18, s49
	v_add_u32_e32 v9, s44, v9
	s_cbranch_scc0 .LBB65_62
; %bb.63:                               ;   in Loop: Header=BB65_61 Depth=2
	v_add_u32_e32 v6, 0x100, v6
	v_cmp_le_i32_e32 vcc, s49, v6
	s_or_b64 s[6:7], vcc, s[6:7]
	v_add_u32_e32 v5, 0x800, v5
	s_andn2_b64 exec, exec, s[6:7]
	s_cbranch_execnz .LBB65_61
	s_branch .LBB65_16
.LBB65_64:
	s_and_saveexec_b64 s[2:3], s[0:1]
	s_cbranch_execz .LBB65_72
; %bb.65:
	v_mad_u64_u32 v[0:1], s[0:1], s38, v3, v[2:3]
	v_mul_lo_u32 v1, s33, v3
	v_lshl_add_u32 v1, v1, 3, v16
	v_cmp_gt_u32_e32 vcc, s33, v3
	s_lshl_b32 s10, s38, 1
	v_add3_u32 v1, v1, 0, 8
	s_lshl_b32 s11, s33, 4
	s_mov_b64 s[2:3], 0
	s_branch .LBB65_67
.LBB65_66:                              ;   in Loop: Header=BB65_67 Depth=1
	s_or_b64 exec, exec, s[4:5]
	v_add_u32_e32 v2, 0x80, v2
	v_cmp_le_i32_e64 s[0:1], s33, v2
	v_add_u32_e32 v0, 0x80, v0
	s_or_b64 s[2:3], s[0:1], s[2:3]
	v_add_u32_e32 v1, 0x400, v1
	s_andn2_b64 exec, exec, s[2:3]
	s_cbranch_execz .LBB65_72
.LBB65_67:                              ; =>This Loop Header: Depth=1
                                        ;     Child Loop BB65_70 Depth 2
	s_and_saveexec_b64 s[4:5], vcc
	s_cbranch_execz .LBB65_66
; %bb.68:                               ;   in Loop: Header=BB65_67 Depth=1
	s_mov_b64 s[6:7], 0
	v_mov_b32_e32 v6, v1
	v_mov_b32_e32 v4, v0
	;; [unrolled: 1-line block ×3, first 2 shown]
	s_branch .LBB65_70
.LBB65_69:                              ;   in Loop: Header=BB65_70 Depth=2
	s_or_b64 exec, exec, s[8:9]
	v_add_u32_e32 v7, 2, v7
	v_cmp_le_i32_e64 s[0:1], s33, v7
	v_add_u32_e32 v4, s10, v4
	s_or_b64 s[6:7], s[0:1], s[6:7]
	v_add_u32_e32 v6, s11, v6
	s_andn2_b64 exec, exec, s[6:7]
	s_cbranch_execz .LBB65_66
.LBB65_70:                              ;   Parent Loop BB65_67 Depth=1
                                        ; =>  This Inner Loop Header: Depth=2
	v_cmp_ge_u32_e64 s[0:1], v2, v7
	s_and_saveexec_b64 s[8:9], s[0:1]
	s_cbranch_execz .LBB65_69
; %bb.71:                               ;   in Loop: Header=BB65_70 Depth=2
	ds_read_b64 v[8:9], v6
	v_ashrrev_i32_e32 v5, 31, v4
	v_lshlrev_b64 v[10:11], 3, v[4:5]
	v_mov_b32_e32 v5, s37
	v_add_co_u32_e64 v10, s[0:1], s36, v10
	v_addc_co_u32_e64 v11, s[0:1], v5, v11, s[0:1]
	s_waitcnt lgkmcnt(0)
	global_store_dwordx2 v[10:11], v[8:9], off
	s_branch .LBB65_69
.LBB65_72:
	s_endpgm
	.section	.rodata,"a",@progbits
	.p2align	6, 0x0
	.amdhsa_kernel _ZN9rocsolver6v33100L24sytd2_lower_kernel_smallILi256EdidPdEEvT1_T3_lS3_lPT2_lS6_lPT0_l
		.amdhsa_group_segment_fixed_size 0
		.amdhsa_private_segment_fixed_size 0
		.amdhsa_kernarg_size 88
		.amdhsa_user_sgpr_count 6
		.amdhsa_user_sgpr_private_segment_buffer 1
		.amdhsa_user_sgpr_dispatch_ptr 0
		.amdhsa_user_sgpr_queue_ptr 0
		.amdhsa_user_sgpr_kernarg_segment_ptr 1
		.amdhsa_user_sgpr_dispatch_id 0
		.amdhsa_user_sgpr_flat_scratch_init 0
		.amdhsa_user_sgpr_kernarg_preload_length 0
		.amdhsa_user_sgpr_kernarg_preload_offset 0
		.amdhsa_user_sgpr_private_segment_size 0
		.amdhsa_uses_dynamic_stack 0
		.amdhsa_system_sgpr_private_segment_wavefront_offset 0
		.amdhsa_system_sgpr_workgroup_id_x 1
		.amdhsa_system_sgpr_workgroup_id_y 0
		.amdhsa_system_sgpr_workgroup_id_z 1
		.amdhsa_system_sgpr_workgroup_info 0
		.amdhsa_system_vgpr_workitem_id 0
		.amdhsa_next_free_vgpr 38
		.amdhsa_next_free_sgpr 51
		.amdhsa_accum_offset 40
		.amdhsa_reserve_vcc 1
		.amdhsa_reserve_flat_scratch 0
		.amdhsa_float_round_mode_32 0
		.amdhsa_float_round_mode_16_64 0
		.amdhsa_float_denorm_mode_32 3
		.amdhsa_float_denorm_mode_16_64 3
		.amdhsa_dx10_clamp 1
		.amdhsa_ieee_mode 1
		.amdhsa_fp16_overflow 0
		.amdhsa_tg_split 0
		.amdhsa_exception_fp_ieee_invalid_op 0
		.amdhsa_exception_fp_denorm_src 0
		.amdhsa_exception_fp_ieee_div_zero 0
		.amdhsa_exception_fp_ieee_overflow 0
		.amdhsa_exception_fp_ieee_underflow 0
		.amdhsa_exception_fp_ieee_inexact 0
		.amdhsa_exception_int_div_zero 0
	.end_amdhsa_kernel
	.section	.text._ZN9rocsolver6v33100L24sytd2_lower_kernel_smallILi256EdidPdEEvT1_T3_lS3_lPT2_lS6_lPT0_l,"axG",@progbits,_ZN9rocsolver6v33100L24sytd2_lower_kernel_smallILi256EdidPdEEvT1_T3_lS3_lPT2_lS6_lPT0_l,comdat
.Lfunc_end65:
	.size	_ZN9rocsolver6v33100L24sytd2_lower_kernel_smallILi256EdidPdEEvT1_T3_lS3_lPT2_lS6_lPT0_l, .Lfunc_end65-_ZN9rocsolver6v33100L24sytd2_lower_kernel_smallILi256EdidPdEEvT1_T3_lS3_lPT2_lS6_lPT0_l
                                        ; -- End function
	.section	.AMDGPU.csdata,"",@progbits
; Kernel info:
; codeLenInByte = 3472
; NumSgprs: 55
; NumVgprs: 38
; NumAgprs: 0
; TotalNumVgprs: 38
; ScratchSize: 0
; MemoryBound: 0
; FloatMode: 240
; IeeeMode: 1
; LDSByteSize: 0 bytes/workgroup (compile time only)
; SGPRBlocks: 6
; VGPRBlocks: 4
; NumSGPRsForWavesPerEU: 55
; NumVGPRsForWavesPerEU: 38
; AccumOffset: 40
; Occupancy: 8
; WaveLimiterHint : 0
; COMPUTE_PGM_RSRC2:SCRATCH_EN: 0
; COMPUTE_PGM_RSRC2:USER_SGPR: 6
; COMPUTE_PGM_RSRC2:TRAP_HANDLER: 0
; COMPUTE_PGM_RSRC2:TGID_X_EN: 1
; COMPUTE_PGM_RSRC2:TGID_Y_EN: 0
; COMPUTE_PGM_RSRC2:TGID_Z_EN: 1
; COMPUTE_PGM_RSRC2:TIDIG_COMP_CNT: 0
; COMPUTE_PGM_RSRC3_GFX90A:ACCUM_OFFSET: 9
; COMPUTE_PGM_RSRC3_GFX90A:TG_SPLIT: 0
	.section	.text._ZN9rocsolver6v33100L16reset_batch_infoIdiiPdEEvT2_lT0_T1_,"axG",@progbits,_ZN9rocsolver6v33100L16reset_batch_infoIdiiPdEEvT2_lT0_T1_,comdat
	.globl	_ZN9rocsolver6v33100L16reset_batch_infoIdiiPdEEvT2_lT0_T1_ ; -- Begin function _ZN9rocsolver6v33100L16reset_batch_infoIdiiPdEEvT2_lT0_T1_
	.p2align	8
	.type	_ZN9rocsolver6v33100L16reset_batch_infoIdiiPdEEvT2_lT0_T1_,@function
_ZN9rocsolver6v33100L16reset_batch_infoIdiiPdEEvT2_lT0_T1_: ; @_ZN9rocsolver6v33100L16reset_batch_infoIdiiPdEEvT2_lT0_T1_
; %bb.0:
	s_load_dword s2, s[4:5], 0x24
	s_load_dwordx2 s[0:1], s[4:5], 0x10
	s_waitcnt lgkmcnt(0)
	s_and_b32 s2, s2, 0xffff
	s_mul_i32 s6, s6, s2
	v_add_u32_e32 v0, s6, v0
	v_cmp_gt_i32_e32 vcc, s0, v0
	s_and_saveexec_b64 s[2:3], vcc
	s_cbranch_execz .LBB66_2
; %bb.1:
	s_load_dwordx4 s[8:11], s[4:5], 0x0
	s_ashr_i32 s0, s7, 31
	v_ashrrev_i32_e32 v1, 31, v0
	v_lshlrev_b64 v[0:1], 3, v[0:1]
	s_waitcnt lgkmcnt(0)
	s_mul_i32 s3, s7, s11
	s_mul_hi_u32 s4, s7, s10
	s_mul_i32 s0, s0, s10
	s_add_i32 s3, s4, s3
	s_mul_i32 s2, s7, s10
	s_add_i32 s3, s3, s0
	s_lshl_b64 s[2:3], s[2:3], 3
	s_add_u32 s0, s8, s2
	s_addc_u32 s2, s9, s3
	v_mov_b32_e32 v2, s2
	v_add_co_u32_e32 v0, vcc, s0, v0
	v_addc_co_u32_e32 v1, vcc, v2, v1, vcc
	v_cvt_f64_i32_e32 v[2:3], s1
	global_store_dwordx2 v[0:1], v[2:3], off
.LBB66_2:
	s_endpgm
	.section	.rodata,"a",@progbits
	.p2align	6, 0x0
	.amdhsa_kernel _ZN9rocsolver6v33100L16reset_batch_infoIdiiPdEEvT2_lT0_T1_
		.amdhsa_group_segment_fixed_size 0
		.amdhsa_private_segment_fixed_size 0
		.amdhsa_kernarg_size 280
		.amdhsa_user_sgpr_count 6
		.amdhsa_user_sgpr_private_segment_buffer 1
		.amdhsa_user_sgpr_dispatch_ptr 0
		.amdhsa_user_sgpr_queue_ptr 0
		.amdhsa_user_sgpr_kernarg_segment_ptr 1
		.amdhsa_user_sgpr_dispatch_id 0
		.amdhsa_user_sgpr_flat_scratch_init 0
		.amdhsa_user_sgpr_kernarg_preload_length 0
		.amdhsa_user_sgpr_kernarg_preload_offset 0
		.amdhsa_user_sgpr_private_segment_size 0
		.amdhsa_uses_dynamic_stack 0
		.amdhsa_system_sgpr_private_segment_wavefront_offset 0
		.amdhsa_system_sgpr_workgroup_id_x 1
		.amdhsa_system_sgpr_workgroup_id_y 1
		.amdhsa_system_sgpr_workgroup_id_z 0
		.amdhsa_system_sgpr_workgroup_info 0
		.amdhsa_system_vgpr_workitem_id 0
		.amdhsa_next_free_vgpr 4
		.amdhsa_next_free_sgpr 12
		.amdhsa_accum_offset 4
		.amdhsa_reserve_vcc 1
		.amdhsa_reserve_flat_scratch 0
		.amdhsa_float_round_mode_32 0
		.amdhsa_float_round_mode_16_64 0
		.amdhsa_float_denorm_mode_32 3
		.amdhsa_float_denorm_mode_16_64 3
		.amdhsa_dx10_clamp 1
		.amdhsa_ieee_mode 1
		.amdhsa_fp16_overflow 0
		.amdhsa_tg_split 0
		.amdhsa_exception_fp_ieee_invalid_op 0
		.amdhsa_exception_fp_denorm_src 0
		.amdhsa_exception_fp_ieee_div_zero 0
		.amdhsa_exception_fp_ieee_overflow 0
		.amdhsa_exception_fp_ieee_underflow 0
		.amdhsa_exception_fp_ieee_inexact 0
		.amdhsa_exception_int_div_zero 0
	.end_amdhsa_kernel
	.section	.text._ZN9rocsolver6v33100L16reset_batch_infoIdiiPdEEvT2_lT0_T1_,"axG",@progbits,_ZN9rocsolver6v33100L16reset_batch_infoIdiiPdEEvT2_lT0_T1_,comdat
.Lfunc_end66:
	.size	_ZN9rocsolver6v33100L16reset_batch_infoIdiiPdEEvT2_lT0_T1_, .Lfunc_end66-_ZN9rocsolver6v33100L16reset_batch_infoIdiiPdEEvT2_lT0_T1_
                                        ; -- End function
	.section	.AMDGPU.csdata,"",@progbits
; Kernel info:
; codeLenInByte = 140
; NumSgprs: 16
; NumVgprs: 4
; NumAgprs: 0
; TotalNumVgprs: 4
; ScratchSize: 0
; MemoryBound: 0
; FloatMode: 240
; IeeeMode: 1
; LDSByteSize: 0 bytes/workgroup (compile time only)
; SGPRBlocks: 1
; VGPRBlocks: 0
; NumSGPRsForWavesPerEU: 16
; NumVGPRsForWavesPerEU: 4
; AccumOffset: 4
; Occupancy: 8
; WaveLimiterHint : 0
; COMPUTE_PGM_RSRC2:SCRATCH_EN: 0
; COMPUTE_PGM_RSRC2:USER_SGPR: 6
; COMPUTE_PGM_RSRC2:TRAP_HANDLER: 0
; COMPUTE_PGM_RSRC2:TGID_X_EN: 1
; COMPUTE_PGM_RSRC2:TGID_Y_EN: 1
; COMPUTE_PGM_RSRC2:TGID_Z_EN: 0
; COMPUTE_PGM_RSRC2:TIDIG_COMP_CNT: 0
; COMPUTE_PGM_RSRC3_GFX90A:ACCUM_OFFSET: 0
; COMPUTE_PGM_RSRC3_GFX90A:TG_SPLIT: 0
	.section	.text._ZN9rocsolver6v33100L8set_diagIdidPdTnNSt9enable_ifIXoont18rocblas_is_complexIT_E18rocblas_is_complexIT1_EEiE4typeELi0EEEvPS5_llT2_lT0_lSA_b,"axG",@progbits,_ZN9rocsolver6v33100L8set_diagIdidPdTnNSt9enable_ifIXoont18rocblas_is_complexIT_E18rocblas_is_complexIT1_EEiE4typeELi0EEEvPS5_llT2_lT0_lSA_b,comdat
	.globl	_ZN9rocsolver6v33100L8set_diagIdidPdTnNSt9enable_ifIXoont18rocblas_is_complexIT_E18rocblas_is_complexIT1_EEiE4typeELi0EEEvPS5_llT2_lT0_lSA_b ; -- Begin function _ZN9rocsolver6v33100L8set_diagIdidPdTnNSt9enable_ifIXoont18rocblas_is_complexIT_E18rocblas_is_complexIT1_EEiE4typeELi0EEEvPS5_llT2_lT0_lSA_b
	.p2align	8
	.type	_ZN9rocsolver6v33100L8set_diagIdidPdTnNSt9enable_ifIXoont18rocblas_is_complexIT_E18rocblas_is_complexIT1_EEiE4typeELi0EEEvPS5_llT2_lT0_lSA_b,@function
_ZN9rocsolver6v33100L8set_diagIdidPdTnNSt9enable_ifIXoont18rocblas_is_complexIT_E18rocblas_is_complexIT1_EEiE4typeELi0EEEvPS5_llT2_lT0_lSA_b: ; @_ZN9rocsolver6v33100L8set_diagIdidPdTnNSt9enable_ifIXoont18rocblas_is_complexIT_E18rocblas_is_complexIT1_EEiE4typeELi0EEEvPS5_llT2_lT0_lSA_b
; %bb.0:
	s_load_dword s2, s[4:5], 0x4c
	s_load_dwordx2 s[0:1], s[4:5], 0x38
	v_bfe_u32 v0, v0, 10, 10
	s_waitcnt lgkmcnt(0)
	s_lshr_b32 s2, s2, 16
	s_mul_i32 s7, s7, s2
	v_add_u32_e32 v0, s7, v0
	v_cmp_gt_i32_e32 vcc, s0, v0
	s_and_saveexec_b64 s[2:3], vcc
	s_cbranch_execz .LBB67_2
; %bb.1:
	s_load_dwordx8 s[8:15], s[4:5], 0x0
	s_load_dwordx2 s[2:3], s[4:5], 0x20
	s_load_dword s7, s[4:5], 0x28
	s_load_dwordx2 s[16:17], s[4:5], 0x30
	s_bitcmp1_b32 s1, 0
	s_cselect_b64 vcc, -1, 0
	s_ashr_i32 s4, s6, 31
	v_mov_b32_e32 v6, 0x3ff00000
	s_waitcnt lgkmcnt(0)
	s_mul_i32 s0, s6, s17
	s_mul_hi_u32 s1, s6, s16
	s_add_i32 s0, s1, s0
	s_mul_i32 s1, s4, s16
	s_add_i32 s1, s0, s1
	s_mul_i32 s0, s6, s16
	s_lshl_b64 s[0:1], s[0:1], 3
	s_add_u32 s5, s14, s0
	s_addc_u32 s14, s15, s1
	s_lshl_b64 s[0:1], s[2:3], 3
	s_add_u32 s2, s5, s0
	s_addc_u32 s3, s14, s1
	v_mad_u64_u32 v[2:3], s[0:1], v0, s7, v[0:1]
	v_ashrrev_i32_e32 v3, 31, v2
	v_lshlrev_b64 v[2:3], 3, v[2:3]
	v_mov_b32_e32 v1, s3
	v_add_co_u32_e64 v2, s[0:1], s2, v2
	v_addc_co_u32_e64 v3, s[0:1], v1, v3, s[0:1]
	global_load_dwordx2 v[4:5], v[2:3], off
	s_mul_i32 s1, s6, s13
	s_mul_hi_u32 s2, s6, s12
	s_mul_i32 s4, s4, s12
	s_add_i32 s1, s2, s1
	s_mul_i32 s0, s6, s12
	s_add_i32 s1, s1, s4
	s_lshl_b64 s[0:1], s[0:1], 3
	s_add_u32 s2, s8, s0
	s_addc_u32 s3, s9, s1
	s_lshl_b64 s[0:1], s[10:11], 3
	v_ashrrev_i32_e32 v1, 31, v0
	s_add_u32 s0, s2, s0
	v_lshlrev_b64 v[0:1], 3, v[0:1]
	s_addc_u32 s1, s3, s1
	v_mov_b32_e32 v7, s1
	v_add_co_u32_e64 v0, s[0:1], s0, v0
	v_addc_co_u32_e64 v1, s[0:1], v7, v1, s[0:1]
	s_waitcnt vmcnt(0)
	global_store_dwordx2 v[0:1], v[4:5], off
	v_cndmask_b32_e32 v1, v5, v6, vcc
	v_cndmask_b32_e64 v0, v4, 0, vcc
	global_store_dwordx2 v[2:3], v[0:1], off
.LBB67_2:
	s_endpgm
	.section	.rodata,"a",@progbits
	.p2align	6, 0x0
	.amdhsa_kernel _ZN9rocsolver6v33100L8set_diagIdidPdTnNSt9enable_ifIXoont18rocblas_is_complexIT_E18rocblas_is_complexIT1_EEiE4typeELi0EEEvPS5_llT2_lT0_lSA_b
		.amdhsa_group_segment_fixed_size 0
		.amdhsa_private_segment_fixed_size 0
		.amdhsa_kernarg_size 320
		.amdhsa_user_sgpr_count 6
		.amdhsa_user_sgpr_private_segment_buffer 1
		.amdhsa_user_sgpr_dispatch_ptr 0
		.amdhsa_user_sgpr_queue_ptr 0
		.amdhsa_user_sgpr_kernarg_segment_ptr 1
		.amdhsa_user_sgpr_dispatch_id 0
		.amdhsa_user_sgpr_flat_scratch_init 0
		.amdhsa_user_sgpr_kernarg_preload_length 0
		.amdhsa_user_sgpr_kernarg_preload_offset 0
		.amdhsa_user_sgpr_private_segment_size 0
		.amdhsa_uses_dynamic_stack 0
		.amdhsa_system_sgpr_private_segment_wavefront_offset 0
		.amdhsa_system_sgpr_workgroup_id_x 1
		.amdhsa_system_sgpr_workgroup_id_y 1
		.amdhsa_system_sgpr_workgroup_id_z 0
		.amdhsa_system_sgpr_workgroup_info 0
		.amdhsa_system_vgpr_workitem_id 1
		.amdhsa_next_free_vgpr 8
		.amdhsa_next_free_sgpr 18
		.amdhsa_accum_offset 8
		.amdhsa_reserve_vcc 1
		.amdhsa_reserve_flat_scratch 0
		.amdhsa_float_round_mode_32 0
		.amdhsa_float_round_mode_16_64 0
		.amdhsa_float_denorm_mode_32 3
		.amdhsa_float_denorm_mode_16_64 3
		.amdhsa_dx10_clamp 1
		.amdhsa_ieee_mode 1
		.amdhsa_fp16_overflow 0
		.amdhsa_tg_split 0
		.amdhsa_exception_fp_ieee_invalid_op 0
		.amdhsa_exception_fp_denorm_src 0
		.amdhsa_exception_fp_ieee_div_zero 0
		.amdhsa_exception_fp_ieee_overflow 0
		.amdhsa_exception_fp_ieee_underflow 0
		.amdhsa_exception_fp_ieee_inexact 0
		.amdhsa_exception_int_div_zero 0
	.end_amdhsa_kernel
	.section	.text._ZN9rocsolver6v33100L8set_diagIdidPdTnNSt9enable_ifIXoont18rocblas_is_complexIT_E18rocblas_is_complexIT1_EEiE4typeELi0EEEvPS5_llT2_lT0_lSA_b,"axG",@progbits,_ZN9rocsolver6v33100L8set_diagIdidPdTnNSt9enable_ifIXoont18rocblas_is_complexIT_E18rocblas_is_complexIT1_EEiE4typeELi0EEEvPS5_llT2_lT0_lSA_b,comdat
.Lfunc_end67:
	.size	_ZN9rocsolver6v33100L8set_diagIdidPdTnNSt9enable_ifIXoont18rocblas_is_complexIT_E18rocblas_is_complexIT1_EEiE4typeELi0EEEvPS5_llT2_lT0_lSA_b, .Lfunc_end67-_ZN9rocsolver6v33100L8set_diagIdidPdTnNSt9enable_ifIXoont18rocblas_is_complexIT_E18rocblas_is_complexIT1_EEiE4typeELi0EEEvPS5_llT2_lT0_lSA_b
                                        ; -- End function
	.section	.AMDGPU.csdata,"",@progbits
; Kernel info:
; codeLenInByte = 320
; NumSgprs: 22
; NumVgprs: 8
; NumAgprs: 0
; TotalNumVgprs: 8
; ScratchSize: 0
; MemoryBound: 0
; FloatMode: 240
; IeeeMode: 1
; LDSByteSize: 0 bytes/workgroup (compile time only)
; SGPRBlocks: 2
; VGPRBlocks: 0
; NumSGPRsForWavesPerEU: 22
; NumVGPRsForWavesPerEU: 8
; AccumOffset: 8
; Occupancy: 8
; WaveLimiterHint : 0
; COMPUTE_PGM_RSRC2:SCRATCH_EN: 0
; COMPUTE_PGM_RSRC2:USER_SGPR: 6
; COMPUTE_PGM_RSRC2:TRAP_HANDLER: 0
; COMPUTE_PGM_RSRC2:TGID_X_EN: 1
; COMPUTE_PGM_RSRC2:TGID_Y_EN: 1
; COMPUTE_PGM_RSRC2:TGID_Z_EN: 0
; COMPUTE_PGM_RSRC2:TIDIG_COMP_CNT: 1
; COMPUTE_PGM_RSRC3_GFX90A:ACCUM_OFFSET: 1
; COMPUTE_PGM_RSRC3_GFX90A:TG_SPLIT: 0
	.section	.text._ZN9rocsolver6v33100L11set_taubetaIdidPdEEvPT_lS4_T2_llPT1_ll,"axG",@progbits,_ZN9rocsolver6v33100L11set_taubetaIdidPdEEvPT_lS4_T2_llPT1_ll,comdat
	.globl	_ZN9rocsolver6v33100L11set_taubetaIdidPdEEvPT_lS4_T2_llPT1_ll ; -- Begin function _ZN9rocsolver6v33100L11set_taubetaIdidPdEEvPT_lS4_T2_llPT1_ll
	.p2align	8
	.type	_ZN9rocsolver6v33100L11set_taubetaIdidPdEEvPT_lS4_T2_llPT1_ll,@function
_ZN9rocsolver6v33100L11set_taubetaIdidPdEEvPT_lS4_T2_llPT1_ll: ; @_ZN9rocsolver6v33100L11set_taubetaIdidPdEEvPT_lS4_T2_llPT1_ll
; %bb.0:
	s_load_dwordx16 s[8:23], s[4:5], 0x0
	s_ashr_i32 s7, s6, 31
	s_mov_b64 s[24:25], 0
	s_mov_b64 s[0:1], 0
	s_waitcnt lgkmcnt(0)
	s_cmp_eq_u64 s[20:21], 0
	s_cbranch_scc1 .LBB68_2
; %bb.1:
	s_load_dwordx2 s[0:1], s[4:5], 0x40
	s_waitcnt lgkmcnt(0)
	s_mul_i32 s1, s6, s1
	s_mul_hi_u32 s2, s6, s0
	s_mul_i32 s3, s7, s0
	s_add_i32 s1, s2, s1
	s_mul_i32 s0, s6, s0
	s_add_i32 s1, s1, s3
	s_lshl_b64 s[0:1], s[0:1], 3
	s_add_u32 s2, s20, s0
	s_addc_u32 s3, s21, s1
	s_lshl_b64 s[0:1], s[22:23], 3
	s_add_u32 s0, s2, s0
	s_addc_u32 s1, s3, s1
.LBB68_2:
	s_mul_i32 s2, s6, s19
	s_mul_hi_u32 s3, s6, s18
	s_add_i32 s2, s3, s2
	s_mul_i32 s3, s7, s18
	s_add_i32 s3, s2, s3
	s_mul_i32 s2, s6, s18
	s_lshl_b64 s[2:3], s[2:3], 3
	s_add_u32 s4, s14, s2
	s_addc_u32 s5, s15, s3
	s_lshl_b64 s[2:3], s[16:17], 3
	s_add_u32 s2, s4, s2
	s_addc_u32 s3, s5, s3
	s_mul_i32 s4, s6, s11
	s_mul_hi_u32 s5, s6, s10
	s_add_i32 s4, s5, s4
	s_mul_i32 s5, s7, s10
	s_add_i32 s5, s4, s5
	s_mul_i32 s4, s6, s10
	s_lshl_b64 s[4:5], s[4:5], 3
	s_add_u32 s4, s8, s4
	s_addc_u32 s5, s9, s5
	s_lshl_b64 s[6:7], s[6:7], 3
	s_add_u32 s10, s12, s6
	s_addc_u32 s11, s13, s7
	s_load_dwordx2 s[12:13], s[10:11], 0x0
	s_cmp_eq_u64 s[0:1], 0
	s_cselect_b64 s[8:9], -1, 0
	s_cmp_lg_u64 s[0:1], 0
	s_cselect_b64 s[6:7], -1, 0
	s_waitcnt lgkmcnt(0)
	v_cmp_ngt_f64_e64 s[14:15], s[12:13], 0
	s_and_b64 vcc, exec, s[14:15]
	s_cbranch_vccz .LBB68_5
; %bb.3:
	v_mov_b32_e32 v0, 0
	v_mov_b32_e32 v1, 0x3ff00000
	global_store_dwordx2 v0, v[0:1], s[10:11]
	v_mov_b32_e32 v1, v0
	s_mov_b64 s[16:17], 0
	s_and_b64 vcc, exec, s[6:7]
	global_store_dwordx2 v0, v[0:1], s[4:5]
	s_cbranch_vccz .LBB68_6
; %bb.4:
	global_load_dwordx2 v[0:1], v0, s[2:3]
	s_mov_b64 s[14:15], -1
	s_and_b64 vcc, exec, s[16:17]
	s_cbranch_vccnz .LBB68_7
	s_branch .LBB68_8
.LBB68_5:
	s_mov_b64 s[16:17], -1
.LBB68_6:
	s_mov_b64 s[14:15], 0
                                        ; implicit-def: $vgpr0_vgpr1
	s_and_b64 vcc, exec, s[16:17]
	s_cbranch_vccz .LBB68_8
.LBB68_7:
	s_load_dwordx2 s[14:15], s[2:3], 0x0
	s_waitcnt vmcnt(0)
	v_pk_mov_b32 v[0:1], s[12:13], s[12:13] op_sel:[0,1]
	s_mov_b32 s12, 0
	s_brev_b32 s13, 8
	v_mov_b32_e32 v12, 0
	s_waitcnt lgkmcnt(0)
	v_fmac_f64_e64 v[0:1], s[14:15], s[14:15]
	v_cmp_gt_f64_e32 vcc, s[12:13], v[0:1]
	v_cndmask_b32_e64 v2, 0, 1, vcc
	v_lshlrev_b32_e32 v2, 8, v2
	v_ldexp_f64 v[0:1], v[0:1], v2
	v_rsq_f64_e32 v[2:3], v[0:1]
	s_and_b64 s[12:13], vcc, exec
	s_cselect_b32 s12, 0xffffff80, 0
	s_mov_b64 s[24:25], s[8:9]
	v_mul_f64 v[4:5], v[0:1], v[2:3]
	v_mul_f64 v[2:3], v[2:3], 0.5
	v_fma_f64 v[6:7], -v[2:3], v[4:5], 0.5
	v_fmac_f64_e32 v[4:5], v[4:5], v[6:7]
	v_fmac_f64_e32 v[2:3], v[2:3], v[6:7]
	v_fma_f64 v[6:7], -v[4:5], v[4:5], v[0:1]
	v_fmac_f64_e32 v[4:5], v[6:7], v[2:3]
	v_fma_f64 v[6:7], -v[4:5], v[4:5], v[0:1]
	v_fmac_f64_e32 v[4:5], v[6:7], v[2:3]
	v_ldexp_f64 v[2:3], v[4:5], s12
	v_mov_b32_e32 v4, 0x260
	v_cmp_class_f64_e32 vcc, v[0:1], v4
	v_cndmask_b32_e32 v1, v3, v1, vcc
	v_cndmask_b32_e32 v0, v2, v0, vcc
	v_xor_b32_e32 v2, 0x80000000, v1
	v_cmp_ge_f64_e64 vcc, s[14:15], 0
	v_cndmask_b32_e32 v1, v1, v2, vcc
	v_add_f64 v[2:3], s[14:15], -v[0:1]
	v_div_scale_f64 v[4:5], s[12:13], v[2:3], v[2:3], 1.0
	v_rcp_f64_e32 v[6:7], v[4:5]
	s_mov_b64 s[14:15], s[6:7]
	v_fma_f64 v[8:9], -v[4:5], v[6:7], 1.0
	v_fmac_f64_e32 v[6:7], v[6:7], v[8:9]
	v_fma_f64 v[8:9], -v[4:5], v[6:7], 1.0
	v_fmac_f64_e32 v[6:7], v[6:7], v[8:9]
	v_div_scale_f64 v[8:9], vcc, 1.0, v[2:3], 1.0
	v_mul_f64 v[10:11], v[8:9], v[6:7]
	v_fma_f64 v[4:5], -v[4:5], v[10:11], v[8:9]
	s_nop 1
	v_div_fmas_f64 v[4:5], v[4:5], v[6:7], v[10:11]
	v_div_fixup_f64 v[2:3], v[4:5], v[2:3], 1.0
	global_store_dwordx2 v12, v[2:3], s[10:11]
	global_load_dwordx2 v[2:3], v12, s[2:3]
	s_waitcnt vmcnt(0)
	v_add_f64 v[2:3], v[0:1], -v[2:3]
	v_div_scale_f64 v[4:5], s[10:11], v[0:1], v[0:1], v[2:3]
	v_rcp_f64_e32 v[6:7], v[4:5]
	v_div_scale_f64 v[8:9], vcc, v[2:3], v[0:1], v[2:3]
	v_fma_f64 v[10:11], -v[4:5], v[6:7], 1.0
	v_fmac_f64_e32 v[6:7], v[6:7], v[10:11]
	v_fma_f64 v[10:11], -v[4:5], v[6:7], 1.0
	v_fmac_f64_e32 v[6:7], v[6:7], v[10:11]
	v_mul_f64 v[10:11], v[8:9], v[6:7]
	v_fma_f64 v[4:5], -v[4:5], v[10:11], v[8:9]
	v_div_fmas_f64 v[4:5], v[4:5], v[6:7], v[10:11]
	v_div_fixup_f64 v[2:3], v[4:5], v[0:1], v[2:3]
	global_store_dwordx2 v12, v[2:3], s[4:5]
.LBB68_8:
	s_andn2_b64 vcc, exec, s[14:15]
	s_cbranch_vccz .LBB68_11
; %bb.9:
	s_andn2_b64 vcc, exec, s[24:25]
	s_cbranch_vccz .LBB68_12
; %bb.10:
	s_endpgm
.LBB68_11:
	v_pk_mov_b32 v[2:3], s[0:1], s[0:1] op_sel:[0,1]
	s_waitcnt vmcnt(0)
	flat_store_dwordx2 v[2:3], v[0:1]
	v_mov_b32_e32 v0, 0
	v_mov_b32_e32 v1, 0x3ff00000
.LBB68_12:
	v_mov_b32_e32 v2, 0
	s_waitcnt vmcnt(0) lgkmcnt(0)
	global_store_dwordx2 v2, v[0:1], s[2:3]
	s_endpgm
	.section	.rodata,"a",@progbits
	.p2align	6, 0x0
	.amdhsa_kernel _ZN9rocsolver6v33100L11set_taubetaIdidPdEEvPT_lS4_T2_llPT1_ll
		.amdhsa_group_segment_fixed_size 0
		.amdhsa_private_segment_fixed_size 0
		.amdhsa_kernarg_size 72
		.amdhsa_user_sgpr_count 6
		.amdhsa_user_sgpr_private_segment_buffer 1
		.amdhsa_user_sgpr_dispatch_ptr 0
		.amdhsa_user_sgpr_queue_ptr 0
		.amdhsa_user_sgpr_kernarg_segment_ptr 1
		.amdhsa_user_sgpr_dispatch_id 0
		.amdhsa_user_sgpr_flat_scratch_init 0
		.amdhsa_user_sgpr_kernarg_preload_length 0
		.amdhsa_user_sgpr_kernarg_preload_offset 0
		.amdhsa_user_sgpr_private_segment_size 0
		.amdhsa_uses_dynamic_stack 0
		.amdhsa_system_sgpr_private_segment_wavefront_offset 0
		.amdhsa_system_sgpr_workgroup_id_x 1
		.amdhsa_system_sgpr_workgroup_id_y 0
		.amdhsa_system_sgpr_workgroup_id_z 0
		.amdhsa_system_sgpr_workgroup_info 0
		.amdhsa_system_vgpr_workitem_id 0
		.amdhsa_next_free_vgpr 13
		.amdhsa_next_free_sgpr 26
		.amdhsa_accum_offset 16
		.amdhsa_reserve_vcc 1
		.amdhsa_reserve_flat_scratch 0
		.amdhsa_float_round_mode_32 0
		.amdhsa_float_round_mode_16_64 0
		.amdhsa_float_denorm_mode_32 3
		.amdhsa_float_denorm_mode_16_64 3
		.amdhsa_dx10_clamp 1
		.amdhsa_ieee_mode 1
		.amdhsa_fp16_overflow 0
		.amdhsa_tg_split 0
		.amdhsa_exception_fp_ieee_invalid_op 0
		.amdhsa_exception_fp_denorm_src 0
		.amdhsa_exception_fp_ieee_div_zero 0
		.amdhsa_exception_fp_ieee_overflow 0
		.amdhsa_exception_fp_ieee_underflow 0
		.amdhsa_exception_fp_ieee_inexact 0
		.amdhsa_exception_int_div_zero 0
	.end_amdhsa_kernel
	.section	.text._ZN9rocsolver6v33100L11set_taubetaIdidPdEEvPT_lS4_T2_llPT1_ll,"axG",@progbits,_ZN9rocsolver6v33100L11set_taubetaIdidPdEEvPT_lS4_T2_llPT1_ll,comdat
.Lfunc_end68:
	.size	_ZN9rocsolver6v33100L11set_taubetaIdidPdEEvPT_lS4_T2_llPT1_ll, .Lfunc_end68-_ZN9rocsolver6v33100L11set_taubetaIdidPdEEvPT_lS4_T2_llPT1_ll
                                        ; -- End function
	.section	.AMDGPU.csdata,"",@progbits
; Kernel info:
; codeLenInByte = 784
; NumSgprs: 30
; NumVgprs: 13
; NumAgprs: 0
; TotalNumVgprs: 13
; ScratchSize: 0
; MemoryBound: 0
; FloatMode: 240
; IeeeMode: 1
; LDSByteSize: 0 bytes/workgroup (compile time only)
; SGPRBlocks: 3
; VGPRBlocks: 1
; NumSGPRsForWavesPerEU: 30
; NumVGPRsForWavesPerEU: 13
; AccumOffset: 16
; Occupancy: 8
; WaveLimiterHint : 0
; COMPUTE_PGM_RSRC2:SCRATCH_EN: 0
; COMPUTE_PGM_RSRC2:USER_SGPR: 6
; COMPUTE_PGM_RSRC2:TRAP_HANDLER: 0
; COMPUTE_PGM_RSRC2:TGID_X_EN: 1
; COMPUTE_PGM_RSRC2:TGID_Y_EN: 0
; COMPUTE_PGM_RSRC2:TGID_Z_EN: 0
; COMPUTE_PGM_RSRC2:TIDIG_COMP_CNT: 0
; COMPUTE_PGM_RSRC3_GFX90A:ACCUM_OFFSET: 3
; COMPUTE_PGM_RSRC3_GFX90A:TG_SPLIT: 0
	.section	.text._ZN9rocsolver6v33100L20latrd_dot_scale_axpyILi64EdiPdEEvT1_T2_llPT0_llS6_l,"axG",@progbits,_ZN9rocsolver6v33100L20latrd_dot_scale_axpyILi64EdiPdEEvT1_T2_llPT0_llS6_l,comdat
	.globl	_ZN9rocsolver6v33100L20latrd_dot_scale_axpyILi64EdiPdEEvT1_T2_llPT0_llS6_l ; -- Begin function _ZN9rocsolver6v33100L20latrd_dot_scale_axpyILi64EdiPdEEvT1_T2_llPT0_llS6_l
	.p2align	8
	.type	_ZN9rocsolver6v33100L20latrd_dot_scale_axpyILi64EdiPdEEvT1_T2_llPT0_llS6_l,@function
_ZN9rocsolver6v33100L20latrd_dot_scale_axpyILi64EdiPdEEvT1_T2_llPT0_llS6_l: ; @_ZN9rocsolver6v33100L20latrd_dot_scale_axpyILi64EdiPdEEvT1_T2_llPT0_llS6_l
; %bb.0:
	s_load_dword s6, s[4:5], 0x0
	s_load_dwordx16 s[8:23], s[4:5], 0x8
	s_ashr_i32 s33, s7, 31
	v_pk_mov_b32 v[2:3], 0, 0
	v_lshlrev_b32_e32 v1, 3, v0
	s_waitcnt lgkmcnt(0)
	v_cmp_gt_i32_e64 s[0:1], s6, v0
	s_mul_i32 s29, s12, s33
	s_mul_hi_u32 s30, s12, s7
	s_mul_i32 s31, s13, s7
	s_mul_i32 s4, s12, s7
	;; [unrolled: 1-line block ×3, first 2 shown]
	s_mul_hi_u32 s27, s18, s7
	s_mul_i32 s28, s19, s7
	s_mul_i32 s2, s18, s7
	s_and_saveexec_b64 s[12:13], s[0:1]
	s_cbranch_execz .LBB69_6
; %bb.1:
	s_add_i32 s3, s30, s29
	s_add_i32 s5, s3, s31
	s_lshl_b64 s[18:19], s[4:5], 3
	s_lshl_b64 s[24:25], s[10:11], 3
	s_add_u32 s3, s18, s24
	s_addc_u32 s5, s19, s25
	v_lshlrev_b32_e32 v12, 3, v0
	s_add_u32 s3, s8, s3
	s_addc_u32 s5, s9, s5
	v_add_co_u32_e32 v4, vcc, s3, v12
	s_add_i32 s3, s27, s26
	s_add_i32 s3, s3, s28
	s_lshl_b64 s[18:19], s[2:3], 3
	s_lshl_b64 s[24:25], s[16:17], 3
	s_add_u32 s3, s18, s24
	v_mov_b32_e32 v2, s5
	s_addc_u32 s5, s19, s25
	s_add_u32 s3, s14, s3
	v_addc_co_u32_e32 v5, vcc, 0, v2, vcc
	s_addc_u32 s5, s15, s5
	v_mov_b32_e32 v2, s5
	v_add_co_u32_e32 v6, vcc, s3, v12
	v_addc_co_u32_e32 v7, vcc, 0, v2, vcc
	s_mov_b64 s[18:19], 0
	v_pk_mov_b32 v[2:3], 0, 0
	v_mov_b32_e32 v13, v0
	s_branch .LBB69_3
.LBB69_2:                               ;   in Loop: Header=BB69_3 Depth=1
	s_or_b64 exec, exec, s[24:25]
	v_add_co_u32_e32 v4, vcc, 0x200, v4
	v_addc_co_u32_e32 v5, vcc, 0, v5, vcc
	v_add_co_u32_e32 v6, vcc, 0x200, v6
	v_add_u32_e32 v13, 64, v13
	v_addc_co_u32_e32 v7, vcc, 0, v7, vcc
	s_waitcnt vmcnt(0)
	v_mul_f64 v[8:9], v[8:9], v[10:11]
	v_cmp_le_i32_e32 vcc, s6, v13
	v_add_f64 v[2:3], v[2:3], v[8:9]
	s_or_b64 s[18:19], vcc, s[18:19]
	v_add_u32_e32 v12, 0x200, v12
	s_andn2_b64 exec, exec, s[18:19]
	s_cbranch_execz .LBB69_5
.LBB69_3:                               ; =>This Inner Loop Header: Depth=1
	global_load_dwordx2 v[8:9], v[4:5], off
	global_load_dwordx2 v[10:11], v[6:7], off
	v_cmp_gt_u32_e32 vcc, 64, v13
	s_and_saveexec_b64 s[24:25], vcc
	s_cbranch_execz .LBB69_2
; %bb.4:                                ;   in Loop: Header=BB69_3 Depth=1
	s_waitcnt vmcnt(0)
	ds_write2st64_b64 v12, v[8:9], v[10:11] offset1:1
	s_branch .LBB69_2
.LBB69_5:
	s_or_b64 exec, exec, s[18:19]
.LBB69_6:
	s_or_b64 exec, exec, s[12:13]
	v_mbcnt_lo_u32_b32 v4, -1, 0
	v_mbcnt_hi_u32_b32 v6, -1, v4
	v_and_b32_e32 v7, 63, v6
	v_cmp_ne_u32_e32 vcc, 63, v7
	v_addc_co_u32_e32 v4, vcc, 0, v6, vcc
	v_lshlrev_b32_e32 v5, 2, v4
	ds_bpermute_b32 v4, v5, v2
	ds_bpermute_b32 v5, v5, v3
	v_cmp_gt_u32_e32 vcc, 62, v7
	s_waitcnt lgkmcnt(0)
	v_add_f64 v[2:3], v[2:3], v[4:5]
	v_cndmask_b32_e64 v4, 0, 1, vcc
	v_lshlrev_b32_e32 v4, 1, v4
	v_add_lshl_u32 v5, v4, v6, 2
	ds_bpermute_b32 v4, v5, v2
	ds_bpermute_b32 v5, v5, v3
	v_cmp_gt_u32_e32 vcc, 60, v7
	s_waitcnt lgkmcnt(0)
	v_add_f64 v[2:3], v[2:3], v[4:5]
	v_cndmask_b32_e64 v4, 0, 1, vcc
	v_lshlrev_b32_e32 v4, 2, v4
	v_add_lshl_u32 v5, v4, v6, 2
	ds_bpermute_b32 v4, v5, v2
	ds_bpermute_b32 v5, v5, v3
	v_cmp_gt_u32_e32 vcc, 56, v7
	s_waitcnt lgkmcnt(0)
	v_add_f64 v[2:3], v[2:3], v[4:5]
	v_cndmask_b32_e64 v4, 0, 1, vcc
	v_lshlrev_b32_e32 v4, 3, v4
	v_add_lshl_u32 v5, v4, v6, 2
	ds_bpermute_b32 v4, v5, v2
	ds_bpermute_b32 v5, v5, v3
	v_cmp_gt_u32_e32 vcc, 48, v7
	s_waitcnt lgkmcnt(0)
	v_add_f64 v[2:3], v[2:3], v[4:5]
	v_cndmask_b32_e64 v4, 0, 1, vcc
	v_lshlrev_b32_e32 v4, 4, v4
	v_add_lshl_u32 v5, v4, v6, 2
	ds_bpermute_b32 v4, v5, v2
	ds_bpermute_b32 v5, v5, v3
	v_cmp_gt_u32_e32 vcc, 32, v7
	s_waitcnt lgkmcnt(0)
	v_add_f64 v[2:3], v[2:3], v[4:5]
	v_cndmask_b32_e64 v4, 0, 1, vcc
	v_lshlrev_b32_e32 v4, 5, v4
	v_add_lshl_u32 v5, v4, v6, 2
	ds_bpermute_b32 v4, v5, v2
	ds_bpermute_b32 v5, v5, v3
	v_cmp_eq_u32_e32 vcc, 0, v0
	s_waitcnt lgkmcnt(0)
	v_add_f64 v[2:3], v[2:3], v[4:5]
	s_and_saveexec_b64 s[12:13], vcc
	s_cbranch_execz .LBB69_8
; %bb.7:
	v_mov_b32_e32 v4, 0
	ds_write_b64 v4, v[2:3] offset:1024
.LBB69_8:
	s_or_b64 exec, exec, s[12:13]
	v_cmp_eq_u32_e32 vcc, 0, v0
	s_waitcnt lgkmcnt(0)
	; wave barrier
	s_waitcnt lgkmcnt(0)
	s_and_saveexec_b64 s[12:13], vcc
	s_cbranch_execz .LBB69_10
; %bb.9:
	s_mul_i32 s3, s7, s23
	s_mul_hi_u32 s5, s7, s22
	s_add_i32 s3, s5, s3
	s_mul_i32 s5, s33, s22
	s_add_i32 s19, s3, s5
	s_mul_i32 s18, s7, s22
	s_lshl_b64 s[18:19], s[18:19], 3
	s_add_u32 s18, s20, s18
	s_addc_u32 s19, s21, s19
	s_load_dwordx2 s[18:19], s[18:19], 0x0
	s_waitcnt lgkmcnt(0)
	v_mul_f64 v[4:5], s[18:19], -0.5
	v_mul_f64 v[2:3], v[2:3], v[4:5]
	v_mov_b32_e32 v4, 0
	ds_write_b64 v4, v[2:3] offset:1024
.LBB69_10:
	s_or_b64 exec, exec, s[12:13]
	s_waitcnt lgkmcnt(0)
	; wave barrier
	s_waitcnt lgkmcnt(0)
	s_and_saveexec_b64 s[12:13], s[0:1]
	s_cbranch_execz .LBB69_17
; %bb.11:
	s_add_i32 s0, s30, s29
	s_add_i32 s5, s0, s31
	s_lshl_b64 s[0:1], s[4:5], 3
	s_lshl_b64 s[4:5], s[10:11], 3
	s_add_u32 s0, s0, s4
	s_addc_u32 s1, s1, s5
	s_add_u32 s0, s8, s0
	s_addc_u32 s1, s9, s1
	v_add_co_u32_e32 v4, vcc, s0, v1
	s_add_i32 s0, s27, s26
	s_add_i32 s3, s0, s28
	v_mov_b32_e32 v5, s1
	s_lshl_b64 s[0:1], s[2:3], 3
	s_lshl_b64 s[2:3], s[16:17], 3
	v_mov_b32_e32 v2, 0
	s_add_u32 s0, s0, s2
	ds_read_b64 v[2:3], v2 offset:1024
	s_addc_u32 s1, s1, s3
	s_add_u32 s0, s14, s0
	v_addc_co_u32_e32 v5, vcc, 0, v5, vcc
	s_addc_u32 s1, s15, s1
	v_mov_b32_e32 v7, s1
	v_add_co_u32_e32 v6, vcc, s0, v1
	v_addc_co_u32_e32 v7, vcc, 0, v7, vcc
	s_mov_b64 s[0:1], 0
	s_branch .LBB69_13
.LBB69_12:                              ;   in Loop: Header=BB69_13 Depth=1
	s_or_b64 exec, exec, s[2:3]
	v_add_co_u32_e32 v4, vcc, 0x200, v4
	v_addc_co_u32_e32 v5, vcc, 0, v5, vcc
	v_add_co_u32_e32 v6, vcc, 0x200, v6
	v_add_u32_e32 v0, 64, v0
	v_addc_co_u32_e32 v7, vcc, 0, v7, vcc
	v_cmp_le_i32_e32 vcc, s6, v0
	s_or_b64 s[0:1], vcc, s[0:1]
	v_add_u32_e32 v1, 0x200, v1
	s_andn2_b64 exec, exec, s[0:1]
	s_cbranch_execz .LBB69_17
.LBB69_13:                              ; =>This Inner Loop Header: Depth=1
	v_cmp_lt_u32_e32 vcc, 63, v0
	s_and_saveexec_b64 s[2:3], vcc
	s_xor_b64 s[2:3], exec, s[2:3]
	s_cbranch_execz .LBB69_15
; %bb.14:                               ;   in Loop: Header=BB69_13 Depth=1
	global_load_dwordx2 v[8:9], v[6:7], off
	global_load_dwordx2 v[10:11], v[4:5], off
	s_waitcnt vmcnt(0) lgkmcnt(0)
	v_fmac_f64_e32 v[8:9], v[2:3], v[10:11]
	global_store_dwordx2 v[6:7], v[8:9], off
.LBB69_15:                              ;   in Loop: Header=BB69_13 Depth=1
	s_andn2_saveexec_b64 s[2:3], s[2:3]
	s_cbranch_execz .LBB69_12
; %bb.16:                               ;   in Loop: Header=BB69_13 Depth=1
	ds_read2st64_b64 v[8:11], v1 offset1:1
	s_waitcnt lgkmcnt(0)
	v_fmac_f64_e32 v[10:11], v[2:3], v[8:9]
	global_store_dwordx2 v[6:7], v[10:11], off
	s_branch .LBB69_12
.LBB69_17:
	s_endpgm
	.section	.rodata,"a",@progbits
	.p2align	6, 0x0
	.amdhsa_kernel _ZN9rocsolver6v33100L20latrd_dot_scale_axpyILi64EdiPdEEvT1_T2_llPT0_llS6_l
		.amdhsa_group_segment_fixed_size 1032
		.amdhsa_private_segment_fixed_size 0
		.amdhsa_kernarg_size 72
		.amdhsa_user_sgpr_count 6
		.amdhsa_user_sgpr_private_segment_buffer 1
		.amdhsa_user_sgpr_dispatch_ptr 0
		.amdhsa_user_sgpr_queue_ptr 0
		.amdhsa_user_sgpr_kernarg_segment_ptr 1
		.amdhsa_user_sgpr_dispatch_id 0
		.amdhsa_user_sgpr_flat_scratch_init 0
		.amdhsa_user_sgpr_kernarg_preload_length 0
		.amdhsa_user_sgpr_kernarg_preload_offset 0
		.amdhsa_user_sgpr_private_segment_size 0
		.amdhsa_uses_dynamic_stack 0
		.amdhsa_system_sgpr_private_segment_wavefront_offset 0
		.amdhsa_system_sgpr_workgroup_id_x 1
		.amdhsa_system_sgpr_workgroup_id_y 0
		.amdhsa_system_sgpr_workgroup_id_z 1
		.amdhsa_system_sgpr_workgroup_info 0
		.amdhsa_system_vgpr_workitem_id 0
		.amdhsa_next_free_vgpr 14
		.amdhsa_next_free_sgpr 34
		.amdhsa_accum_offset 16
		.amdhsa_reserve_vcc 1
		.amdhsa_reserve_flat_scratch 0
		.amdhsa_float_round_mode_32 0
		.amdhsa_float_round_mode_16_64 0
		.amdhsa_float_denorm_mode_32 3
		.amdhsa_float_denorm_mode_16_64 3
		.amdhsa_dx10_clamp 1
		.amdhsa_ieee_mode 1
		.amdhsa_fp16_overflow 0
		.amdhsa_tg_split 0
		.amdhsa_exception_fp_ieee_invalid_op 0
		.amdhsa_exception_fp_denorm_src 0
		.amdhsa_exception_fp_ieee_div_zero 0
		.amdhsa_exception_fp_ieee_overflow 0
		.amdhsa_exception_fp_ieee_underflow 0
		.amdhsa_exception_fp_ieee_inexact 0
		.amdhsa_exception_int_div_zero 0
	.end_amdhsa_kernel
	.section	.text._ZN9rocsolver6v33100L20latrd_dot_scale_axpyILi64EdiPdEEvT1_T2_llPT0_llS6_l,"axG",@progbits,_ZN9rocsolver6v33100L20latrd_dot_scale_axpyILi64EdiPdEEvT1_T2_llPT0_llS6_l,comdat
.Lfunc_end69:
	.size	_ZN9rocsolver6v33100L20latrd_dot_scale_axpyILi64EdiPdEEvT1_T2_llPT0_llS6_l, .Lfunc_end69-_ZN9rocsolver6v33100L20latrd_dot_scale_axpyILi64EdiPdEEvT1_T2_llPT0_llS6_l
                                        ; -- End function
	.section	.AMDGPU.csdata,"",@progbits
; Kernel info:
; codeLenInByte = 1040
; NumSgprs: 38
; NumVgprs: 14
; NumAgprs: 0
; TotalNumVgprs: 14
; ScratchSize: 0
; MemoryBound: 1
; FloatMode: 240
; IeeeMode: 1
; LDSByteSize: 1032 bytes/workgroup (compile time only)
; SGPRBlocks: 4
; VGPRBlocks: 1
; NumSGPRsForWavesPerEU: 38
; NumVGPRsForWavesPerEU: 14
; AccumOffset: 16
; Occupancy: 8
; WaveLimiterHint : 0
; COMPUTE_PGM_RSRC2:SCRATCH_EN: 0
; COMPUTE_PGM_RSRC2:USER_SGPR: 6
; COMPUTE_PGM_RSRC2:TRAP_HANDLER: 0
; COMPUTE_PGM_RSRC2:TGID_X_EN: 1
; COMPUTE_PGM_RSRC2:TGID_Y_EN: 0
; COMPUTE_PGM_RSRC2:TGID_Z_EN: 1
; COMPUTE_PGM_RSRC2:TIDIG_COMP_CNT: 0
; COMPUTE_PGM_RSRC3_GFX90A:ACCUM_OFFSET: 3
; COMPUTE_PGM_RSRC3_GFX90A:TG_SPLIT: 0
	.section	.text._ZN9rocsolver6v33100L7set_tauIdEEviPT_S3_l,"axG",@progbits,_ZN9rocsolver6v33100L7set_tauIdEEviPT_S3_l,comdat
	.globl	_ZN9rocsolver6v33100L7set_tauIdEEviPT_S3_l ; -- Begin function _ZN9rocsolver6v33100L7set_tauIdEEviPT_S3_l
	.p2align	8
	.type	_ZN9rocsolver6v33100L7set_tauIdEEviPT_S3_l,@function
_ZN9rocsolver6v33100L7set_tauIdEEviPT_S3_l: ; @_ZN9rocsolver6v33100L7set_tauIdEEviPT_S3_l
; %bb.0:
	s_load_dword s0, s[4:5], 0x2c
	s_load_dword s1, s[4:5], 0x0
	s_waitcnt lgkmcnt(0)
	s_and_b32 s0, s0, 0xffff
	s_mul_i32 s6, s6, s0
	v_add_u32_e32 v0, s6, v0
	v_cmp_gt_i32_e32 vcc, s1, v0
	s_and_saveexec_b64 s[0:1], vcc
	s_cbranch_execz .LBB70_2
; %bb.1:
	s_load_dwordx4 s[0:3], s[4:5], 0x8
	s_load_dwordx2 s[6:7], s[4:5], 0x18
	v_ashrrev_i32_e32 v1, 31, v0
	v_lshlrev_b64 v[2:3], 3, v[0:1]
	s_waitcnt lgkmcnt(0)
	v_mov_b32_e32 v4, s1
	v_add_co_u32_e32 v2, vcc, s0, v2
	v_addc_co_u32_e32 v3, vcc, v4, v3, vcc
	global_load_dwordx2 v[2:3], v[2:3], off
	v_mul_lo_u32 v4, v0, s7
	v_mul_lo_u32 v5, v1, s6
	v_mad_u64_u32 v[0:1], s[0:1], v0, s6, 0
	v_add3_u32 v1, v1, v4, v5
	v_lshlrev_b64 v[0:1], 3, v[0:1]
	v_mov_b32_e32 v4, s3
	v_add_co_u32_e32 v0, vcc, s2, v0
	v_addc_co_u32_e32 v1, vcc, v4, v1, vcc
	s_waitcnt vmcnt(0)
	global_store_dwordx2 v[0:1], v[2:3], off
.LBB70_2:
	s_endpgm
	.section	.rodata,"a",@progbits
	.p2align	6, 0x0
	.amdhsa_kernel _ZN9rocsolver6v33100L7set_tauIdEEviPT_S3_l
		.amdhsa_group_segment_fixed_size 0
		.amdhsa_private_segment_fixed_size 0
		.amdhsa_kernarg_size 288
		.amdhsa_user_sgpr_count 6
		.amdhsa_user_sgpr_private_segment_buffer 1
		.amdhsa_user_sgpr_dispatch_ptr 0
		.amdhsa_user_sgpr_queue_ptr 0
		.amdhsa_user_sgpr_kernarg_segment_ptr 1
		.amdhsa_user_sgpr_dispatch_id 0
		.amdhsa_user_sgpr_flat_scratch_init 0
		.amdhsa_user_sgpr_kernarg_preload_length 0
		.amdhsa_user_sgpr_kernarg_preload_offset 0
		.amdhsa_user_sgpr_private_segment_size 0
		.amdhsa_uses_dynamic_stack 0
		.amdhsa_system_sgpr_private_segment_wavefront_offset 0
		.amdhsa_system_sgpr_workgroup_id_x 1
		.amdhsa_system_sgpr_workgroup_id_y 0
		.amdhsa_system_sgpr_workgroup_id_z 0
		.amdhsa_system_sgpr_workgroup_info 0
		.amdhsa_system_vgpr_workitem_id 0
		.amdhsa_next_free_vgpr 6
		.amdhsa_next_free_sgpr 8
		.amdhsa_accum_offset 8
		.amdhsa_reserve_vcc 1
		.amdhsa_reserve_flat_scratch 0
		.amdhsa_float_round_mode_32 0
		.amdhsa_float_round_mode_16_64 0
		.amdhsa_float_denorm_mode_32 3
		.amdhsa_float_denorm_mode_16_64 3
		.amdhsa_dx10_clamp 1
		.amdhsa_ieee_mode 1
		.amdhsa_fp16_overflow 0
		.amdhsa_tg_split 0
		.amdhsa_exception_fp_ieee_invalid_op 0
		.amdhsa_exception_fp_denorm_src 0
		.amdhsa_exception_fp_ieee_div_zero 0
		.amdhsa_exception_fp_ieee_overflow 0
		.amdhsa_exception_fp_ieee_underflow 0
		.amdhsa_exception_fp_ieee_inexact 0
		.amdhsa_exception_int_div_zero 0
	.end_amdhsa_kernel
	.section	.text._ZN9rocsolver6v33100L7set_tauIdEEviPT_S3_l,"axG",@progbits,_ZN9rocsolver6v33100L7set_tauIdEEviPT_S3_l,comdat
.Lfunc_end70:
	.size	_ZN9rocsolver6v33100L7set_tauIdEEviPT_S3_l, .Lfunc_end70-_ZN9rocsolver6v33100L7set_tauIdEEviPT_S3_l
                                        ; -- End function
	.section	.AMDGPU.csdata,"",@progbits
; Kernel info:
; codeLenInByte = 168
; NumSgprs: 12
; NumVgprs: 6
; NumAgprs: 0
; TotalNumVgprs: 6
; ScratchSize: 0
; MemoryBound: 0
; FloatMode: 240
; IeeeMode: 1
; LDSByteSize: 0 bytes/workgroup (compile time only)
; SGPRBlocks: 1
; VGPRBlocks: 0
; NumSGPRsForWavesPerEU: 12
; NumVGPRsForWavesPerEU: 6
; AccumOffset: 8
; Occupancy: 8
; WaveLimiterHint : 0
; COMPUTE_PGM_RSRC2:SCRATCH_EN: 0
; COMPUTE_PGM_RSRC2:USER_SGPR: 6
; COMPUTE_PGM_RSRC2:TRAP_HANDLER: 0
; COMPUTE_PGM_RSRC2:TGID_X_EN: 1
; COMPUTE_PGM_RSRC2:TGID_Y_EN: 0
; COMPUTE_PGM_RSRC2:TGID_Z_EN: 0
; COMPUTE_PGM_RSRC2:TIDIG_COMP_CNT: 0
; COMPUTE_PGM_RSRC3_GFX90A:ACCUM_OFFSET: 1
; COMPUTE_PGM_RSRC3_GFX90A:TG_SPLIT: 0
	.section	.text._ZN9rocsolver6v33100L24sytd2_upper_kernel_smallILi256EdidPdEEvT1_T3_lS3_lPT2_lS6_lPT0_l,"axG",@progbits,_ZN9rocsolver6v33100L24sytd2_upper_kernel_smallILi256EdidPdEEvT1_T3_lS3_lPT2_lS6_lPT0_l,comdat
	.globl	_ZN9rocsolver6v33100L24sytd2_upper_kernel_smallILi256EdidPdEEvT1_T3_lS3_lPT2_lS6_lPT0_l ; -- Begin function _ZN9rocsolver6v33100L24sytd2_upper_kernel_smallILi256EdidPdEEvT1_T3_lS3_lPT2_lS6_lPT0_l
	.p2align	8
	.type	_ZN9rocsolver6v33100L24sytd2_upper_kernel_smallILi256EdidPdEEvT1_T3_lS3_lPT2_lS6_lPT0_l,@function
_ZN9rocsolver6v33100L24sytd2_upper_kernel_smallILi256EdidPdEEvT1_T3_lS3_lPT2_lS6_lPT0_l: ; @_ZN9rocsolver6v33100L24sytd2_upper_kernel_smallILi256EdidPdEEvT1_T3_lS3_lPT2_lS6_lPT0_l
; %bb.0:
	s_load_dwordx2 s[8:9], s[4:5], 0x20
	s_load_dword s33, s[4:5], 0x0
	s_load_dwordx4 s[0:3], s[4:5], 0x8
	s_load_dword s36, s[4:5], 0x18
	s_ashr_i32 s6, s7, 31
	s_waitcnt lgkmcnt(0)
	s_mul_i32 s9, s7, s9
	s_mul_hi_u32 s10, s7, s8
	s_add_i32 s9, s10, s9
	s_mul_i32 s10, s6, s8
	s_add_i32 s9, s9, s10
	s_mul_i32 s8, s7, s8
	s_lshl_b64 s[8:9], s[8:9], 3
	s_add_u32 s8, s0, s8
	s_addc_u32 s9, s1, s9
	s_lshl_b64 s[0:1], s[2:3], 3
	s_add_u32 s34, s8, s0
	v_and_b32_e32 v2, 0x7f, v0
	s_addc_u32 s35, s9, s1
	v_cmp_gt_i32_e64 s[0:1], s33, v2
	v_lshrrev_b32_e32 v3, 7, v0
	v_lshlrev_b32_e32 v14, 3, v2
	s_and_saveexec_b64 s[8:9], s[0:1]
	s_cbranch_execz .LBB71_6
; %bb.1:
	v_lshrrev_b32_e32 v1, 7, v0
	v_mul_lo_u32 v4, s33, v1
	v_lshl_add_u32 v4, v4, 3, v14
	v_add3_u32 v8, v4, 0, 8
	v_mad_u64_u32 v[4:5], s[2:3], s36, v1, v[2:3]
	v_cmp_gt_u32_e32 vcc, s33, v1
	s_lshl_b32 s16, s33, 4
	s_lshl_b32 s17, s36, 1
	s_mov_b64 s[10:11], 0
	v_mov_b32_e32 v5, v2
	s_branch .LBB71_3
.LBB71_2:                               ;   in Loop: Header=BB71_3 Depth=1
	s_or_b64 exec, exec, s[12:13]
	v_add_u32_e32 v5, 0x80, v5
	v_cmp_le_i32_e64 s[2:3], s33, v5
	v_add_u32_e32 v8, 0x400, v8
	s_or_b64 s[10:11], s[2:3], s[10:11]
	v_add_u32_e32 v4, 0x80, v4
	s_andn2_b64 exec, exec, s[10:11]
	s_cbranch_execz .LBB71_6
.LBB71_3:                               ; =>This Loop Header: Depth=1
                                        ;     Child Loop BB71_5 Depth 2
	s_and_saveexec_b64 s[12:13], vcc
	s_cbranch_execz .LBB71_2
; %bb.4:                                ;   in Loop: Header=BB71_3 Depth=1
	s_mov_b64 s[14:15], 0
	v_mov_b32_e32 v6, v4
	v_mov_b32_e32 v9, v8
	;; [unrolled: 1-line block ×3, first 2 shown]
.LBB71_5:                               ;   Parent Loop BB71_3 Depth=1
                                        ; =>  This Inner Loop Header: Depth=2
	v_ashrrev_i32_e32 v7, 31, v6
	v_lshlrev_b64 v[12:13], 3, v[6:7]
	v_mov_b32_e32 v11, s35
	v_add_co_u32_e64 v12, s[2:3], s34, v12
	v_addc_co_u32_e64 v13, s[2:3], v11, v13, s[2:3]
	global_load_dwordx2 v[12:13], v[12:13], off
	v_add_u32_e32 v10, 2, v10
	v_cmp_le_i32_e64 s[2:3], s33, v10
	v_add_u32_e32 v6, s17, v6
	s_or_b64 s[14:15], s[2:3], s[14:15]
	s_waitcnt vmcnt(0)
	ds_write_b64 v9, v[12:13]
	v_add_u32_e32 v9, s16, v9
	s_andn2_b64 exec, exec, s[14:15]
	s_cbranch_execnz .LBB71_5
	s_branch .LBB71_2
.LBB71_6:
	s_or_b64 exec, exec, s[8:9]
	s_waitcnt lgkmcnt(0)
	s_barrier
	s_and_saveexec_b64 s[8:9], s[0:1]
	s_cbranch_execz .LBB71_14
; %bb.7:
	v_lshrrev_b32_e32 v1, 7, v0
	v_mul_lo_u32 v4, s33, v2
	v_lshlrev_b32_e32 v5, 3, v1
	v_lshl_add_u32 v4, v4, 3, v5
	v_mul_lo_u32 v5, s33, v1
	v_lshl_add_u32 v5, v5, 3, v14
	v_cmp_gt_u32_e32 vcc, s33, v1
	v_add3_u32 v4, v4, 0, 8
	s_lshl_b32 s18, s33, 10
	v_add3_u32 v5, v5, 0, 8
	s_lshl_b32 s19, s33, 4
	s_mov_b64 s[10:11], 0
	v_mov_b32_e32 v6, v2
	s_branch .LBB71_9
.LBB71_8:                               ;   in Loop: Header=BB71_9 Depth=1
	s_or_b64 exec, exec, s[12:13]
	v_add_u32_e32 v6, 0x80, v6
	v_cmp_le_i32_e64 s[2:3], s33, v6
	v_add_u32_e32 v4, s18, v4
	s_or_b64 s[10:11], s[2:3], s[10:11]
	v_add_u32_e32 v5, 0x400, v5
	s_andn2_b64 exec, exec, s[10:11]
	s_cbranch_execz .LBB71_14
.LBB71_9:                               ; =>This Loop Header: Depth=1
                                        ;     Child Loop BB71_12 Depth 2
	s_and_saveexec_b64 s[12:13], vcc
	s_cbranch_execz .LBB71_8
; %bb.10:                               ;   in Loop: Header=BB71_9 Depth=1
	s_mov_b64 s[14:15], 0
	v_mov_b32_e32 v7, v5
	v_mov_b32_e32 v8, v4
	;; [unrolled: 1-line block ×3, first 2 shown]
	s_branch .LBB71_12
.LBB71_11:                              ;   in Loop: Header=BB71_12 Depth=2
	s_or_b64 exec, exec, s[16:17]
	v_add_u32_e32 v9, 2, v9
	v_cmp_le_i32_e64 s[2:3], s33, v9
	v_add_u32_e32 v8, 16, v8
	s_or_b64 s[14:15], s[2:3], s[14:15]
	v_add_u32_e32 v7, s19, v7
	s_andn2_b64 exec, exec, s[14:15]
	s_cbranch_execz .LBB71_8
.LBB71_12:                              ;   Parent Loop BB71_9 Depth=1
                                        ; =>  This Inner Loop Header: Depth=2
	v_cmp_gt_u32_e64 s[2:3], v6, v9
	s_and_saveexec_b64 s[16:17], s[2:3]
	s_cbranch_execz .LBB71_11
; %bb.13:                               ;   in Loop: Header=BB71_12 Depth=2
	ds_read_b64 v[10:11], v8
	s_waitcnt lgkmcnt(0)
	ds_write_b64 v7, v[10:11]
	s_branch .LBB71_11
.LBB71_14:
	s_or_b64 exec, exec, s[8:9]
	s_cmp_lt_i32 s33, 2
	s_waitcnt lgkmcnt(0)
	s_barrier
	s_cbranch_scc1 .LBB71_64
; %bb.15:
	s_load_dwordx8 s[8:15], s[4:5], 0x38
	v_mbcnt_lo_u32_b32 v1, -1, 0
	v_mbcnt_hi_u32_b32 v4, -1, v1
	v_and_b32_e32 v5, 63, v4
	v_cmp_ne_u32_e32 vcc, 63, v5
	s_waitcnt lgkmcnt(0)
	s_mul_i32 s3, s7, s11
	s_mul_hi_u32 s4, s7, s10
	s_mul_i32 s5, s6, s10
	s_add_i32 s3, s4, s3
	s_mul_i32 s2, s7, s10
	s_add_i32 s3, s3, s5
	s_lshl_b64 s[2:3], s[2:3], 3
	s_mul_i32 s10, s7, s15
	s_add_u32 s37, s8, s2
	s_mul_hi_u32 s2, s7, s14
	s_addc_u32 s38, s9, s3
	s_add_i32 s2, s2, s10
	s_mul_i32 s3, s6, s14
	s_add_i32 s3, s2, s3
	s_mul_i32 s2, s7, s14
	v_addc_co_u32_e32 v1, vcc, 0, v4, vcc
	s_lshl_b64 s[2:3], s[2:3], 3
	v_cmp_gt_u32_e32 vcc, 62, v5
	s_add_u32 s39, s12, s2
	s_mul_i32 s2, s33, s33
	v_cndmask_b32_e64 v6, 0, 1, vcc
	s_addc_u32 s40, s13, s3
	s_lshl_b32 s2, s2, 3
	v_lshlrev_b32_e32 v6, 1, v6
	v_cmp_gt_u32_e32 vcc, 60, v5
	s_add_i32 s2, s2, 0
	s_lshl_b32 s42, s33, 3
	v_add_lshl_u32 v15, v6, v4, 2
	v_cndmask_b32_e64 v6, 0, 1, vcc
	s_add_i32 s44, s2, s42
	v_lshlrev_b32_e32 v6, 2, v6
	v_cmp_gt_u32_e32 vcc, 56, v5
	s_add_i32 s41, s2, 8
	s_add_i32 s43, s44, s42
	v_add_lshl_u32 v16, v6, v4, 2
	v_cndmask_b32_e64 v6, 0, 1, vcc
	v_lshlrev_b32_e32 v6, 3, v6
	v_cmp_gt_u32_e32 vcc, 48, v5
	s_cmp_eq_u64 s[8:9], 0
	v_add_lshl_u32 v17, v6, v4, 2
	v_cndmask_b32_e64 v6, 0, 1, vcc
	v_cmp_gt_u32_e32 vcc, 32, v5
	s_cselect_b64 s[12:13], -1, 0
	s_cmp_lg_u64 s[8:9], 0
	v_cndmask_b32_e64 v5, 0, 1, vcc
	s_cselect_b64 s[14:15], -1, 0
	s_add_i32 s6, s33, -1
	v_lshlrev_b32_e32 v5, 5, v5
	s_mul_i32 s6, s33, s6
	v_add_lshl_u32 v19, v5, v4, 2
	v_lshlrev_b32_e32 v5, 3, v0
	s_lshl_b32 s6, s6, 3
	v_add_u32_e32 v20, s41, v5
	s_add_i32 s6, s6, 0
	v_add_u32_e32 v5, 8, v5
	v_lshlrev_b32_e32 v6, 4, v6
	v_add_u32_e32 v21, s6, v5
	s_add_i32 s6, s42, 8
	v_add_lshl_u32 v18, v6, v4, 2
	v_and_b32_e32 v4, 63, v0
	s_mul_i32 s6, s33, s6
	v_cmp_eq_u32_e64 s[2:3], 0, v4
	v_lshrrev_b32_e32 v4, 3, v0
	s_add_i32 s6, s6, 0
	s_mov_b32 s16, 0
	s_mov_b32 s11, 0
	v_lshlrev_b32_e32 v1, 2, v1
	v_cmp_eq_u32_e64 s[4:5], 0, v0
	s_add_i32 s44, s44, 8
	s_sub_i32 s45, 0, s42
	v_add_u32_e32 v22, 0, v5
	v_add_u32_e32 v23, s6, v5
	;; [unrolled: 1-line block ×3, first 2 shown]
	s_brev_b32 s17, 8
	v_mov_b32_e32 v25, 0x260
	v_mov_b32_e32 v4, 0
	;; [unrolled: 1-line block ×3, first 2 shown]
	s_mov_b32 s46, s33
	s_branch .LBB71_17
.LBB71_16:                              ;   in Loop: Header=BB71_17 Depth=1
	s_or_b64 exec, exec, s[8:9]
	v_add_u32_e32 v21, s45, v21
	s_cmp_lt_i32 s46, 3
	s_mov_b32 s46, s47
	s_waitcnt lgkmcnt(0)
	s_barrier
	s_cbranch_scc1 .LBB71_64
.LBB71_17:                              ; =>This Loop Header: Depth=1
                                        ;     Child Loop BB71_19 Depth 2
                                        ;     Child Loop BB71_22 Depth 2
	;; [unrolled: 1-line block ×4, first 2 shown]
                                        ;       Child Loop BB71_40 Depth 3
                                        ;     Child Loop BB71_43 Depth 2
                                        ;     Child Loop BB71_46 Depth 2
	;; [unrolled: 1-line block ×4, first 2 shown]
                                        ;       Child Loop BB71_58 Depth 3
	s_add_i32 s47, s46, -1
	v_cmp_gt_i32_e64 s[6:7], s47, v0
	s_and_saveexec_b64 s[8:9], s[6:7]
	s_cbranch_execz .LBB71_20
; %bb.18:                               ;   in Loop: Header=BB71_17 Depth=1
	s_mov_b64 s[18:19], 0
	v_mov_b32_e32 v5, v21
	v_mov_b32_e32 v6, v20
	;; [unrolled: 1-line block ×3, first 2 shown]
.LBB71_19:                              ;   Parent Loop BB71_17 Depth=1
                                        ; =>  This Inner Loop Header: Depth=2
	ds_read_b64 v[8:9], v5
	v_add_u32_e32 v7, 0x100, v7
	v_cmp_le_i32_e32 vcc, s47, v7
	v_add_u32_e32 v5, 0x800, v5
	s_or_b64 s[18:19], vcc, s[18:19]
	s_waitcnt lgkmcnt(0)
	ds_write_b64 v6, v[8:9]
	v_add_u32_e32 v6, 0x800, v6
	s_andn2_b64 exec, exec, s[18:19]
	s_cbranch_execnz .LBB71_19
.LBB71_20:                              ;   in Loop: Header=BB71_17 Depth=1
	s_or_b64 exec, exec, s[8:9]
	s_add_i32 s10, s46, -2
	v_cmp_gt_i32_e64 s[8:9], s10, v0
	v_pk_mov_b32 v[6:7], 0, 0
	s_waitcnt lgkmcnt(0)
	s_barrier
	s_and_saveexec_b64 s[18:19], s[8:9]
	s_cbranch_execz .LBB71_24
; %bb.21:                               ;   in Loop: Header=BB71_17 Depth=1
	s_mov_b64 s[20:21], 0
	v_pk_mov_b32 v[6:7], 0, 0
	v_mov_b32_e32 v5, v20
	v_mov_b32_e32 v8, v0
.LBB71_22:                              ;   Parent Loop BB71_17 Depth=1
                                        ; =>  This Inner Loop Header: Depth=2
	ds_read_b64 v[10:11], v5
	v_add_u32_e32 v8, 0x100, v8
	v_cmp_le_i32_e32 vcc, s10, v8
	v_add_u32_e32 v5, 0x800, v5
	s_or_b64 s[20:21], vcc, s[20:21]
	s_waitcnt lgkmcnt(0)
	v_mul_f64 v[10:11], v[10:11], v[10:11]
	v_add_f64 v[6:7], v[6:7], v[10:11]
	s_andn2_b64 exec, exec, s[20:21]
	s_cbranch_execnz .LBB71_22
; %bb.23:                               ;   in Loop: Header=BB71_17 Depth=1
	s_or_b64 exec, exec, s[20:21]
.LBB71_24:                              ;   in Loop: Header=BB71_17 Depth=1
	s_or_b64 exec, exec, s[18:19]
	ds_bpermute_b32 v8, v1, v6
	ds_bpermute_b32 v9, v1, v7
	s_waitcnt lgkmcnt(0)
	v_add_f64 v[6:7], v[6:7], v[8:9]
	ds_bpermute_b32 v8, v15, v6
	ds_bpermute_b32 v9, v15, v7
	s_waitcnt lgkmcnt(0)
	v_add_f64 v[6:7], v[6:7], v[8:9]
	;; [unrolled: 4-line block ×6, first 2 shown]
	s_and_saveexec_b64 s[18:19], s[2:3]
	s_cbranch_execz .LBB71_26
; %bb.25:                               ;   in Loop: Header=BB71_17 Depth=1
	ds_write_b64 v24, v[6:7] offset:8
.LBB71_26:                              ;   in Loop: Header=BB71_17 Depth=1
	s_or_b64 exec, exec, s[18:19]
	s_waitcnt lgkmcnt(0)
	s_barrier
	s_and_saveexec_b64 s[18:19], s[4:5]
	s_cbranch_execz .LBB71_34
; %bb.27:                               ;   in Loop: Header=BB71_17 Depth=1
	v_mov_b32_e32 v5, s43
	ds_read2_b64 v[8:11], v5 offset0:2 offset1:3
	ds_read_b64 v[12:13], v5 offset:32
	s_lshl_b32 s20, s10, 3
	s_mov_b64 s[26:27], 0
	s_add_i32 s48, s41, s20
	s_waitcnt lgkmcnt(1)
	v_add_f64 v[6:7], v[6:7], v[8:9]
	v_add_f64 v[6:7], v[6:7], v[10:11]
	s_waitcnt lgkmcnt(0)
	v_add_f64 v[10:11], v[6:7], v[12:13]
	v_cmp_nlt_f64_e32 vcc, 0, v[10:11]
	s_mov_b64 s[24:25], 0
                                        ; implicit-def: $sgpr22_sgpr23
                                        ; implicit-def: $sgpr20_sgpr21
                                        ; implicit-def: $vgpr6_vgpr7
                                        ; implicit-def: $sgpr30_sgpr31
	s_and_saveexec_b64 s[28:29], vcc
	s_xor_b64 s[28:29], exec, s[28:29]
	s_cbranch_execnz .LBB71_60
; %bb.28:                               ;   in Loop: Header=BB71_17 Depth=1
	s_or_saveexec_b64 s[28:29], s[28:29]
	v_pk_mov_b32 v[8:9], s[30:31], s[30:31] op_sel:[0,1]
	s_xor_b64 exec, exec, s[28:29]
	s_cbranch_execnz .LBB71_63
.LBB71_29:                              ;   in Loop: Header=BB71_17 Depth=1
	s_or_b64 exec, exec, s[28:29]
	s_and_saveexec_b64 s[28:29], s[24:25]
	s_cbranch_execz .LBB71_31
.LBB71_30:                              ;   in Loop: Header=BB71_17 Depth=1
	s_lshl_b64 s[24:25], s[10:11], 3
	s_add_u32 s24, s37, s24
	s_addc_u32 s25, s38, s25
	s_waitcnt lgkmcnt(0)
	global_store_dwordx2 v4, v[6:7], s[24:25]
	v_mov_b32_e32 v6, 0
	v_mov_b32_e32 v7, 0x3ff00000
	s_or_b64 s[26:27], s[26:27], exec
.LBB71_31:                              ;   in Loop: Header=BB71_17 Depth=1
	s_or_b64 exec, exec, s[28:29]
	v_pk_mov_b32 v[10:11], s[20:21], s[20:21] op_sel:[0,1]
	v_pk_mov_b32 v[12:13], s[22:23], s[22:23] op_sel:[0,1]
	s_and_saveexec_b64 s[20:21], s[26:27]
	s_cbranch_execz .LBB71_33
; %bb.32:                               ;   in Loop: Header=BB71_17 Depth=1
	v_mov_b32_e32 v5, s48
	s_waitcnt lgkmcnt(0)
	ds_write_b64 v5, v[6:7]
	ds_read_b64 v[10:11], v4
	v_pk_mov_b32 v[12:13], v[8:9], v[8:9] op_sel:[0,1]
.LBB71_33:                              ;   in Loop: Header=BB71_17 Depth=1
	s_or_b64 exec, exec, s[20:21]
	s_lshl_b64 s[20:21], s[10:11], 3
	s_add_u32 s20, s39, s20
	s_addc_u32 s21, s40, s21
	v_mov_b32_e32 v5, s43
	s_waitcnt lgkmcnt(0)
	global_store_dwordx2 v4, v[10:11], s[20:21]
	ds_write_b64 v5, v[12:13] offset:8
.LBB71_34:                              ;   in Loop: Header=BB71_17 Depth=1
	s_or_b64 exec, exec, s[18:19]
	s_waitcnt lgkmcnt(0)
	s_barrier
	s_and_saveexec_b64 s[18:19], s[8:9]
	s_cbranch_execz .LBB71_37
; %bb.35:                               ;   in Loop: Header=BB71_17 Depth=1
	s_mov_b64 s[8:9], 0
	v_mov_b32_e32 v5, v20
	v_mov_b32_e32 v6, v0
.LBB71_36:                              ;   Parent Loop BB71_17 Depth=1
                                        ; =>  This Inner Loop Header: Depth=2
	v_mov_b32_e32 v7, s43
	ds_read_b64 v[8:9], v5
	ds_read_b64 v[10:11], v7 offset:8
	v_add_u32_e32 v6, 0x100, v6
	v_cmp_le_i32_e32 vcc, s10, v6
	s_or_b64 s[8:9], vcc, s[8:9]
	s_waitcnt lgkmcnt(0)
	v_mul_f64 v[8:9], v[10:11], v[8:9]
	ds_write_b64 v5, v[8:9]
	v_add_u32_e32 v5, 0x800, v5
	s_andn2_b64 exec, exec, s[8:9]
	s_cbranch_execnz .LBB71_36
.LBB71_37:                              ;   in Loop: Header=BB71_17 Depth=1
	s_or_b64 exec, exec, s[18:19]
	s_waitcnt lgkmcnt(0)
	s_barrier
	s_and_saveexec_b64 s[8:9], s[6:7]
	s_cbranch_execz .LBB71_44
; %bb.38:                               ;   in Loop: Header=BB71_17 Depth=1
	s_mov_b64 s[18:19], 0
	v_mov_b32_e32 v5, v22
	v_mov_b32_e32 v8, v0
.LBB71_39:                              ;   Parent Loop BB71_17 Depth=1
                                        ; =>  This Loop Header: Depth=2
                                        ;       Child Loop BB71_40 Depth 3
	s_mov_b32 s10, 0
	v_pk_mov_b32 v[6:7], 0, 0
	v_mov_b32_e32 v9, v5
	s_mov_b32 s20, s41
.LBB71_40:                              ;   Parent Loop BB71_17 Depth=1
                                        ;     Parent Loop BB71_39 Depth=2
                                        ; =>    This Inner Loop Header: Depth=3
	v_mov_b32_e32 v12, s20
	ds_read_b64 v[10:11], v9
	ds_read_b64 v[12:13], v12
	s_add_i32 s10, s10, 1
	s_add_i32 s20, s20, 8
	v_add_u32_e32 v9, s42, v9
	s_cmp_ge_i32 s10, s47
	s_waitcnt lgkmcnt(0)
	v_fmac_f64_e32 v[6:7], v[10:11], v[12:13]
	s_cbranch_scc0 .LBB71_40
; %bb.41:                               ;   in Loop: Header=BB71_39 Depth=2
	ds_read_b64 v[10:11], v4
	v_lshl_add_u32 v9, v8, 3, s44
	v_add_u32_e32 v8, 0x100, v8
	v_cmp_le_i32_e32 vcc, s47, v8
	s_or_b64 s[18:19], vcc, s[18:19]
	s_waitcnt lgkmcnt(0)
	v_mul_f64 v[6:7], v[6:7], v[10:11]
	v_add_u32_e32 v5, 0x800, v5
	ds_write_b64 v9, v[6:7]
	s_andn2_b64 exec, exec, s[18:19]
	s_cbranch_execnz .LBB71_39
; %bb.42:                               ;   in Loop: Header=BB71_17 Depth=1
	s_or_b64 exec, exec, s[18:19]
	s_mov_b32 s10, 0
	s_mov_b64 s[18:19], 0
	v_mov_b32_e32 v5, v0
.LBB71_43:                              ;   Parent Loop BB71_17 Depth=1
                                        ; =>  This Inner Loop Header: Depth=2
	v_add_u32_e32 v6, s10, v20
	ds_read_b64 v[6:7], v6
	v_add_u32_e32 v5, 0x100, v5
	v_add_u32_e32 v8, s10, v21
	s_addk_i32 s10, 0x800
	v_cmp_le_i32_e32 vcc, s47, v5
	s_or_b64 s[18:19], vcc, s[18:19]
	s_waitcnt lgkmcnt(0)
	ds_write_b64 v8, v[6:7]
	s_andn2_b64 exec, exec, s[18:19]
	s_cbranch_execnz .LBB71_43
.LBB71_44:                              ;   in Loop: Header=BB71_17 Depth=1
	s_or_b64 exec, exec, s[8:9]
	v_pk_mov_b32 v[6:7], 0, 0
	s_waitcnt lgkmcnt(0)
	s_barrier
	s_and_saveexec_b64 s[8:9], s[6:7]
	s_cbranch_execz .LBB71_48
; %bb.45:                               ;   in Loop: Header=BB71_17 Depth=1
	s_mov_b64 s[18:19], 0
	v_pk_mov_b32 v[6:7], 0, 0
	v_mov_b32_e32 v5, v20
	v_mov_b32_e32 v8, v23
	v_mov_b32_e32 v9, v0
.LBB71_46:                              ;   Parent Loop BB71_17 Depth=1
                                        ; =>  This Inner Loop Header: Depth=2
	ds_read_b64 v[10:11], v5
	ds_read_b64 v[12:13], v8
	v_add_u32_e32 v9, 0x100, v9
	v_cmp_le_i32_e32 vcc, s47, v9
	v_add_u32_e32 v8, 0x800, v8
	v_add_u32_e32 v5, 0x800, v5
	s_waitcnt lgkmcnt(0)
	v_mul_f64 v[10:11], v[10:11], v[12:13]
	s_or_b64 s[18:19], vcc, s[18:19]
	v_add_f64 v[6:7], v[6:7], v[10:11]
	s_andn2_b64 exec, exec, s[18:19]
	s_cbranch_execnz .LBB71_46
; %bb.47:                               ;   in Loop: Header=BB71_17 Depth=1
	s_or_b64 exec, exec, s[18:19]
.LBB71_48:                              ;   in Loop: Header=BB71_17 Depth=1
	s_or_b64 exec, exec, s[8:9]
	ds_bpermute_b32 v8, v1, v6
	ds_bpermute_b32 v9, v1, v7
	s_waitcnt lgkmcnt(0)
	v_add_f64 v[6:7], v[6:7], v[8:9]
	ds_bpermute_b32 v8, v15, v6
	ds_bpermute_b32 v9, v15, v7
	s_waitcnt lgkmcnt(0)
	v_add_f64 v[6:7], v[6:7], v[8:9]
	;; [unrolled: 4-line block ×6, first 2 shown]
	s_and_saveexec_b64 s[8:9], s[2:3]
	s_cbranch_execz .LBB71_50
; %bb.49:                               ;   in Loop: Header=BB71_17 Depth=1
	ds_write_b64 v24, v[6:7] offset:8
.LBB71_50:                              ;   in Loop: Header=BB71_17 Depth=1
	s_or_b64 exec, exec, s[8:9]
	s_waitcnt lgkmcnt(0)
	s_barrier
	s_and_saveexec_b64 s[8:9], s[4:5]
	s_cbranch_execz .LBB71_52
; %bb.51:                               ;   in Loop: Header=BB71_17 Depth=1
	v_mov_b32_e32 v5, s43
	ds_read2_b64 v[8:11], v5 offset0:2 offset1:3
	ds_read_b64 v[12:13], v5 offset:32
	ds_read_b64 v[28:29], v4
	s_waitcnt lgkmcnt(2)
	v_add_f64 v[6:7], v[6:7], v[8:9]
	v_add_f64 v[6:7], v[6:7], v[10:11]
	s_waitcnt lgkmcnt(1)
	v_add_f64 v[6:7], v[6:7], v[12:13]
	s_waitcnt lgkmcnt(0)
	v_mul_f64 v[8:9], v[28:29], -0.5
	v_mul_f64 v[6:7], v[6:7], v[8:9]
	ds_write_b64 v5, v[6:7] offset:8
.LBB71_52:                              ;   in Loop: Header=BB71_17 Depth=1
	s_or_b64 exec, exec, s[8:9]
	s_waitcnt lgkmcnt(0)
	s_barrier
	s_and_saveexec_b64 s[8:9], s[6:7]
	s_cbranch_execz .LBB71_55
; %bb.53:                               ;   in Loop: Header=BB71_17 Depth=1
	s_mov_b64 s[18:19], 0
	v_mov_b32_e32 v5, v20
	v_mov_b32_e32 v6, v23
	v_mov_b32_e32 v7, v0
.LBB71_54:                              ;   Parent Loop BB71_17 Depth=1
                                        ; =>  This Inner Loop Header: Depth=2
	v_mov_b32_e32 v12, s43
	ds_read_b64 v[8:9], v5
	ds_read_b64 v[10:11], v6
	ds_read_b64 v[12:13], v12 offset:8
	v_add_u32_e32 v7, 0x100, v7
	v_cmp_le_i32_e32 vcc, s47, v7
	s_or_b64 s[18:19], vcc, s[18:19]
	v_add_u32_e32 v5, 0x800, v5
	s_waitcnt lgkmcnt(0)
	v_fmac_f64_e32 v[10:11], v[12:13], v[8:9]
	ds_write_b64 v6, v[10:11]
	v_add_u32_e32 v6, 0x800, v6
	s_andn2_b64 exec, exec, s[18:19]
	s_cbranch_execnz .LBB71_54
.LBB71_55:                              ;   in Loop: Header=BB71_17 Depth=1
	s_or_b64 exec, exec, s[8:9]
	s_waitcnt lgkmcnt(0)
	s_barrier
	s_and_saveexec_b64 s[8:9], s[6:7]
	s_cbranch_execz .LBB71_16
; %bb.56:                               ;   in Loop: Header=BB71_17 Depth=1
	s_mov_b64 s[6:7], 0
	v_mov_b32_e32 v5, v22
	v_mov_b32_e32 v6, v0
.LBB71_57:                              ;   Parent Loop BB71_17 Depth=1
                                        ; =>  This Loop Header: Depth=2
                                        ;       Child Loop BB71_58 Depth 3
	v_lshlrev_b32_e32 v8, 3, v6
	v_add_u32_e32 v7, s41, v8
	v_add_u32_e32 v8, s44, v8
	s_mov_b32 s10, 0
	v_mov_b32_e32 v9, v5
	s_mov_b32 s18, s44
	s_mov_b32 s19, s41
.LBB71_58:                              ;   Parent Loop BB71_17 Depth=1
                                        ;     Parent Loop BB71_57 Depth=2
                                        ; =>    This Inner Loop Header: Depth=3
	ds_read_b64 v[10:11], v9
	v_mov_b32_e32 v12, s18
	v_mov_b32_e32 v27, s19
	ds_read_b64 v[12:13], v12
	ds_read_b64 v[28:29], v7
	ds_read_b64 v[30:31], v8
	ds_read_b64 v[32:33], v27
	s_add_i32 s10, s10, 1
	s_add_i32 s19, s19, 8
	s_waitcnt lgkmcnt(2)
	v_fma_f64 v[10:11], -v[28:29], v[12:13], v[10:11]
	s_add_i32 s18, s18, 8
	s_waitcnt lgkmcnt(0)
	v_fma_f64 v[10:11], -v[30:31], v[32:33], v[10:11]
	ds_write_b64 v9, v[10:11]
	s_cmp_ge_i32 s10, s47
	v_add_u32_e32 v9, s42, v9
	s_cbranch_scc0 .LBB71_58
; %bb.59:                               ;   in Loop: Header=BB71_57 Depth=2
	v_add_u32_e32 v6, 0x100, v6
	v_cmp_le_i32_e32 vcc, s47, v6
	s_or_b64 s[6:7], vcc, s[6:7]
	v_add_u32_e32 v5, 0x800, v5
	s_andn2_b64 exec, exec, s[6:7]
	s_cbranch_execnz .LBB71_57
	s_branch .LBB71_16
.LBB71_60:                              ;   in Loop: Header=BB71_17 Depth=1
	v_mov_b32_e32 v5, v4
	s_mov_b64 s[20:21], 0
	s_and_b64 vcc, exec, s[14:15]
	ds_write_b64 v4, v[4:5]
                                        ; implicit-def: $vgpr6_vgpr7
                                        ; implicit-def: $sgpr30_sgpr31
	s_cbranch_vccz .LBB71_62
; %bb.61:                               ;   in Loop: Header=BB71_17 Depth=1
	v_mov_b32_e32 v5, s48
	ds_read_b64 v[6:7], v5
	s_mov_b64 s[24:25], -1
	s_mov_b64 s[30:31], 1.0
.LBB71_62:                              ;   in Loop: Header=BB71_17 Depth=1
	s_mov_b64 s[22:23], 1.0
	s_and_b64 s[24:25], s[24:25], exec
                                        ; implicit-def: $vgpr10_vgpr11
	s_or_saveexec_b64 s[28:29], s[28:29]
	v_pk_mov_b32 v[8:9], s[30:31], s[30:31] op_sel:[0,1]
	s_xor_b64 exec, exec, s[28:29]
	s_cbranch_execz .LBB71_29
.LBB71_63:                              ;   in Loop: Header=BB71_17 Depth=1
	v_mov_b32_e32 v5, s48
	ds_read_b64 v[8:9], v5
	s_andn2_b64 s[24:25], s[24:25], exec
	s_and_b64 s[30:31], s[14:15], exec
	s_or_b64 s[24:25], s[24:25], s[30:31]
	s_waitcnt lgkmcnt(0)
	v_fmac_f64_e32 v[10:11], v[8:9], v[8:9]
	v_cmp_gt_f64_e32 vcc, s[16:17], v[10:11]
	v_cndmask_b32_e64 v5, 0, 1, vcc
	v_lshlrev_b32_e32 v5, 8, v5
	v_ldexp_f64 v[6:7], v[10:11], v5
	v_rsq_f64_e32 v[10:11], v[6:7]
	v_cndmask_b32_e32 v5, 0, v26, vcc
	v_cmp_class_f64_e32 vcc, v[6:7], v25
	v_mul_f64 v[12:13], v[6:7], v[10:11]
	v_mul_f64 v[10:11], v[10:11], 0.5
	v_fma_f64 v[28:29], -v[10:11], v[12:13], 0.5
	v_fmac_f64_e32 v[12:13], v[12:13], v[28:29]
	v_fmac_f64_e32 v[10:11], v[10:11], v[28:29]
	v_fma_f64 v[28:29], -v[12:13], v[12:13], v[6:7]
	v_fmac_f64_e32 v[12:13], v[28:29], v[10:11]
	v_fma_f64 v[28:29], -v[12:13], v[12:13], v[6:7]
	v_fmac_f64_e32 v[12:13], v[28:29], v[10:11]
	v_ldexp_f64 v[10:11], v[12:13], v5
	v_cndmask_b32_e32 v5, v11, v7, vcc
	v_cndmask_b32_e32 v6, v10, v6, vcc
	v_xor_b32_e32 v7, 0x80000000, v5
	v_cmp_le_f64_e32 vcc, 0, v[8:9]
	v_cndmask_b32_e32 v7, v5, v7, vcc
	v_add_f64 v[10:11], v[8:9], -v[6:7]
	v_div_scale_f64 v[12:13], s[26:27], v[10:11], v[10:11], 1.0
	v_rcp_f64_e32 v[28:29], v[12:13]
	v_div_scale_f64 v[30:31], vcc, 1.0, v[10:11], 1.0
	v_fma_f64 v[32:33], -v[12:13], v[28:29], 1.0
	v_fmac_f64_e32 v[28:29], v[28:29], v[32:33]
	v_fma_f64 v[32:33], -v[12:13], v[28:29], 1.0
	v_fmac_f64_e32 v[28:29], v[28:29], v[32:33]
	v_mul_f64 v[32:33], v[30:31], v[28:29]
	v_fma_f64 v[12:13], -v[12:13], v[32:33], v[30:31]
	v_add_f64 v[30:31], v[6:7], -v[8:9]
	v_div_scale_f64 v[34:35], s[26:27], v[6:7], v[6:7], v[30:31]
	v_rcp_f64_e32 v[36:37], v[34:35]
	v_div_fmas_f64 v[8:9], v[12:13], v[28:29], v[32:33]
	v_div_fixup_f64 v[8:9], v[8:9], v[10:11], 1.0
	s_and_b64 s[26:27], s[12:13], exec
	v_fma_f64 v[10:11], -v[34:35], v[36:37], 1.0
	v_fmac_f64_e32 v[36:37], v[36:37], v[10:11]
	v_fma_f64 v[10:11], -v[34:35], v[36:37], 1.0
	v_fmac_f64_e32 v[36:37], v[36:37], v[10:11]
	v_div_scale_f64 v[10:11], vcc, v[30:31], v[6:7], v[30:31]
	v_mul_f64 v[12:13], v[10:11], v[36:37]
	v_fma_f64 v[10:11], -v[34:35], v[12:13], v[10:11]
	s_nop 1
	v_div_fmas_f64 v[10:11], v[10:11], v[36:37], v[12:13]
	v_div_fixup_f64 v[10:11], v[10:11], v[6:7], v[30:31]
	ds_write_b64 v4, v[10:11]
	s_or_b64 exec, exec, s[28:29]
	s_and_saveexec_b64 s[28:29], s[24:25]
	s_cbranch_execnz .LBB71_30
	s_branch .LBB71_31
.LBB71_64:
	s_and_saveexec_b64 s[2:3], s[0:1]
	s_cbranch_execz .LBB71_72
; %bb.65:
	v_mad_u64_u32 v[0:1], s[0:1], s36, v3, v[2:3]
	v_mul_lo_u32 v1, s33, v3
	v_lshl_add_u32 v1, v1, 3, v14
	v_cmp_gt_u32_e32 vcc, s33, v3
	s_lshl_b32 s10, s36, 1
	v_add3_u32 v1, v1, 0, 8
	s_lshl_b32 s11, s33, 4
	s_mov_b64 s[2:3], 0
	s_branch .LBB71_67
.LBB71_66:                              ;   in Loop: Header=BB71_67 Depth=1
	s_or_b64 exec, exec, s[4:5]
	v_add_u32_e32 v2, 0x80, v2
	v_cmp_le_i32_e64 s[0:1], s33, v2
	v_add_u32_e32 v0, 0x80, v0
	s_or_b64 s[2:3], s[0:1], s[2:3]
	v_add_u32_e32 v1, 0x400, v1
	s_andn2_b64 exec, exec, s[2:3]
	s_cbranch_execz .LBB71_72
.LBB71_67:                              ; =>This Loop Header: Depth=1
                                        ;     Child Loop BB71_70 Depth 2
	s_and_saveexec_b64 s[4:5], vcc
	s_cbranch_execz .LBB71_66
; %bb.68:                               ;   in Loop: Header=BB71_67 Depth=1
	s_mov_b64 s[6:7], 0
	v_mov_b32_e32 v6, v1
	v_mov_b32_e32 v4, v0
	;; [unrolled: 1-line block ×3, first 2 shown]
	s_branch .LBB71_70
.LBB71_69:                              ;   in Loop: Header=BB71_70 Depth=2
	s_or_b64 exec, exec, s[8:9]
	v_add_u32_e32 v7, 2, v7
	v_cmp_le_i32_e64 s[0:1], s33, v7
	v_add_u32_e32 v4, s10, v4
	s_or_b64 s[6:7], s[0:1], s[6:7]
	v_add_u32_e32 v6, s11, v6
	s_andn2_b64 exec, exec, s[6:7]
	s_cbranch_execz .LBB71_66
.LBB71_70:                              ;   Parent Loop BB71_67 Depth=1
                                        ; =>  This Inner Loop Header: Depth=2
	v_cmp_le_u32_e64 s[0:1], v2, v7
	s_and_saveexec_b64 s[8:9], s[0:1]
	s_cbranch_execz .LBB71_69
; %bb.71:                               ;   in Loop: Header=BB71_70 Depth=2
	ds_read_b64 v[8:9], v6
	v_ashrrev_i32_e32 v5, 31, v4
	v_lshlrev_b64 v[10:11], 3, v[4:5]
	v_mov_b32_e32 v5, s35
	v_add_co_u32_e64 v10, s[0:1], s34, v10
	v_addc_co_u32_e64 v11, s[0:1], v5, v11, s[0:1]
	s_waitcnt lgkmcnt(0)
	global_store_dwordx2 v[10:11], v[8:9], off
	s_branch .LBB71_69
.LBB71_72:
	s_endpgm
	.section	.rodata,"a",@progbits
	.p2align	6, 0x0
	.amdhsa_kernel _ZN9rocsolver6v33100L24sytd2_upper_kernel_smallILi256EdidPdEEvT1_T3_lS3_lPT2_lS6_lPT0_l
		.amdhsa_group_segment_fixed_size 0
		.amdhsa_private_segment_fixed_size 0
		.amdhsa_kernarg_size 88
		.amdhsa_user_sgpr_count 6
		.amdhsa_user_sgpr_private_segment_buffer 1
		.amdhsa_user_sgpr_dispatch_ptr 0
		.amdhsa_user_sgpr_queue_ptr 0
		.amdhsa_user_sgpr_kernarg_segment_ptr 1
		.amdhsa_user_sgpr_dispatch_id 0
		.amdhsa_user_sgpr_flat_scratch_init 0
		.amdhsa_user_sgpr_kernarg_preload_length 0
		.amdhsa_user_sgpr_kernarg_preload_offset 0
		.amdhsa_user_sgpr_private_segment_size 0
		.amdhsa_uses_dynamic_stack 0
		.amdhsa_system_sgpr_private_segment_wavefront_offset 0
		.amdhsa_system_sgpr_workgroup_id_x 1
		.amdhsa_system_sgpr_workgroup_id_y 0
		.amdhsa_system_sgpr_workgroup_id_z 1
		.amdhsa_system_sgpr_workgroup_info 0
		.amdhsa_system_vgpr_workitem_id 0
		.amdhsa_next_free_vgpr 38
		.amdhsa_next_free_sgpr 49
		.amdhsa_accum_offset 40
		.amdhsa_reserve_vcc 1
		.amdhsa_reserve_flat_scratch 0
		.amdhsa_float_round_mode_32 0
		.amdhsa_float_round_mode_16_64 0
		.amdhsa_float_denorm_mode_32 3
		.amdhsa_float_denorm_mode_16_64 3
		.amdhsa_dx10_clamp 1
		.amdhsa_ieee_mode 1
		.amdhsa_fp16_overflow 0
		.amdhsa_tg_split 0
		.amdhsa_exception_fp_ieee_invalid_op 0
		.amdhsa_exception_fp_denorm_src 0
		.amdhsa_exception_fp_ieee_div_zero 0
		.amdhsa_exception_fp_ieee_overflow 0
		.amdhsa_exception_fp_ieee_underflow 0
		.amdhsa_exception_fp_ieee_inexact 0
		.amdhsa_exception_int_div_zero 0
	.end_amdhsa_kernel
	.section	.text._ZN9rocsolver6v33100L24sytd2_upper_kernel_smallILi256EdidPdEEvT1_T3_lS3_lPT2_lS6_lPT0_l,"axG",@progbits,_ZN9rocsolver6v33100L24sytd2_upper_kernel_smallILi256EdidPdEEvT1_T3_lS3_lPT2_lS6_lPT0_l,comdat
.Lfunc_end71:
	.size	_ZN9rocsolver6v33100L24sytd2_upper_kernel_smallILi256EdidPdEEvT1_T3_lS3_lPT2_lS6_lPT0_l, .Lfunc_end71-_ZN9rocsolver6v33100L24sytd2_upper_kernel_smallILi256EdidPdEEvT1_T3_lS3_lPT2_lS6_lPT0_l
                                        ; -- End function
	.section	.AMDGPU.csdata,"",@progbits
; Kernel info:
; codeLenInByte = 3496
; NumSgprs: 53
; NumVgprs: 38
; NumAgprs: 0
; TotalNumVgprs: 38
; ScratchSize: 0
; MemoryBound: 0
; FloatMode: 240
; IeeeMode: 1
; LDSByteSize: 0 bytes/workgroup (compile time only)
; SGPRBlocks: 6
; VGPRBlocks: 4
; NumSGPRsForWavesPerEU: 53
; NumVGPRsForWavesPerEU: 38
; AccumOffset: 40
; Occupancy: 8
; WaveLimiterHint : 0
; COMPUTE_PGM_RSRC2:SCRATCH_EN: 0
; COMPUTE_PGM_RSRC2:USER_SGPR: 6
; COMPUTE_PGM_RSRC2:TRAP_HANDLER: 0
; COMPUTE_PGM_RSRC2:TGID_X_EN: 1
; COMPUTE_PGM_RSRC2:TGID_Y_EN: 0
; COMPUTE_PGM_RSRC2:TGID_Z_EN: 1
; COMPUTE_PGM_RSRC2:TIDIG_COMP_CNT: 0
; COMPUTE_PGM_RSRC3_GFX90A:ACCUM_OFFSET: 9
; COMPUTE_PGM_RSRC3_GFX90A:TG_SPLIT: 0
	.section	.text._ZN9rocsolver6v33100L8copy_matIdPdNS0_7no_maskEEEvNS0_17copymat_directionEiiT0_iilPT_T1_13rocblas_fill_17rocblas_diagonal_,"axG",@progbits,_ZN9rocsolver6v33100L8copy_matIdPdNS0_7no_maskEEEvNS0_17copymat_directionEiiT0_iilPT_T1_13rocblas_fill_17rocblas_diagonal_,comdat
	.globl	_ZN9rocsolver6v33100L8copy_matIdPdNS0_7no_maskEEEvNS0_17copymat_directionEiiT0_iilPT_T1_13rocblas_fill_17rocblas_diagonal_ ; -- Begin function _ZN9rocsolver6v33100L8copy_matIdPdNS0_7no_maskEEEvNS0_17copymat_directionEiiT0_iilPT_T1_13rocblas_fill_17rocblas_diagonal_
	.p2align	8
	.type	_ZN9rocsolver6v33100L8copy_matIdPdNS0_7no_maskEEEvNS0_17copymat_directionEiiT0_iilPT_T1_13rocblas_fill_17rocblas_diagonal_,@function
_ZN9rocsolver6v33100L8copy_matIdPdNS0_7no_maskEEEvNS0_17copymat_directionEiiT0_iilPT_T1_13rocblas_fill_17rocblas_diagonal_: ; @_ZN9rocsolver6v33100L8copy_matIdPdNS0_7no_maskEEEvNS0_17copymat_directionEiiT0_iilPT_T1_13rocblas_fill_17rocblas_diagonal_
; %bb.0:
	s_load_dword s0, s[4:5], 0x4c
	s_load_dwordx4 s[12:15], s[4:5], 0x0
	v_bfe_u32 v1, v0, 10, 10
	v_and_b32_e32 v0, 0x3ff, v0
	s_waitcnt lgkmcnt(0)
	s_lshr_b32 s1, s0, 16
	s_and_b32 s0, s0, 0xffff
	s_mul_i32 s7, s7, s1
	s_mul_i32 s6, s6, s0
	v_add_u32_e32 v1, s7, v1
	v_add_u32_e32 v0, s6, v0
	v_cmp_gt_u32_e32 vcc, s13, v0
	v_cmp_gt_u32_e64 s[0:1], s14, v1
	s_and_b64 s[0:1], s[0:1], vcc
	s_and_saveexec_b64 s[2:3], s[0:1]
	s_cbranch_execz .LBB72_14
; %bb.1:
	s_load_dwordx2 s[2:3], s[4:5], 0x34
	s_waitcnt lgkmcnt(0)
	s_cmpk_lt_i32 s2, 0x7a
	s_cbranch_scc1 .LBB72_4
; %bb.2:
	s_cmpk_gt_i32 s2, 0x7a
	s_cbranch_scc0 .LBB72_5
; %bb.3:
	s_cmpk_lg_i32 s2, 0x7b
	s_mov_b64 s[6:7], -1
	s_cselect_b64 s[10:11], -1, 0
	s_cbranch_execz .LBB72_6
	s_branch .LBB72_7
.LBB72_4:
	s_mov_b64 s[10:11], 0
	s_mov_b64 s[6:7], 0
	s_cbranch_execnz .LBB72_8
	s_branch .LBB72_10
.LBB72_5:
	s_mov_b64 s[6:7], 0
	s_mov_b64 s[10:11], 0
.LBB72_6:
	v_cmp_gt_u32_e32 vcc, v0, v1
	v_cmp_le_u32_e64 s[0:1], v0, v1
	s_andn2_b64 s[6:7], s[6:7], exec
	s_and_b64 s[16:17], vcc, exec
	s_andn2_b64 s[10:11], s[10:11], exec
	s_and_b64 s[0:1], s[0:1], exec
	s_or_b64 s[6:7], s[6:7], s[16:17]
	s_or_b64 s[10:11], s[10:11], s[0:1]
.LBB72_7:
	s_branch .LBB72_10
.LBB72_8:
	s_cmpk_eq_i32 s2, 0x79
	s_mov_b64 s[10:11], -1
	s_cbranch_scc0 .LBB72_10
; %bb.9:
	v_cmp_gt_u32_e32 vcc, v1, v0
	v_cmp_le_u32_e64 s[0:1], v1, v0
	s_andn2_b64 s[6:7], s[6:7], exec
	s_and_b64 s[10:11], vcc, exec
	s_or_b64 s[6:7], s[6:7], s[10:11]
	s_orn2_b64 s[10:11], s[0:1], exec
.LBB72_10:
	s_and_saveexec_b64 s[0:1], s[10:11]
; %bb.11:
	s_cmpk_eq_i32 s3, 0x83
	s_cselect_b64 s[2:3], -1, 0
	v_cmp_eq_u32_e32 vcc, v0, v1
	s_and_b64 s[2:3], s[2:3], vcc
	s_andn2_b64 s[6:7], s[6:7], exec
	s_and_b64 s[2:3], s[2:3], exec
	s_or_b64 s[6:7], s[6:7], s[2:3]
; %bb.12:
	s_or_b64 exec, exec, s[0:1]
	s_and_b64 exec, exec, s[6:7]
	s_cbranch_execz .LBB72_14
; %bb.13:
	s_load_dwordx8 s[0:7], s[4:5], 0x10
	s_ashr_i32 s9, s13, 31
	s_ashr_i32 s15, s14, 31
	s_mul_i32 s9, s9, s8
	s_waitcnt lgkmcnt(0)
	s_ashr_i32 s11, s2, 31
	s_mov_b32 s10, s2
	s_mul_i32 s2, s8, s5
	s_mul_hi_u32 s5, s8, s4
	s_add_i32 s5, s5, s2
	s_mul_i32 s4, s8, s4
	s_lshl_b64 s[4:5], s[4:5], 3
	s_add_u32 s2, s0, s4
	s_addc_u32 s4, s1, s5
	s_lshl_b64 s[0:1], s[10:11], 3
	s_add_u32 s2, s2, s0
	s_mul_hi_u32 s0, s13, s8
	s_mul_i32 s5, s13, s8
	s_addc_u32 s4, s4, s1
	s_add_i32 s0, s0, s9
	s_mul_i32 s1, s5, s15
	s_mul_hi_u32 s8, s5, s14
	s_add_i32 s1, s8, s1
	s_mul_i32 s0, s0, s14
	s_add_i32 s1, s1, s0
	s_mul_i32 s0, s5, s14
	s_lshl_b64 s[0:1], s[0:1], 3
	s_add_u32 s5, s6, s0
	s_addc_u32 s6, s7, s1
	s_cmp_eq_u32 s12, 0
	s_cselect_b32 s0, s3, s13
	v_mad_u64_u32 v[2:3], s[0:1], v1, s0, v[0:1]
	v_mov_b32_e32 v3, 0
	s_cselect_b32 s7, s4, s6
	s_cselect_b32 s8, s2, s5
	v_lshlrev_b64 v[4:5], 3, v[2:3]
	v_mov_b32_e32 v2, s7
	v_add_co_u32_e32 v4, vcc, s8, v4
	v_addc_co_u32_e32 v5, vcc, v2, v5, vcc
	global_load_dwordx2 v[4:5], v[4:5], off
	s_cselect_b32 s0, s13, s3
	v_mad_u64_u32 v[0:1], s[0:1], v1, s0, v[0:1]
	v_mov_b32_e32 v1, v3
	s_cselect_b32 s3, s6, s4
	s_cselect_b32 s2, s5, s2
	v_lshlrev_b64 v[0:1], 3, v[0:1]
	v_mov_b32_e32 v2, s3
	v_add_co_u32_e32 v0, vcc, s2, v0
	v_addc_co_u32_e32 v1, vcc, v2, v1, vcc
	s_waitcnt vmcnt(0)
	global_store_dwordx2 v[0:1], v[4:5], off
.LBB72_14:
	s_endpgm
	.section	.rodata,"a",@progbits
	.p2align	6, 0x0
	.amdhsa_kernel _ZN9rocsolver6v33100L8copy_matIdPdNS0_7no_maskEEEvNS0_17copymat_directionEiiT0_iilPT_T1_13rocblas_fill_17rocblas_diagonal_
		.amdhsa_group_segment_fixed_size 0
		.amdhsa_private_segment_fixed_size 0
		.amdhsa_kernarg_size 320
		.amdhsa_user_sgpr_count 6
		.amdhsa_user_sgpr_private_segment_buffer 1
		.amdhsa_user_sgpr_dispatch_ptr 0
		.amdhsa_user_sgpr_queue_ptr 0
		.amdhsa_user_sgpr_kernarg_segment_ptr 1
		.amdhsa_user_sgpr_dispatch_id 0
		.amdhsa_user_sgpr_flat_scratch_init 0
		.amdhsa_user_sgpr_kernarg_preload_length 0
		.amdhsa_user_sgpr_kernarg_preload_offset 0
		.amdhsa_user_sgpr_private_segment_size 0
		.amdhsa_uses_dynamic_stack 0
		.amdhsa_system_sgpr_private_segment_wavefront_offset 0
		.amdhsa_system_sgpr_workgroup_id_x 1
		.amdhsa_system_sgpr_workgroup_id_y 1
		.amdhsa_system_sgpr_workgroup_id_z 1
		.amdhsa_system_sgpr_workgroup_info 0
		.amdhsa_system_vgpr_workitem_id 1
		.amdhsa_next_free_vgpr 6
		.amdhsa_next_free_sgpr 18
		.amdhsa_accum_offset 8
		.amdhsa_reserve_vcc 1
		.amdhsa_reserve_flat_scratch 0
		.amdhsa_float_round_mode_32 0
		.amdhsa_float_round_mode_16_64 0
		.amdhsa_float_denorm_mode_32 3
		.amdhsa_float_denorm_mode_16_64 3
		.amdhsa_dx10_clamp 1
		.amdhsa_ieee_mode 1
		.amdhsa_fp16_overflow 0
		.amdhsa_tg_split 0
		.amdhsa_exception_fp_ieee_invalid_op 0
		.amdhsa_exception_fp_denorm_src 0
		.amdhsa_exception_fp_ieee_div_zero 0
		.amdhsa_exception_fp_ieee_overflow 0
		.amdhsa_exception_fp_ieee_underflow 0
		.amdhsa_exception_fp_ieee_inexact 0
		.amdhsa_exception_int_div_zero 0
	.end_amdhsa_kernel
	.section	.text._ZN9rocsolver6v33100L8copy_matIdPdNS0_7no_maskEEEvNS0_17copymat_directionEiiT0_iilPT_T1_13rocblas_fill_17rocblas_diagonal_,"axG",@progbits,_ZN9rocsolver6v33100L8copy_matIdPdNS0_7no_maskEEEvNS0_17copymat_directionEiiT0_iilPT_T1_13rocblas_fill_17rocblas_diagonal_,comdat
.Lfunc_end72:
	.size	_ZN9rocsolver6v33100L8copy_matIdPdNS0_7no_maskEEEvNS0_17copymat_directionEiiT0_iilPT_T1_13rocblas_fill_17rocblas_diagonal_, .Lfunc_end72-_ZN9rocsolver6v33100L8copy_matIdPdNS0_7no_maskEEEvNS0_17copymat_directionEiiT0_iilPT_T1_13rocblas_fill_17rocblas_diagonal_
                                        ; -- End function
	.section	.AMDGPU.csdata,"",@progbits
; Kernel info:
; codeLenInByte = 520
; NumSgprs: 22
; NumVgprs: 6
; NumAgprs: 0
; TotalNumVgprs: 6
; ScratchSize: 0
; MemoryBound: 0
; FloatMode: 240
; IeeeMode: 1
; LDSByteSize: 0 bytes/workgroup (compile time only)
; SGPRBlocks: 2
; VGPRBlocks: 0
; NumSGPRsForWavesPerEU: 22
; NumVGPRsForWavesPerEU: 6
; AccumOffset: 8
; Occupancy: 8
; WaveLimiterHint : 0
; COMPUTE_PGM_RSRC2:SCRATCH_EN: 0
; COMPUTE_PGM_RSRC2:USER_SGPR: 6
; COMPUTE_PGM_RSRC2:TRAP_HANDLER: 0
; COMPUTE_PGM_RSRC2:TGID_X_EN: 1
; COMPUTE_PGM_RSRC2:TGID_Y_EN: 1
; COMPUTE_PGM_RSRC2:TGID_Z_EN: 1
; COMPUTE_PGM_RSRC2:TIDIG_COMP_CNT: 1
; COMPUTE_PGM_RSRC3_GFX90A:ACCUM_OFFSET: 1
; COMPUTE_PGM_RSRC3_GFX90A:TG_SPLIT: 0
	.section	.text._ZN9rocsolver6v33100L26latrd_lower_updateA_kernelIdPdEEviiT0_iilPT_iil,"axG",@progbits,_ZN9rocsolver6v33100L26latrd_lower_updateA_kernelIdPdEEviiT0_iilPT_iil,comdat
	.globl	_ZN9rocsolver6v33100L26latrd_lower_updateA_kernelIdPdEEviiT0_iilPT_iil ; -- Begin function _ZN9rocsolver6v33100L26latrd_lower_updateA_kernelIdPdEEviiT0_iilPT_iil
	.p2align	8
	.type	_ZN9rocsolver6v33100L26latrd_lower_updateA_kernelIdPdEEviiT0_iilPT_iil,@function
_ZN9rocsolver6v33100L26latrd_lower_updateA_kernelIdPdEEviiT0_iilPT_iil: ; @_ZN9rocsolver6v33100L26latrd_lower_updateA_kernelIdPdEEviiT0_iilPT_iil
; %bb.0:
	s_load_dword s0, s[4:5], 0x44
	s_load_dwordx2 s[24:25], s[4:5], 0x38
	s_load_dwordx2 s[10:11], s[4:5], 0x0
	s_mov_b32 s28, 0
	s_waitcnt lgkmcnt(0)
	s_and_b32 s26, s0, 0xffff
	v_cvt_f32_u32_e32 v1, s26
	s_sub_i32 s2, 0, s26
	s_sub_i32 s10, s10, s11
	s_add_i32 s1, s10, -1
	v_rcp_iflag_f32_e32 v1, v1
	s_ashr_i32 s3, s1, 31
	s_abs_i32 s1, s1
	v_mul_f32_e32 v1, 0x4f7ffffe, v1
	v_cvt_u32_f32_e32 v1, v1
	v_readfirstlane_b32 s9, v1
	s_mul_i32 s2, s2, s9
	s_mul_hi_u32 s2, s9, s2
	s_add_i32 s9, s9, s2
	s_mul_hi_u32 s2, s1, s9
	s_mul_i32 s9, s2, s26
	s_sub_i32 s1, s1, s9
	s_add_i32 s12, s2, 1
	s_sub_i32 s9, s1, s26
	s_cmp_ge_u32 s1, s26
	s_cselect_b32 s2, s12, s2
	s_cselect_b32 s1, s9, s1
	s_add_i32 s9, s2, 1
	s_cmp_ge_u32 s1, s26
	s_cselect_b32 s1, s9, s2
	s_abs_i32 s2, s24
	v_cvt_f32_u32_e32 v1, s2
	s_sub_i32 s9, 0, s2
	s_xor_b32 s1, s1, s3
	s_sub_i32 s1, s1, s3
	v_rcp_iflag_f32_e32 v1, v1
	s_xor_b32 s3, s1, s24
	s_abs_i32 s1, s1
	s_ashr_i32 s3, s3, 31
	v_mul_f32_e32 v1, 0x4f7ffffe, v1
	v_cvt_u32_f32_e32 v1, v1
	v_readfirstlane_b32 s12, v1
	s_mul_i32 s9, s9, s12
	s_mul_hi_u32 s9, s12, s9
	s_add_i32 s12, s12, s9
	s_mul_hi_u32 s9, s1, s12
	s_mul_i32 s12, s9, s2
	s_sub_i32 s1, s1, s12
	s_add_i32 s13, s9, 1
	s_sub_i32 s12, s1, s2
	s_cmp_ge_u32 s1, s2
	s_cselect_b32 s9, s13, s9
	s_cselect_b32 s1, s12, s1
	s_add_i32 s12, s9, 1
	s_cmp_ge_u32 s1, s2
	s_cselect_b32 s1, s12, s9
	s_xor_b32 s1, s1, s3
	s_sub_i32 s27, s1, s3
	s_cmp_lt_i32 s27, 0
	s_cbranch_scc1 .LBB73_20
; %bb.1:
	s_load_dwordx8 s[12:19], s[4:5], 0x8
	s_load_dwordx4 s[20:23], s[4:5], 0x28
	s_ashr_i32 s4, s8, 31
	s_lshr_b32 s29, s0, 16
	v_and_b32_e32 v12, 0x3ff, v0
	s_waitcnt lgkmcnt(0)
	s_mul_i32 s2, s8, s17
	s_mul_hi_u32 s3, s8, s16
	s_add_i32 s2, s3, s2
	s_mul_i32 s3, s4, s16
	s_add_i32 s3, s2, s3
	s_mul_i32 s2, s8, s16
	s_ashr_i32 s1, s14, 31
	s_lshl_b64 s[2:3], s[2:3], 3
	s_mov_b32 s0, s14
	s_add_u32 s2, s12, s2
	s_addc_u32 s3, s13, s3
	s_lshl_b64 s[0:1], s[0:1], 3
	s_add_u32 s5, s2, s0
	s_addc_u32 s9, s3, s1
	s_mul_i32 s2, s8, s23
	s_mul_hi_u32 s3, s8, s22
	s_add_i32 s2, s3, s2
	s_mul_i32 s4, s4, s22
	s_add_i32 s3, s2, s4
	s_mul_i32 s2, s8, s22
	s_ashr_i32 s1, s20, 31
	s_lshl_b64 s[2:3], s[2:3], 3
	s_mov_b32 s0, s20
	s_add_u32 s2, s18, s2
	v_bfe_u32 v13, v0, 10, 10
	s_addc_u32 s3, s19, s3
	s_lshl_b64 s[0:1], s[0:1], 3
	v_cvt_f32_u32_e32 v0, s29
	s_add_u32 s4, s2, s0
	s_addc_u32 s8, s3, s1
	s_ashr_i32 s1, s11, 31
	s_ashr_i32 s2, s15, 31
	s_add_u32 s12, s15, 1
	s_addc_u32 s2, s2, 0
	s_mul_i32 s3, s12, s1
	s_mul_hi_u32 s13, s12, s11
	v_rcp_iflag_f32_e32 v0, v0
	s_add_i32 s3, s13, s3
	s_mul_i32 s2, s2, s11
	s_add_i32 s3, s3, s2
	s_mul_i32 s2, s12, s11
	s_lshl_b64 s[2:3], s[2:3], 3
	s_mov_b32 s0, s11
	s_add_u32 s18, s5, s2
	v_mul_f32_e32 v0, 0x4f7ffffe, v0
	s_addc_u32 s19, s9, s3
	s_lshl_b64 s[0:1], s[0:1], 3
	v_cvt_u32_f32_e32 v0, v0
	s_add_u32 s20, s5, s0
	s_addc_u32 s22, s9, s1
	s_add_u32 s23, s4, s0
	s_addc_u32 s30, s8, s1
	s_sub_i32 s2, 0, s29
	v_readfirstlane_b32 s3, v0
	s_mul_i32 s2, s2, s3
	s_add_i32 s0, s11, -1
	s_mul_hi_u32 s2, s3, s2
	s_ashr_i32 s1, s0, 31
	s_abs_i32 s0, s0
	s_add_i32 s3, s3, s2
	s_mul_hi_u32 s2, s0, s3
	s_mul_i32 s3, s2, s29
	s_sub_i32 s0, s0, s3
	s_add_i32 s3, s2, 1
	s_sub_i32 s4, s0, s29
	s_cmp_ge_u32 s0, s29
	s_cselect_b32 s2, s3, s2
	s_cselect_b32 s0, s4, s0
	s_add_i32 s3, s2, 1
	s_cmp_ge_u32 s0, s29
	s_cselect_b32 s0, s3, s2
	s_abs_i32 s2, s25
	v_cvt_f32_u32_e32 v0, s2
	s_sub_i32 s3, 0, s2
	s_xor_b32 s0, s0, s1
	s_sub_i32 s0, s0, s1
	v_rcp_iflag_f32_e32 v0, v0
	s_xor_b32 s1, s0, s25
	s_abs_i32 s0, s0
	s_ashr_i32 s1, s1, 31
	v_mul_f32_e32 v0, 0x4f7ffffe, v0
	v_cvt_u32_f32_e32 v0, v0
	s_mul_i32 s7, s7, s29
	v_add_u32_e32 v14, s7, v13
	s_mul_i32 s31, s25, s29
	v_readfirstlane_b32 s4, v0
	s_mul_i32 s3, s3, s4
	s_mul_hi_u32 s3, s4, s3
	s_add_i32 s4, s4, s3
	s_mul_hi_u32 s3, s0, s4
	s_mul_i32 s4, s3, s2
	s_sub_i32 s0, s0, s4
	s_add_i32 s4, s3, 1
	s_sub_i32 s5, s0, s2
	s_cmp_ge_u32 s0, s2
	s_cselect_b32 s3, s4, s3
	s_cselect_b32 s0, s5, s0
	s_add_i32 s4, s3, 1
	s_cmp_ge_u32 s0, s2
	s_cselect_b32 s0, s4, s3
	s_xor_b32 s0, s0, s1
	s_sub_i32 s7, s0, s1
	s_cmp_gt_i32 s7, -1
	v_mul_u32_u24_e32 v0, s26, v13
	v_lshl_add_u32 v15, v12, 3, 0
	s_mul_i32 s4, s6, s26
	v_cmp_eq_u32_e64 s[0:1], 0, v14
	v_lshl_add_u32 v16, v0, 3, v15
	v_cmp_eq_u32_e64 s[2:3], 0, v13
	s_cselect_b64 s[12:13], -1, 0
	s_add_i32 s7, s7, 1
	v_add_u32_e32 v17, s4, v12
	s_mul_i32 s25, s24, s26
	v_mul_lo_u32 v18, s15, v14
	s_mul_i32 s33, s31, s15
	v_mul_lo_u32 v19, s21, v14
	s_mul_i32 s21, s31, s21
	v_cmp_gt_u16_e64 s[14:15], s29, 1
	s_branch .LBB73_3
.LBB73_2:                               ;   in Loop: Header=BB73_3 Depth=1
	s_or_b64 exec, exec, s[4:5]
	s_add_i32 s4, s28, 1
	v_add_u32_e32 v17, s25, v17
	s_cmp_eq_u32 s28, s27
	s_mov_b32 s28, s4
	s_cbranch_scc1 .LBB73_20
.LBB73_3:                               ; =>This Loop Header: Depth=1
                                        ;     Child Loop BB73_12 Depth 2
                                        ;     Child Loop BB73_9 Depth 2
	s_mul_i32 s4, s28, s24
	s_add_i32 s4, s4, s6
	s_mul_i32 s4, s4, s26
	v_add_u32_e32 v0, s4, v12
	v_cmp_gt_i32_e64 s[4:5], s10, v0
	s_and_b64 s[16:17], s[0:1], s[4:5]
	v_pk_mov_b32 v[2:3], 0, 0
	v_ashrrev_i32_e32 v1, 31, v0
	s_and_saveexec_b64 s[8:9], s[16:17]
	s_cbranch_execz .LBB73_5
; %bb.4:                                ;   in Loop: Header=BB73_3 Depth=1
	v_lshlrev_b64 v[2:3], 3, v[0:1]
	v_mov_b32_e32 v4, s19
	v_add_co_u32_e32 v2, vcc, s18, v2
	v_addc_co_u32_e32 v3, vcc, v4, v3, vcc
	global_load_dwordx2 v[2:3], v[2:3], off
.LBB73_5:                               ;   in Loop: Header=BB73_3 Depth=1
	s_or_b64 exec, exec, s[8:9]
	s_andn2_b64 vcc, exec, s[12:13]
	v_mov_b32_e32 v20, v14
	v_mov_b32_e32 v4, v19
	;; [unrolled: 1-line block ×3, first 2 shown]
	s_mov_b32 s34, s7
	s_cbranch_vccz .LBB73_12
.LBB73_6:                               ;   in Loop: Header=BB73_3 Depth=1
	s_andn2_b64 vcc, exec, s[14:15]
	s_mov_b32 s16, s29
	s_waitcnt vmcnt(0)
	ds_write_b64 v16, v[2:3]
	s_waitcnt lgkmcnt(0)
	s_barrier
	s_cbranch_vccnz .LBB73_18
; %bb.7:                                ;   in Loop: Header=BB73_3 Depth=1
	s_lshr_b32 s17, s16, 1
	v_cmp_gt_u32_e32 vcc, s17, v13
	s_and_saveexec_b64 s[8:9], vcc
	s_cbranch_execz .LBB73_9
.LBB73_8:                               ;   in Loop: Header=BB73_3 Depth=1
	v_add_u32_e32 v4, s17, v13
	v_mul_u32_u24_e32 v4, s26, v4
	v_lshl_add_u32 v4, v4, 3, v15
	ds_read_b64 v[4:5], v4
	s_waitcnt lgkmcnt(0)
	v_add_f64 v[2:3], v[2:3], v[4:5]
	ds_write_b64 v16, v[2:3]
.LBB73_9:                               ;   Parent Loop BB73_3 Depth=1
                                        ; =>  This Inner Loop Header: Depth=2
	s_or_b64 exec, exec, s[8:9]
	s_cmp_lt_u32 s16, 4
	s_waitcnt lgkmcnt(0)
	s_barrier
	s_cbranch_scc1 .LBB73_18
; %bb.10:                               ;   in Loop: Header=BB73_9 Depth=2
	s_mov_b32 s16, s17
	s_lshr_b32 s17, s16, 1
	v_cmp_gt_u32_e32 vcc, s17, v13
	s_and_saveexec_b64 s[8:9], vcc
	s_cbranch_execnz .LBB73_8
	s_branch .LBB73_9
.LBB73_11:                              ;   in Loop: Header=BB73_12 Depth=2
	s_or_b64 exec, exec, s[8:9]
	s_add_i32 s34, s34, -1
	v_add_u32_e32 v6, s33, v6
	v_add_u32_e32 v4, s21, v4
	s_cmp_eq_u32 s34, 0
	v_add_u32_e32 v20, s31, v20
	s_cbranch_scc1 .LBB73_6
.LBB73_12:                              ;   Parent Loop BB73_3 Depth=1
                                        ; =>  This Inner Loop Header: Depth=2
	s_waitcnt vmcnt(0)
	v_pk_mov_b32 v[10:11], 0, 0
	v_cmp_gt_i32_e32 vcc, s11, v20
	v_pk_mov_b32 v[8:9], v[10:11], v[10:11] op_sel:[0,1]
	s_and_saveexec_b64 s[16:17], vcc
	s_cbranch_execnz .LBB73_15
; %bb.13:                               ;   in Loop: Header=BB73_12 Depth=2
	s_or_b64 exec, exec, s[16:17]
	s_and_saveexec_b64 s[16:17], vcc
	s_cbranch_execnz .LBB73_16
.LBB73_14:                              ;   in Loop: Header=BB73_12 Depth=2
	s_or_b64 exec, exec, s[16:17]
	s_and_b64 s[16:17], s[4:5], vcc
	s_and_saveexec_b64 s[8:9], s[16:17]
	s_cbranch_execz .LBB73_11
	s_branch .LBB73_17
.LBB73_15:                              ;   in Loop: Header=BB73_12 Depth=2
	v_ashrrev_i32_e32 v5, 31, v4
	v_lshlrev_b64 v[8:9], 3, v[4:5]
	v_mov_b32_e32 v5, s30
	v_add_co_u32_e64 v8, s[8:9], s23, v8
	v_addc_co_u32_e64 v9, s[8:9], v5, v9, s[8:9]
	global_load_dwordx2 v[8:9], v[8:9], off
	s_or_b64 exec, exec, s[16:17]
	s_and_saveexec_b64 s[16:17], vcc
	s_cbranch_execz .LBB73_14
.LBB73_16:                              ;   in Loop: Header=BB73_12 Depth=2
	v_ashrrev_i32_e32 v7, 31, v6
	v_lshlrev_b64 v[10:11], 3, v[6:7]
	v_mov_b32_e32 v5, s22
	v_add_co_u32_e64 v10, s[8:9], s20, v10
	v_addc_co_u32_e64 v11, s[8:9], v5, v11, s[8:9]
	global_load_dwordx2 v[10:11], v[10:11], off
	s_or_b64 exec, exec, s[16:17]
	s_and_b64 s[16:17], s[4:5], vcc
	s_and_saveexec_b64 s[8:9], s[16:17]
	s_cbranch_execz .LBB73_11
.LBB73_17:                              ;   in Loop: Header=BB73_12 Depth=2
	v_add_u32_e32 v22, v17, v6
	v_ashrrev_i32_e32 v23, 31, v22
	v_lshlrev_b64 v[22:23], 3, v[22:23]
	v_add_u32_e32 v24, v17, v4
	v_mov_b32_e32 v5, s22
	v_add_co_u32_e32 v22, vcc, s20, v22
	v_ashrrev_i32_e32 v25, 31, v24
	v_addc_co_u32_e32 v23, vcc, v5, v23, vcc
	v_lshlrev_b64 v[24:25], 3, v[24:25]
	v_mov_b32_e32 v5, s30
	v_add_co_u32_e32 v24, vcc, s23, v24
	v_addc_co_u32_e32 v25, vcc, v5, v25, vcc
	global_load_dwordx2 v[26:27], v[24:25], off
	global_load_dwordx2 v[28:29], v[22:23], off
	s_waitcnt vmcnt(1)
	v_mul_f64 v[10:11], v[10:11], v[26:27]
	s_waitcnt vmcnt(0)
	v_fmac_f64_e32 v[10:11], v[8:9], v[28:29]
	v_add_f64 v[2:3], v[2:3], -v[10:11]
	s_branch .LBB73_11
.LBB73_18:                              ;   in Loop: Header=BB73_3 Depth=1
	s_and_b64 s[8:9], s[2:3], s[4:5]
	s_and_saveexec_b64 s[4:5], s[8:9]
	s_cbranch_execz .LBB73_2
; %bb.19:                               ;   in Loop: Header=BB73_3 Depth=1
	v_lshlrev_b64 v[0:1], 3, v[0:1]
	v_mov_b32_e32 v4, s19
	v_add_co_u32_e32 v0, vcc, s18, v0
	v_addc_co_u32_e32 v1, vcc, v4, v1, vcc
	global_store_dwordx2 v[0:1], v[2:3], off
	s_branch .LBB73_2
.LBB73_20:
	s_endpgm
	.section	.rodata,"a",@progbits
	.p2align	6, 0x0
	.amdhsa_kernel _ZN9rocsolver6v33100L26latrd_lower_updateA_kernelIdPdEEviiT0_iilPT_iil
		.amdhsa_group_segment_fixed_size 0
		.amdhsa_private_segment_fixed_size 0
		.amdhsa_kernarg_size 312
		.amdhsa_user_sgpr_count 6
		.amdhsa_user_sgpr_private_segment_buffer 1
		.amdhsa_user_sgpr_dispatch_ptr 0
		.amdhsa_user_sgpr_queue_ptr 0
		.amdhsa_user_sgpr_kernarg_segment_ptr 1
		.amdhsa_user_sgpr_dispatch_id 0
		.amdhsa_user_sgpr_flat_scratch_init 0
		.amdhsa_user_sgpr_kernarg_preload_length 0
		.amdhsa_user_sgpr_kernarg_preload_offset 0
		.amdhsa_user_sgpr_private_segment_size 0
		.amdhsa_uses_dynamic_stack 0
		.amdhsa_system_sgpr_private_segment_wavefront_offset 0
		.amdhsa_system_sgpr_workgroup_id_x 1
		.amdhsa_system_sgpr_workgroup_id_y 1
		.amdhsa_system_sgpr_workgroup_id_z 1
		.amdhsa_system_sgpr_workgroup_info 0
		.amdhsa_system_vgpr_workitem_id 1
		.amdhsa_next_free_vgpr 30
		.amdhsa_next_free_sgpr 35
		.amdhsa_accum_offset 32
		.amdhsa_reserve_vcc 1
		.amdhsa_reserve_flat_scratch 0
		.amdhsa_float_round_mode_32 0
		.amdhsa_float_round_mode_16_64 0
		.amdhsa_float_denorm_mode_32 3
		.amdhsa_float_denorm_mode_16_64 3
		.amdhsa_dx10_clamp 1
		.amdhsa_ieee_mode 1
		.amdhsa_fp16_overflow 0
		.amdhsa_tg_split 0
		.amdhsa_exception_fp_ieee_invalid_op 0
		.amdhsa_exception_fp_denorm_src 0
		.amdhsa_exception_fp_ieee_div_zero 0
		.amdhsa_exception_fp_ieee_overflow 0
		.amdhsa_exception_fp_ieee_underflow 0
		.amdhsa_exception_fp_ieee_inexact 0
		.amdhsa_exception_int_div_zero 0
	.end_amdhsa_kernel
	.section	.text._ZN9rocsolver6v33100L26latrd_lower_updateA_kernelIdPdEEviiT0_iilPT_iil,"axG",@progbits,_ZN9rocsolver6v33100L26latrd_lower_updateA_kernelIdPdEEviiT0_iilPT_iil,comdat
.Lfunc_end73:
	.size	_ZN9rocsolver6v33100L26latrd_lower_updateA_kernelIdPdEEviiT0_iilPT_iil, .Lfunc_end73-_ZN9rocsolver6v33100L26latrd_lower_updateA_kernelIdPdEEviiT0_iilPT_iil
                                        ; -- End function
	.section	.AMDGPU.csdata,"",@progbits
; Kernel info:
; codeLenInByte = 1432
; NumSgprs: 39
; NumVgprs: 30
; NumAgprs: 0
; TotalNumVgprs: 30
; ScratchSize: 0
; MemoryBound: 0
; FloatMode: 240
; IeeeMode: 1
; LDSByteSize: 0 bytes/workgroup (compile time only)
; SGPRBlocks: 4
; VGPRBlocks: 3
; NumSGPRsForWavesPerEU: 39
; NumVGPRsForWavesPerEU: 30
; AccumOffset: 32
; Occupancy: 8
; WaveLimiterHint : 0
; COMPUTE_PGM_RSRC2:SCRATCH_EN: 0
; COMPUTE_PGM_RSRC2:USER_SGPR: 6
; COMPUTE_PGM_RSRC2:TRAP_HANDLER: 0
; COMPUTE_PGM_RSRC2:TGID_X_EN: 1
; COMPUTE_PGM_RSRC2:TGID_Y_EN: 1
; COMPUTE_PGM_RSRC2:TGID_Z_EN: 1
; COMPUTE_PGM_RSRC2:TIDIG_COMP_CNT: 1
; COMPUTE_PGM_RSRC3_GFX90A:ACCUM_OFFSET: 7
; COMPUTE_PGM_RSRC3_GFX90A:TG_SPLIT: 0
	.section	.text._ZN9rocsolver6v33100L33latrd_lower_computeW_gemvt_kernelILi256EdPdEEviiT1_iilPT0_iilS5_iilS5_l,"axG",@progbits,_ZN9rocsolver6v33100L33latrd_lower_computeW_gemvt_kernelILi256EdPdEEviiT1_iilPT0_iilS5_iilS5_l,comdat
	.globl	_ZN9rocsolver6v33100L33latrd_lower_computeW_gemvt_kernelILi256EdPdEEviiT1_iilPT0_iilS5_iilS5_l ; -- Begin function _ZN9rocsolver6v33100L33latrd_lower_computeW_gemvt_kernelILi256EdPdEEviiT1_iilPT0_iilS5_iilS5_l
	.p2align	8
	.type	_ZN9rocsolver6v33100L33latrd_lower_computeW_gemvt_kernelILi256EdPdEEviiT1_iilPT0_iilS5_iilS5_l,@function
_ZN9rocsolver6v33100L33latrd_lower_computeW_gemvt_kernelILi256EdPdEEviiT1_iilPT0_iilS5_iilS5_l: ; @_ZN9rocsolver6v33100L33latrd_lower_computeW_gemvt_kernelILi256EdPdEEviiT1_iilPT0_iilS5_iilS5_l
; %bb.0:
	s_load_dwordx2 s[24:25], s[4:5], 0x0
	s_load_dwordx4 s[0:3], s[4:5], 0x30
	s_ashr_i32 s26, s7, 31
	s_waitcnt lgkmcnt(0)
	s_cmp_lt_i32 s6, s25
	s_cselect_b64 s[18:19], -1, 0
	s_and_b64 s[8:9], s[18:19], exec
	s_cselect_b32 s8, 0, s25
	s_sub_i32 s16, s6, s8
	s_ashr_i32 s17, s16, 31
	s_cmp_eq_u32 s16, s25
	s_cbranch_scc1 .LBB74_12
; %bb.1:
	s_load_dwordx8 s[8:15], s[4:5], 0x8
	s_load_dwordx2 s[28:29], s[4:5], 0x28
	s_mul_i32 s1, s7, s1
	s_waitcnt lgkmcnt(0)
	s_ashr_i32 s23, s10, 31
	s_mov_b32 s22, s10
	s_mul_i32 s6, s7, s13
	s_mul_hi_u32 s10, s7, s12
	s_add_i32 s6, s10, s6
	s_mul_i32 s10, s26, s12
	s_add_i32 s13, s6, s10
	s_mul_i32 s12, s7, s12
	s_lshl_b64 s[20:21], s[12:13], 3
	s_add_u32 s6, s8, s20
	s_addc_u32 s10, s9, s21
	s_lshl_b64 s[22:23], s[22:23], 3
	s_add_u32 s6, s6, s22
	s_addc_u32 s27, s10, s23
	s_mul_hi_u32 s10, s7, s0
	s_add_i32 s1, s10, s1
	s_mul_i32 s10, s26, s0
	s_add_i32 s1, s1, s10
	s_mul_i32 s0, s7, s0
	s_ashr_i32 s13, s28, 31
	s_lshl_b64 s[0:1], s[0:1], 3
	s_mov_b32 s12, s28
	s_add_u32 s10, s14, s0
	s_addc_u32 s14, s15, s1
	s_lshl_b64 s[0:1], s[12:13], 3
	s_add_u32 s10, s10, s0
	s_addc_u32 s28, s14, s1
	s_not_b32 s0, s25
	s_add_i32 s24, s0, s24
	s_ashr_i32 s1, s11, 31
	s_ashr_i32 s15, s25, 31
	s_mov_b32 s14, s25
	s_and_b64 s[12:13], s[18:19], exec
	s_cselect_b32 s25, s28, s27
	s_cselect_b32 s10, s10, s6
	s_lshl_b64 s[12:13], s[14:15], 3
	s_add_u32 s10, s10, s12
	s_addc_u32 s25, s25, s13
	s_and_b64 s[30:31], s[18:19], exec
	s_cselect_b32 s28, s29, s11
	v_cmp_gt_i32_e32 vcc, s24, v0
	s_mul_hi_i32 s29, s28, s16
	s_mul_i32 s28, s28, s16
	v_cndmask_b32_e32 v1, 0, v0, vcc
	s_lshl_b64 s[28:29], s[28:29], 3
	v_lshlrev_b32_e32 v1, 3, v1
	s_add_u32 s10, s28, s10
	s_addc_u32 s25, s29, s25
	v_add_co_u32_e32 v1, vcc, s10, v1
	s_ashr_i32 s10, s24, 31
	s_lshr_b32 s10, s10, 24
	s_add_i32 s10, s24, s10
	v_mov_b32_e32 v2, s25
	s_and_b32 s10, s10, 0xffffff00
	s_mov_b32 s0, s11
	s_mov_b32 s11, 0
	v_addc_co_u32_e32 v8, vcc, 0, v2, vcc
	s_cmpk_lt_i32 s24, 0x100
	v_pk_mov_b32 v[2:3], 0, 0
	s_cbranch_scc1 .LBB74_4
; %bb.2:
	s_lshl_b64 s[28:29], s[0:1], 3
	s_add_u32 s1, s28, 8
	s_addc_u32 s25, s29, 0
	s_mul_i32 s15, s1, s15
	s_mul_hi_u32 s28, s1, s14
	s_add_i32 s15, s28, s15
	s_mul_i32 s25, s25, s14
	s_add_i32 s15, s15, s25
	s_mul_i32 s1, s1, s14
	s_add_u32 s1, s20, s1
	s_addc_u32 s15, s21, s15
	s_add_u32 s1, s1, s22
	s_addc_u32 s15, s15, s23
	v_add_co_u32_e32 v4, vcc, 8, v1
	s_add_u32 s1, s8, s1
	v_addc_co_u32_e32 v5, vcc, 0, v8, vcc
	v_lshlrev_b32_e32 v2, 3, v0
	s_addc_u32 s8, s9, s15
	v_mov_b32_e32 v3, s8
	v_add_co_u32_e32 v2, vcc, s1, v2
	v_addc_co_u32_e32 v3, vcc, 0, v3, vcc
	v_add_co_u32_e32 v6, vcc, 8, v2
	v_addc_co_u32_e32 v7, vcc, 0, v3, vcc
	v_pk_mov_b32 v[2:3], 0, 0
.LBB74_3:                               ; =>This Inner Loop Header: Depth=1
	global_load_dwordx2 v[10:11], v[4:5], off
	global_load_dwordx2 v[12:13], v[6:7], off
	v_add_co_u32_e32 v6, vcc, 0x800, v6
	v_addc_co_u32_e32 v7, vcc, 0, v7, vcc
	s_addk_i32 s11, 0x100
	v_add_co_u32_e32 v4, vcc, 0x800, v4
	s_cmp_ge_i32 s11, s10
	v_addc_co_u32_e32 v5, vcc, 0, v5, vcc
	s_waitcnt vmcnt(0)
	v_fmac_f64_e32 v[2:3], v[10:11], v[12:13]
	s_cbranch_scc0 .LBB74_3
.LBB74_4:
	v_add_u32_e32 v4, s10, v0
	v_cmp_gt_i32_e32 vcc, s24, v4
	s_and_saveexec_b64 s[8:9], vcc
	s_cbranch_execz .LBB74_6
; %bb.5:
	s_mul_hi_i32 s1, s0, s14
	s_mul_i32 s0, s0, s14
	s_lshl_b64 s[0:1], s[0:1], 3
	s_add_u32 s0, s6, s0
	s_addc_u32 s1, s27, s1
	s_add_u32 s0, s0, s12
	v_ashrrev_i32_e32 v5, 31, v4
	s_addc_u32 s1, s1, s13
	v_lshlrev_b64 v[4:5], 3, v[4:5]
	v_mov_b32_e32 v6, s1
	v_add_co_u32_e32 v4, vcc, s0, v4
	s_ashr_i32 s11, s10, 31
	v_addc_co_u32_e32 v5, vcc, v6, v5, vcc
	s_lshl_b64 s[0:1], s[10:11], 3
	v_mov_b32_e32 v7, s1
	v_add_co_u32_e32 v6, vcc, s0, v1
	v_addc_co_u32_e32 v7, vcc, v8, v7, vcc
	global_load_dwordx2 v[8:9], v[6:7], off offset:8
	global_load_dwordx2 v[10:11], v[4:5], off offset:8
	s_waitcnt vmcnt(0)
	v_fmac_f64_e32 v[2:3], v[8:9], v[10:11]
.LBB74_6:
	s_or_b64 exec, exec, s[8:9]
	v_mbcnt_lo_u32_b32 v1, -1, 0
	v_mbcnt_hi_u32_b32 v1, -1, v1
	v_and_b32_e32 v6, 63, v1
	v_cmp_ne_u32_e32 vcc, 63, v6
	v_addc_co_u32_e32 v4, vcc, 0, v1, vcc
	v_lshlrev_b32_e32 v5, 2, v4
	ds_bpermute_b32 v4, v5, v2
	ds_bpermute_b32 v5, v5, v3
	v_cmp_gt_u32_e32 vcc, 62, v6
	s_waitcnt lgkmcnt(0)
	v_add_f64 v[2:3], v[2:3], v[4:5]
	v_cndmask_b32_e64 v4, 0, 1, vcc
	v_lshlrev_b32_e32 v4, 1, v4
	v_add_lshl_u32 v5, v4, v1, 2
	ds_bpermute_b32 v4, v5, v2
	ds_bpermute_b32 v5, v5, v3
	v_cmp_gt_u32_e32 vcc, 60, v6
	s_waitcnt lgkmcnt(0)
	v_add_f64 v[2:3], v[2:3], v[4:5]
	v_cndmask_b32_e64 v4, 0, 1, vcc
	v_lshlrev_b32_e32 v4, 2, v4
	v_add_lshl_u32 v5, v4, v1, 2
	ds_bpermute_b32 v4, v5, v2
	ds_bpermute_b32 v5, v5, v3
	v_cmp_gt_u32_e32 vcc, 56, v6
	s_waitcnt lgkmcnt(0)
	v_add_f64 v[2:3], v[2:3], v[4:5]
	v_cndmask_b32_e64 v4, 0, 1, vcc
	v_lshlrev_b32_e32 v4, 3, v4
	v_add_lshl_u32 v5, v4, v1, 2
	ds_bpermute_b32 v4, v5, v2
	ds_bpermute_b32 v5, v5, v3
	v_cmp_gt_u32_e32 vcc, 48, v6
	s_waitcnt lgkmcnt(0)
	v_add_f64 v[2:3], v[2:3], v[4:5]
	v_cndmask_b32_e64 v4, 0, 1, vcc
	v_lshlrev_b32_e32 v4, 4, v4
	v_add_lshl_u32 v5, v4, v1, 2
	ds_bpermute_b32 v4, v5, v2
	ds_bpermute_b32 v5, v5, v3
	v_cmp_gt_u32_e32 vcc, 32, v6
	s_waitcnt lgkmcnt(0)
	v_add_f64 v[2:3], v[2:3], v[4:5]
	v_cndmask_b32_e64 v4, 0, 1, vcc
	v_lshlrev_b32_e32 v4, 5, v4
	v_add_lshl_u32 v1, v4, v1, 2
	ds_bpermute_b32 v4, v1, v2
	ds_bpermute_b32 v5, v1, v3
	v_and_b32_e32 v1, 63, v0
	v_cmp_eq_u32_e32 vcc, 0, v1
	s_waitcnt lgkmcnt(0)
	v_add_f64 v[4:5], v[2:3], v[4:5]
	s_and_saveexec_b64 s[0:1], vcc
	s_cbranch_execz .LBB74_8
; %bb.7:
	v_lshrrev_b32_e32 v1, 3, v0
	ds_write_b64 v1, v[4:5]
.LBB74_8:
	s_or_b64 exec, exec, s[0:1]
	v_cmp_eq_u32_e32 vcc, 0, v0
	s_mov_b64 s[0:1], 0
	v_pk_mov_b32 v[2:3], 0, 0
	s_waitcnt lgkmcnt(0)
	s_barrier
	s_and_saveexec_b64 s[8:9], vcc
	s_cbranch_execz .LBB74_10
; %bb.9:
	v_mov_b32_e32 v1, 0
	ds_read2_b64 v[6:9], v1 offset0:1 offset1:2
	ds_read_b64 v[2:3], v1 offset:24
	s_mov_b64 s[0:1], exec
	s_waitcnt lgkmcnt(1)
	v_add_f64 v[4:5], v[4:5], v[6:7]
	v_add_f64 v[4:5], v[4:5], v[8:9]
	s_waitcnt lgkmcnt(0)
	v_add_f64 v[2:3], v[4:5], v[2:3]
.LBB74_10:
	s_or_b64 exec, exec, s[8:9]
	s_and_saveexec_b64 s[8:9], s[0:1]
	s_cbranch_execnz .LBB74_13
.LBB74_11:
	s_endpgm
.LBB74_12:
	s_mov_b64 s[0:1], -1
	v_pk_mov_b32 v[2:3], 0, 0
	s_and_saveexec_b64 s[8:9], s[0:1]
	s_cbranch_execz .LBB74_11
.LBB74_13:
	v_cmp_eq_u32_e32 vcc, 0, v0
	s_and_b64 exec, exec, vcc
	s_cbranch_execz .LBB74_11
; %bb.14:
	s_load_dword s0, s[4:5], 0x40
	s_load_dwordx2 s[12:13], s[4:5], 0x58
	s_load_dwordx4 s[8:11], s[4:5], 0x48
	v_mov_b32_e32 v0, 0
	s_waitcnt lgkmcnt(0)
	s_ashr_i32 s1, s0, 31
	s_mul_i32 s4, s7, s13
	s_mul_hi_u32 s5, s7, s12
	s_add_i32 s4, s5, s4
	s_mul_i32 s5, s26, s12
	s_add_i32 s5, s4, s5
	s_mul_i32 s4, s7, s12
	s_lshl_b64 s[4:5], s[4:5], 3
	s_add_u32 s6, s10, s4
	s_addc_u32 s10, s11, s5
	s_mul_i32 s4, s7, s9
	s_mul_hi_u32 s5, s7, s8
	s_add_i32 s4, s5, s4
	s_mul_i32 s5, s26, s8
	s_add_i32 s5, s4, s5
	s_mul_i32 s4, s7, s8
	s_lshl_b64 s[4:5], s[4:5], 3
	s_add_u32 s2, s2, s4
	s_addc_u32 s3, s3, s5
	s_lshl_b64 s[0:1], s[0:1], 3
	s_add_u32 s2, s2, s0
	s_addc_u32 s3, s3, s1
	s_and_b64 s[0:1], s[18:19], exec
	s_cselect_b32 s3, s10, s3
	s_cselect_b32 s2, s6, s2
	s_lshl_b64 s[0:1], s[16:17], 3
	s_add_u32 s0, s2, s0
	s_addc_u32 s1, s3, s1
	global_store_dwordx2 v0, v[2:3], s[0:1]
	s_endpgm
	.section	.rodata,"a",@progbits
	.p2align	6, 0x0
	.amdhsa_kernel _ZN9rocsolver6v33100L33latrd_lower_computeW_gemvt_kernelILi256EdPdEEviiT1_iilPT0_iilS5_iilS5_l
		.amdhsa_group_segment_fixed_size 2048
		.amdhsa_private_segment_fixed_size 0
		.amdhsa_kernarg_size 96
		.amdhsa_user_sgpr_count 6
		.amdhsa_user_sgpr_private_segment_buffer 1
		.amdhsa_user_sgpr_dispatch_ptr 0
		.amdhsa_user_sgpr_queue_ptr 0
		.amdhsa_user_sgpr_kernarg_segment_ptr 1
		.amdhsa_user_sgpr_dispatch_id 0
		.amdhsa_user_sgpr_flat_scratch_init 0
		.amdhsa_user_sgpr_kernarg_preload_length 0
		.amdhsa_user_sgpr_kernarg_preload_offset 0
		.amdhsa_user_sgpr_private_segment_size 0
		.amdhsa_uses_dynamic_stack 0
		.amdhsa_system_sgpr_private_segment_wavefront_offset 0
		.amdhsa_system_sgpr_workgroup_id_x 1
		.amdhsa_system_sgpr_workgroup_id_y 0
		.amdhsa_system_sgpr_workgroup_id_z 1
		.amdhsa_system_sgpr_workgroup_info 0
		.amdhsa_system_vgpr_workitem_id 0
		.amdhsa_next_free_vgpr 14
		.amdhsa_next_free_sgpr 32
		.amdhsa_accum_offset 16
		.amdhsa_reserve_vcc 1
		.amdhsa_reserve_flat_scratch 0
		.amdhsa_float_round_mode_32 0
		.amdhsa_float_round_mode_16_64 0
		.amdhsa_float_denorm_mode_32 3
		.amdhsa_float_denorm_mode_16_64 3
		.amdhsa_dx10_clamp 1
		.amdhsa_ieee_mode 1
		.amdhsa_fp16_overflow 0
		.amdhsa_tg_split 0
		.amdhsa_exception_fp_ieee_invalid_op 0
		.amdhsa_exception_fp_denorm_src 0
		.amdhsa_exception_fp_ieee_div_zero 0
		.amdhsa_exception_fp_ieee_overflow 0
		.amdhsa_exception_fp_ieee_underflow 0
		.amdhsa_exception_fp_ieee_inexact 0
		.amdhsa_exception_int_div_zero 0
	.end_amdhsa_kernel
	.section	.text._ZN9rocsolver6v33100L33latrd_lower_computeW_gemvt_kernelILi256EdPdEEviiT1_iilPT0_iilS5_iilS5_l,"axG",@progbits,_ZN9rocsolver6v33100L33latrd_lower_computeW_gemvt_kernelILi256EdPdEEviiT1_iilPT0_iilS5_iilS5_l,comdat
.Lfunc_end74:
	.size	_ZN9rocsolver6v33100L33latrd_lower_computeW_gemvt_kernelILi256EdPdEEviiT1_iilPT0_iilS5_iilS5_l, .Lfunc_end74-_ZN9rocsolver6v33100L33latrd_lower_computeW_gemvt_kernelILi256EdPdEEviiT1_iilPT0_iilS5_iilS5_l
                                        ; -- End function
	.section	.AMDGPU.csdata,"",@progbits
; Kernel info:
; codeLenInByte = 1248
; NumSgprs: 36
; NumVgprs: 14
; NumAgprs: 0
; TotalNumVgprs: 14
; ScratchSize: 0
; MemoryBound: 0
; FloatMode: 240
; IeeeMode: 1
; LDSByteSize: 2048 bytes/workgroup (compile time only)
; SGPRBlocks: 4
; VGPRBlocks: 1
; NumSGPRsForWavesPerEU: 36
; NumVGPRsForWavesPerEU: 14
; AccumOffset: 16
; Occupancy: 8
; WaveLimiterHint : 0
; COMPUTE_PGM_RSRC2:SCRATCH_EN: 0
; COMPUTE_PGM_RSRC2:USER_SGPR: 6
; COMPUTE_PGM_RSRC2:TRAP_HANDLER: 0
; COMPUTE_PGM_RSRC2:TGID_X_EN: 1
; COMPUTE_PGM_RSRC2:TGID_Y_EN: 0
; COMPUTE_PGM_RSRC2:TGID_Z_EN: 1
; COMPUTE_PGM_RSRC2:TIDIG_COMP_CNT: 0
; COMPUTE_PGM_RSRC3_GFX90A:ACCUM_OFFSET: 3
; COMPUTE_PGM_RSRC3_GFX90A:TG_SPLIT: 0
	.section	.text._ZN9rocsolver6v33100L26latrd_lower_updateW_kernelIdPdEEviiT0_iilPT_iilS5_lS5_l,"axG",@progbits,_ZN9rocsolver6v33100L26latrd_lower_updateW_kernelIdPdEEviiT0_iilPT_iilS5_lS5_l,comdat
	.globl	_ZN9rocsolver6v33100L26latrd_lower_updateW_kernelIdPdEEviiT0_iilPT_iilS5_lS5_l ; -- Begin function _ZN9rocsolver6v33100L26latrd_lower_updateW_kernelIdPdEEviiT0_iilPT_iilS5_lS5_l
	.p2align	8
	.type	_ZN9rocsolver6v33100L26latrd_lower_updateW_kernelIdPdEEviiT0_iilPT_iilS5_lS5_l,@function
_ZN9rocsolver6v33100L26latrd_lower_updateW_kernelIdPdEEviiT0_iilPT_iilS5_lS5_l: ; @_ZN9rocsolver6v33100L26latrd_lower_updateW_kernelIdPdEEviiT0_iilPT_iilS5_lS5_l
; %bb.0:
	s_load_dword s0, s[4:5], 0x64
	s_load_dwordx2 s[10:11], s[4:5], 0x0
	s_load_dwordx2 s[28:29], s[4:5], 0x58
	s_mov_b32 s35, 0
	s_waitcnt lgkmcnt(0)
	s_not_b32 s1, s11
	s_and_b32 s33, s0, 0xffff
	v_cvt_f32_u32_e32 v1, s33
	s_add_i32 s10, s1, s10
	s_sub_i32 s1, 0, s33
	s_add_i32 s2, s10, -1
	v_rcp_iflag_f32_e32 v1, v1
	s_ashr_i32 s3, s2, 31
	s_abs_i32 s2, s2
	v_mul_f32_e32 v1, 0x4f7ffffe, v1
	v_cvt_u32_f32_e32 v1, v1
	v_readfirstlane_b32 s9, v1
	s_mul_i32 s1, s1, s9
	s_mul_hi_u32 s1, s9, s1
	s_add_i32 s9, s9, s1
	s_mul_hi_u32 s1, s2, s9
	s_mul_i32 s9, s1, s33
	s_sub_i32 s2, s2, s9
	s_add_i32 s12, s1, 1
	s_sub_i32 s9, s2, s33
	s_cmp_ge_u32 s2, s33
	s_cselect_b32 s1, s12, s1
	s_cselect_b32 s2, s9, s2
	s_add_i32 s9, s1, 1
	s_cmp_ge_u32 s2, s33
	s_cselect_b32 s1, s9, s1
	s_abs_i32 s2, s28
	v_cvt_f32_u32_e32 v1, s2
	s_sub_i32 s9, 0, s2
	s_xor_b32 s1, s1, s3
	s_sub_i32 s1, s1, s3
	v_rcp_iflag_f32_e32 v1, v1
	s_xor_b32 s3, s1, s28
	s_abs_i32 s1, s1
	s_ashr_i32 s3, s3, 31
	v_mul_f32_e32 v1, 0x4f7ffffe, v1
	v_cvt_u32_f32_e32 v1, v1
	v_readfirstlane_b32 s12, v1
	s_mul_i32 s9, s9, s12
	s_mul_hi_u32 s9, s12, s9
	s_add_i32 s12, s12, s9
	s_mul_hi_u32 s9, s1, s12
	s_mul_i32 s12, s9, s2
	s_sub_i32 s1, s1, s12
	s_add_i32 s13, s9, 1
	s_sub_i32 s12, s1, s2
	s_cmp_ge_u32 s1, s2
	s_cselect_b32 s9, s13, s9
	s_cselect_b32 s1, s12, s1
	s_add_i32 s12, s9, 1
	s_cmp_ge_u32 s1, s2
	s_cselect_b32 s1, s12, s9
	s_xor_b32 s1, s1, s3
	s_sub_i32 s34, s1, s3
	s_cmp_lt_i32 s34, 0
	s_cbranch_scc1 .LBB75_20
; %bb.1:
	s_load_dwordx8 s[12:19], s[4:5], 0x8
	s_load_dwordx2 s[30:31], s[4:5], 0x28
	s_load_dwordx8 s[20:27], s[4:5], 0x30
	s_load_dwordx2 s[2:3], s[4:5], 0x50
	s_ashr_i32 s9, s8, 31
	s_waitcnt lgkmcnt(0)
	s_mul_i32 s4, s8, s17
	s_mul_hi_u32 s5, s8, s16
	s_add_i32 s4, s5, s4
	s_mul_i32 s5, s9, s16
	s_add_i32 s5, s4, s5
	s_mul_i32 s4, s8, s16
	s_lshr_b32 s36, s0, 16
	s_ashr_i32 s1, s14, 31
	s_lshl_b64 s[4:5], s[4:5], 3
	s_mov_b32 s0, s14
	s_add_u32 s4, s12, s4
	s_addc_u32 s5, s13, s5
	s_lshl_b64 s[0:1], s[0:1], 3
	s_add_u32 s12, s4, s0
	s_addc_u32 s13, s5, s1
	s_mul_i32 s4, s8, s21
	s_mul_hi_u32 s5, s8, s20
	s_add_i32 s4, s5, s4
	s_mul_i32 s5, s9, s20
	s_add_i32 s5, s4, s5
	s_mul_i32 s4, s8, s20
	s_ashr_i32 s1, s30, 31
	s_lshl_b64 s[4:5], s[4:5], 3
	s_mov_b32 s0, s30
	s_add_u32 s4, s18, s4
	s_addc_u32 s5, s19, s5
	s_lshl_b64 s[0:1], s[0:1], 3
	s_add_u32 s4, s4, s0
	s_addc_u32 s5, s5, s1
	s_mul_i32 s0, s8, s25
	s_mul_hi_u32 s1, s8, s24
	s_add_i32 s0, s1, s0
	s_mul_i32 s1, s9, s24
	s_add_i32 s1, s0, s1
	s_mul_i32 s0, s8, s24
	s_lshl_b64 s[0:1], s[0:1], 3
	s_add_u32 s20, s22, s0
	s_addc_u32 s21, s23, s1
	s_mul_i32 s0, s8, s3
	s_mul_hi_u32 s1, s8, s2
	s_add_i32 s0, s1, s0
	s_mul_i32 s9, s9, s2
	v_and_b32_e32 v14, 0x3ff, v0
	v_bfe_u32 v15, v0, 10, 10
	s_add_i32 s1, s0, s9
	s_mul_i32 s0, s8, s2
	v_cvt_f32_u32_e32 v0, s36
	s_lshl_b64 s[0:1], s[0:1], 3
	s_add_u32 s8, s26, s0
	s_mul_hi_i32 s3, s31, s11
	s_mul_i32 s2, s31, s11
	s_addc_u32 s9, s27, s1
	s_ashr_i32 s1, s11, 31
	s_lshl_b64 s[2:3], s[2:3], 3
	s_mov_b32 s0, s11
	s_add_u32 s22, s4, s2
	v_rcp_iflag_f32_e32 v0, v0
	s_addc_u32 s23, s5, s3
	s_lshl_b64 s[0:1], s[0:1], 3
	s_add_u32 s14, s22, s0
	s_addc_u32 s18, s23, s1
	s_add_u32 s19, s12, s0
	v_mul_f32_e32 v0, 0x4f7ffffe, v0
	s_addc_u32 s27, s13, s1
	v_cvt_u32_f32_e32 v0, v0
	s_add_u32 s4, s4, s0
	s_addc_u32 s5, s5, s1
	s_add_u32 s12, s8, s0
	s_addc_u32 s13, s9, s1
	s_sub_i32 s2, 0, s36
	v_readfirstlane_b32 s3, v0
	s_mul_i32 s2, s2, s3
	s_add_i32 s0, s11, -1
	s_mul_hi_u32 s2, s3, s2
	s_ashr_i32 s1, s0, 31
	s_abs_i32 s0, s0
	s_add_i32 s3, s3, s2
	s_mul_hi_u32 s2, s0, s3
	s_mul_i32 s3, s2, s36
	s_sub_i32 s0, s0, s3
	s_add_i32 s3, s2, 1
	s_sub_i32 s8, s0, s36
	s_cmp_ge_u32 s0, s36
	s_cselect_b32 s2, s3, s2
	s_cselect_b32 s0, s8, s0
	s_add_i32 s3, s2, 1
	s_cmp_ge_u32 s0, s36
	s_cselect_b32 s0, s3, s2
	s_abs_i32 s2, s29
	v_cvt_f32_u32_e32 v0, s2
	s_mul_i32 s7, s7, s36
	v_add_u32_e32 v16, s7, v15
	s_sub_i32 s3, 0, s2
	v_rcp_iflag_f32_e32 v0, v0
	s_xor_b32 s0, s0, s1
	s_sub_i32 s0, s0, s1
	s_xor_b32 s1, s0, s29
	v_mul_f32_e32 v0, 0x4f7ffffe, v0
	v_cvt_u32_f32_e32 v0, v0
	s_abs_i32 s0, s0
	s_ashr_i32 s1, s1, 31
	v_lshl_add_u32 v17, v14, 3, 0
	v_readfirstlane_b32 s7, v0
	s_mul_i32 s3, s3, s7
	s_mul_hi_u32 s3, s7, s3
	s_add_i32 s7, s7, s3
	s_mul_hi_u32 s3, s0, s7
	s_mul_i32 s7, s3, s2
	s_sub_i32 s0, s0, s7
	s_add_i32 s7, s3, 1
	s_sub_i32 s8, s0, s2
	s_cmp_ge_u32 s0, s2
	s_cselect_b32 s3, s7, s3
	s_cselect_b32 s0, s8, s0
	s_add_i32 s7, s3, 1
	s_cmp_ge_u32 s0, s2
	s_cselect_b32 s0, s7, s3
	s_xor_b32 s0, s0, s1
	s_sub_i32 s37, s0, s1
	s_cmp_gt_i32 s37, -1
	s_cselect_b64 s[16:17], -1, 0
	s_add_u32 s7, s14, 8
	s_addc_u32 s25, s18, 0
	s_add_u32 s26, s19, 8
	v_mul_u32_u24_e32 v0, s33, v15
	s_addc_u32 s27, s27, 0
	s_mul_i32 s24, s29, s36
	v_lshl_add_u32 v18, v0, 3, v17
	s_add_u32 s29, s4, 8
	v_mul_lo_u32 v0, s15, v16
	s_mul_i32 s4, s6, s33
	v_add3_u32 v19, v14, v0, s4
	v_mul_lo_u32 v0, s31, v16
	v_cmp_eq_u32_e64 s[0:1], 0, v16
	v_cmp_eq_u32_e64 s[2:3], 0, v15
	s_addc_u32 s30, s5, 0
	s_add_i32 s37, s37, 1
	s_mul_i32 s38, s28, s33
	s_mul_i32 s39, s24, s15
	v_add3_u32 v20, v14, v0, s4
	s_mul_i32 s31, s24, s31
	v_mov_b32_e32 v21, 0
	v_cmp_gt_u16_e64 s[14:15], s36, 1
	s_branch .LBB75_3
.LBB75_2:                               ;   in Loop: Header=BB75_3 Depth=1
	s_or_b64 exec, exec, s[4:5]
	s_add_i32 s4, s35, 1
	v_add_u32_e32 v19, s38, v19
	v_add_u32_e32 v20, s38, v20
	s_cmp_eq_u32 s35, s34
	s_mov_b32 s35, s4
	s_cbranch_scc1 .LBB75_20
.LBB75_3:                               ; =>This Loop Header: Depth=1
                                        ;     Child Loop BB75_12 Depth 2
                                        ;     Child Loop BB75_9 Depth 2
	s_mul_i32 s4, s35, s28
	s_add_i32 s4, s4, s6
	s_mul_i32 s4, s4, s33
	v_add_u32_e32 v0, s4, v14
	v_cmp_gt_i32_e64 s[4:5], s10, v0
	s_and_b64 s[18:19], s[0:1], s[4:5]
	v_pk_mov_b32 v[2:3], 0, 0
	v_ashrrev_i32_e32 v1, 31, v0
	s_and_saveexec_b64 s[8:9], s[18:19]
	s_cbranch_execz .LBB75_5
; %bb.4:                                ;   in Loop: Header=BB75_3 Depth=1
	v_lshlrev_b64 v[2:3], 3, v[0:1]
	v_mov_b32_e32 v4, s25
	v_add_co_u32_e32 v2, vcc, s7, v2
	v_addc_co_u32_e32 v3, vcc, v4, v3, vcc
	global_load_dwordx2 v[2:3], v[2:3], off
.LBB75_5:                               ;   in Loop: Header=BB75_3 Depth=1
	s_or_b64 exec, exec, s[8:9]
	s_andn2_b64 vcc, exec, s[16:17]
	v_mov_b32_e32 v4, v16
	v_mov_b32_e32 v6, v20
	;; [unrolled: 1-line block ×3, first 2 shown]
	s_mov_b32 s40, s37
	s_cbranch_vccz .LBB75_12
.LBB75_6:                               ;   in Loop: Header=BB75_3 Depth=1
	s_andn2_b64 vcc, exec, s[14:15]
	s_mov_b32 s18, s36
	s_waitcnt vmcnt(0)
	ds_write_b64 v18, v[2:3]
	s_waitcnt lgkmcnt(0)
	s_barrier
	s_cbranch_vccnz .LBB75_18
; %bb.7:                                ;   in Loop: Header=BB75_3 Depth=1
	s_lshr_b32 s19, s18, 1
	v_cmp_gt_u32_e32 vcc, s19, v15
	s_and_saveexec_b64 s[8:9], vcc
	s_cbranch_execz .LBB75_9
.LBB75_8:                               ;   in Loop: Header=BB75_3 Depth=1
	v_add_u32_e32 v4, s19, v15
	v_mul_u32_u24_e32 v4, s33, v4
	v_lshl_add_u32 v4, v4, 3, v17
	ds_read_b64 v[4:5], v4
	s_waitcnt lgkmcnt(0)
	v_add_f64 v[2:3], v[2:3], v[4:5]
	ds_write_b64 v18, v[2:3]
.LBB75_9:                               ;   Parent Loop BB75_3 Depth=1
                                        ; =>  This Inner Loop Header: Depth=2
	s_or_b64 exec, exec, s[8:9]
	s_cmp_lt_u32 s18, 4
	s_waitcnt lgkmcnt(0)
	s_barrier
	s_cbranch_scc1 .LBB75_18
; %bb.10:                               ;   in Loop: Header=BB75_9 Depth=2
	s_mov_b32 s18, s19
	s_lshr_b32 s19, s18, 1
	v_cmp_gt_u32_e32 vcc, s19, v15
	s_and_saveexec_b64 s[8:9], vcc
	s_cbranch_execnz .LBB75_8
	s_branch .LBB75_9
.LBB75_11:                              ;   in Loop: Header=BB75_12 Depth=2
	s_or_b64 exec, exec, s[8:9]
	s_add_i32 s40, s40, -1
	v_add_u32_e32 v8, s39, v8
	v_add_u32_e32 v6, s31, v6
	s_cmp_eq_u32 s40, 0
	v_add_u32_e32 v4, s24, v4
	s_cbranch_scc1 .LBB75_6
.LBB75_12:                              ;   Parent Loop BB75_3 Depth=1
                                        ; =>  This Inner Loop Header: Depth=2
	s_waitcnt vmcnt(0)
	v_pk_mov_b32 v[12:13], 0, 0
	v_cmp_gt_i32_e32 vcc, s11, v4
	v_ashrrev_i32_e32 v5, 31, v4
	v_pk_mov_b32 v[10:11], v[12:13], v[12:13] op_sel:[0,1]
	s_and_saveexec_b64 s[18:19], vcc
	s_cbranch_execnz .LBB75_15
; %bb.13:                               ;   in Loop: Header=BB75_12 Depth=2
	s_or_b64 exec, exec, s[18:19]
	s_and_saveexec_b64 s[18:19], vcc
	s_cbranch_execnz .LBB75_16
.LBB75_14:                              ;   in Loop: Header=BB75_12 Depth=2
	s_or_b64 exec, exec, s[18:19]
	s_and_b64 s[18:19], s[4:5], vcc
	s_and_saveexec_b64 s[8:9], s[18:19]
	s_cbranch_execz .LBB75_11
	s_branch .LBB75_17
.LBB75_15:                              ;   in Loop: Header=BB75_12 Depth=2
	v_lshlrev_b64 v[10:11], 3, v[4:5]
	v_mov_b32_e32 v7, s21
	v_add_co_u32_e64 v10, s[8:9], s20, v10
	v_addc_co_u32_e64 v11, s[8:9], v7, v11, s[8:9]
	global_load_dwordx2 v[10:11], v[10:11], off
	s_or_b64 exec, exec, s[18:19]
	s_and_saveexec_b64 s[18:19], vcc
	s_cbranch_execz .LBB75_14
.LBB75_16:                              ;   in Loop: Header=BB75_12 Depth=2
	v_lshlrev_b64 v[12:13], 3, v[4:5]
	v_mov_b32_e32 v5, s23
	v_add_co_u32_e64 v12, s[8:9], s22, v12
	v_addc_co_u32_e64 v13, s[8:9], v5, v13, s[8:9]
	global_load_dwordx2 v[12:13], v[12:13], off
	s_or_b64 exec, exec, s[18:19]
	s_and_b64 s[18:19], s[4:5], vcc
	s_and_saveexec_b64 s[8:9], s[18:19]
	s_cbranch_execz .LBB75_11
.LBB75_17:                              ;   in Loop: Header=BB75_12 Depth=2
	v_ashrrev_i32_e32 v9, 31, v8
	v_lshlrev_b64 v[22:23], 3, v[8:9]
	v_mov_b32_e32 v5, s27
	v_add_co_u32_e32 v22, vcc, s26, v22
	v_ashrrev_i32_e32 v7, 31, v6
	v_addc_co_u32_e32 v23, vcc, v5, v23, vcc
	v_lshlrev_b64 v[24:25], 3, v[6:7]
	v_mov_b32_e32 v5, s30
	v_add_co_u32_e32 v24, vcc, s29, v24
	v_addc_co_u32_e32 v25, vcc, v5, v25, vcc
	global_load_dwordx2 v[26:27], v[24:25], off
	global_load_dwordx2 v[28:29], v[22:23], off
	s_waitcnt vmcnt(1)
	v_mul_f64 v[12:13], v[12:13], v[26:27]
	s_waitcnt vmcnt(0)
	v_fmac_f64_e32 v[12:13], v[10:11], v[28:29]
	v_add_f64 v[2:3], v[2:3], -v[12:13]
	s_branch .LBB75_11
.LBB75_18:                              ;   in Loop: Header=BB75_3 Depth=1
	s_and_b64 s[8:9], s[2:3], s[4:5]
	s_and_saveexec_b64 s[4:5], s[8:9]
	s_cbranch_execz .LBB75_2
; %bb.19:                               ;   in Loop: Header=BB75_3 Depth=1
	global_load_dwordx2 v[4:5], v21, s[12:13]
	v_lshlrev_b64 v[0:1], 3, v[0:1]
	v_mov_b32_e32 v6, s25
	v_add_co_u32_e32 v0, vcc, s7, v0
	v_addc_co_u32_e32 v1, vcc, v6, v1, vcc
	s_waitcnt vmcnt(0)
	v_mul_f64 v[2:3], v[2:3], v[4:5]
	global_store_dwordx2 v[0:1], v[2:3], off
	s_branch .LBB75_2
.LBB75_20:
	s_endpgm
	.section	.rodata,"a",@progbits
	.p2align	6, 0x0
	.amdhsa_kernel _ZN9rocsolver6v33100L26latrd_lower_updateW_kernelIdPdEEviiT0_iilPT_iilS5_lS5_l
		.amdhsa_group_segment_fixed_size 0
		.amdhsa_private_segment_fixed_size 0
		.amdhsa_kernarg_size 344
		.amdhsa_user_sgpr_count 6
		.amdhsa_user_sgpr_private_segment_buffer 1
		.amdhsa_user_sgpr_dispatch_ptr 0
		.amdhsa_user_sgpr_queue_ptr 0
		.amdhsa_user_sgpr_kernarg_segment_ptr 1
		.amdhsa_user_sgpr_dispatch_id 0
		.amdhsa_user_sgpr_flat_scratch_init 0
		.amdhsa_user_sgpr_kernarg_preload_length 0
		.amdhsa_user_sgpr_kernarg_preload_offset 0
		.amdhsa_user_sgpr_private_segment_size 0
		.amdhsa_uses_dynamic_stack 0
		.amdhsa_system_sgpr_private_segment_wavefront_offset 0
		.amdhsa_system_sgpr_workgroup_id_x 1
		.amdhsa_system_sgpr_workgroup_id_y 1
		.amdhsa_system_sgpr_workgroup_id_z 1
		.amdhsa_system_sgpr_workgroup_info 0
		.amdhsa_system_vgpr_workitem_id 1
		.amdhsa_next_free_vgpr 30
		.amdhsa_next_free_sgpr 41
		.amdhsa_accum_offset 32
		.amdhsa_reserve_vcc 1
		.amdhsa_reserve_flat_scratch 0
		.amdhsa_float_round_mode_32 0
		.amdhsa_float_round_mode_16_64 0
		.amdhsa_float_denorm_mode_32 3
		.amdhsa_float_denorm_mode_16_64 3
		.amdhsa_dx10_clamp 1
		.amdhsa_ieee_mode 1
		.amdhsa_fp16_overflow 0
		.amdhsa_tg_split 0
		.amdhsa_exception_fp_ieee_invalid_op 0
		.amdhsa_exception_fp_denorm_src 0
		.amdhsa_exception_fp_ieee_div_zero 0
		.amdhsa_exception_fp_ieee_overflow 0
		.amdhsa_exception_fp_ieee_underflow 0
		.amdhsa_exception_fp_ieee_inexact 0
		.amdhsa_exception_int_div_zero 0
	.end_amdhsa_kernel
	.section	.text._ZN9rocsolver6v33100L26latrd_lower_updateW_kernelIdPdEEviiT0_iilPT_iilS5_lS5_l,"axG",@progbits,_ZN9rocsolver6v33100L26latrd_lower_updateW_kernelIdPdEEviiT0_iilPT_iilS5_lS5_l,comdat
.Lfunc_end75:
	.size	_ZN9rocsolver6v33100L26latrd_lower_updateW_kernelIdPdEEviiT0_iilPT_iilS5_lS5_l, .Lfunc_end75-_ZN9rocsolver6v33100L26latrd_lower_updateW_kernelIdPdEEviiT0_iilPT_iilS5_lS5_l
                                        ; -- End function
	.section	.AMDGPU.csdata,"",@progbits
; Kernel info:
; codeLenInByte = 1564
; NumSgprs: 45
; NumVgprs: 30
; NumAgprs: 0
; TotalNumVgprs: 30
; ScratchSize: 0
; MemoryBound: 0
; FloatMode: 240
; IeeeMode: 1
; LDSByteSize: 0 bytes/workgroup (compile time only)
; SGPRBlocks: 5
; VGPRBlocks: 3
; NumSGPRsForWavesPerEU: 45
; NumVGPRsForWavesPerEU: 30
; AccumOffset: 32
; Occupancy: 8
; WaveLimiterHint : 0
; COMPUTE_PGM_RSRC2:SCRATCH_EN: 0
; COMPUTE_PGM_RSRC2:USER_SGPR: 6
; COMPUTE_PGM_RSRC2:TRAP_HANDLER: 0
; COMPUTE_PGM_RSRC2:TGID_X_EN: 1
; COMPUTE_PGM_RSRC2:TGID_Y_EN: 1
; COMPUTE_PGM_RSRC2:TGID_Z_EN: 1
; COMPUTE_PGM_RSRC2:TIDIG_COMP_CNT: 1
; COMPUTE_PGM_RSRC3_GFX90A:ACCUM_OFFSET: 7
; COMPUTE_PGM_RSRC3_GFX90A:TG_SPLIT: 0
	.section	.text._ZN9rocsolver6v33100L20latrd_dot_scale_axpyILi1024EdiPdEEvT1_T2_llPT0_llS6_l,"axG",@progbits,_ZN9rocsolver6v33100L20latrd_dot_scale_axpyILi1024EdiPdEEvT1_T2_llPT0_llS6_l,comdat
	.globl	_ZN9rocsolver6v33100L20latrd_dot_scale_axpyILi1024EdiPdEEvT1_T2_llPT0_llS6_l ; -- Begin function _ZN9rocsolver6v33100L20latrd_dot_scale_axpyILi1024EdiPdEEvT1_T2_llPT0_llS6_l
	.p2align	8
	.type	_ZN9rocsolver6v33100L20latrd_dot_scale_axpyILi1024EdiPdEEvT1_T2_llPT0_llS6_l,@function
_ZN9rocsolver6v33100L20latrd_dot_scale_axpyILi1024EdiPdEEvT1_T2_llPT0_llS6_l: ; @_ZN9rocsolver6v33100L20latrd_dot_scale_axpyILi1024EdiPdEEvT1_T2_llPT0_llS6_l
; %bb.0:
	s_load_dwordx16 s[8:23], s[4:5], 0x8
	s_load_dword s33, s[4:5], 0x0
	s_ashr_i32 s6, s7, 31
	v_pk_mov_b32 v[2:3], 0, 0
	v_lshlrev_b32_e32 v8, 3, v0
	s_waitcnt lgkmcnt(0)
	s_mul_i32 s0, s7, s13
	s_mul_hi_u32 s1, s7, s12
	s_add_i32 s0, s1, s0
	s_mul_i32 s1, s6, s12
	s_add_i32 s5, s0, s1
	s_mul_i32 s0, s7, s19
	s_mul_hi_u32 s1, s7, s18
	s_add_i32 s0, s1, s0
	s_mul_i32 s1, s6, s18
	s_add_i32 s1, s0, s1
	s_mul_i32 s0, s7, s18
	s_mul_i32 s4, s7, s12
	s_lshl_b64 s[12:13], s[0:1], 3
	s_add_u32 s0, s14, s12
	s_addc_u32 s1, s15, s13
	s_lshl_b64 s[16:17], s[16:17], 3
	s_add_u32 s18, s0, s16
	s_addc_u32 s19, s1, s17
	v_cmp_gt_i32_e64 s[0:1], s33, v0
	s_and_saveexec_b64 s[24:25], s[0:1]
	s_cbranch_execz .LBB76_6
; %bb.1:
	s_lshl_b64 s[2:3], s[4:5], 3
	s_add_u32 s26, s8, s2
	s_addc_u32 s27, s9, s3
	s_lshl_b64 s[30:31], s[10:11], 3
	s_add_u32 s26, s26, s30
	s_addc_u32 s27, s27, s31
	global_load_dwordx2 v[2:3], v8, s[26:27]
	global_load_dwordx2 v[4:5], v8, s[18:19]
	v_or_b32_e32 v1, 0x400, v0
	s_mov_b64 s[26:27], 0
	v_cmp_gt_u32_e32 vcc, s33, v1
	s_waitcnt vmcnt(0)
	ds_write2st64_b64 v8, v[2:3], v[4:5] offset1:16
	v_mul_f64 v[2:3], v[2:3], v[4:5]
	v_add_f64 v[2:3], v[2:3], 0
	s_and_saveexec_b64 s[28:29], vcc
	s_cbranch_execz .LBB76_5
; %bb.2:
	s_add_u32 s2, s2, s30
	s_addc_u32 s3, s3, s31
	s_add_u32 s2, s8, s2
	s_addc_u32 s3, s9, s3
	v_mov_b32_e32 v4, s3
	v_add_co_u32_e32 v5, vcc, s2, v8
	s_add_u32 s2, s12, s16
	v_addc_co_u32_e32 v6, vcc, 0, v4, vcc
	s_addc_u32 s3, s13, s17
	v_add_co_u32_e32 v4, vcc, 0x2000, v5
	s_add_u32 s2, s14, s2
	v_addc_co_u32_e32 v5, vcc, 0, v6, vcc
	s_addc_u32 s3, s15, s3
	v_mov_b32_e32 v6, s3
	v_add_co_u32_e32 v7, vcc, s2, v8
	v_addc_co_u32_e32 v9, vcc, 0, v6, vcc
	v_add_co_u32_e32 v6, vcc, 0x2000, v7
	v_addc_co_u32_e32 v7, vcc, 0, v9, vcc
.LBB76_3:                               ; =>This Inner Loop Header: Depth=1
	global_load_dwordx2 v[10:11], v[6:7], off
	global_load_dwordx2 v[12:13], v[4:5], off
	v_add_co_u32_e32 v4, vcc, 0x2000, v4
	v_add_u32_e32 v1, 0x400, v1
	v_addc_co_u32_e32 v5, vcc, 0, v5, vcc
	v_add_co_u32_e32 v6, vcc, 0x2000, v6
	v_cmp_le_i32_e64 s[2:3], s33, v1
	v_addc_co_u32_e32 v7, vcc, 0, v7, vcc
	s_or_b64 s[26:27], s[2:3], s[26:27]
	s_waitcnt vmcnt(0)
	v_mul_f64 v[10:11], v[12:13], v[10:11]
	v_add_f64 v[2:3], v[2:3], v[10:11]
	s_andn2_b64 exec, exec, s[26:27]
	s_cbranch_execnz .LBB76_3
; %bb.4:
	s_or_b64 exec, exec, s[26:27]
.LBB76_5:
	s_or_b64 exec, exec, s[28:29]
.LBB76_6:
	s_or_b64 exec, exec, s[24:25]
	v_mbcnt_lo_u32_b32 v1, -1, 0
	v_mbcnt_hi_u32_b32 v1, -1, v1
	v_and_b32_e32 v6, 63, v1
	v_cmp_ne_u32_e32 vcc, 63, v6
	v_addc_co_u32_e32 v4, vcc, 0, v1, vcc
	v_lshlrev_b32_e32 v5, 2, v4
	ds_bpermute_b32 v4, v5, v2
	ds_bpermute_b32 v5, v5, v3
	v_cmp_gt_u32_e32 vcc, 62, v6
	s_waitcnt lgkmcnt(0)
	v_add_f64 v[2:3], v[2:3], v[4:5]
	v_cndmask_b32_e64 v4, 0, 1, vcc
	v_lshlrev_b32_e32 v4, 1, v4
	v_add_lshl_u32 v5, v4, v1, 2
	ds_bpermute_b32 v4, v5, v2
	ds_bpermute_b32 v5, v5, v3
	v_cmp_gt_u32_e32 vcc, 60, v6
	s_waitcnt lgkmcnt(0)
	v_add_f64 v[2:3], v[2:3], v[4:5]
	v_cndmask_b32_e64 v4, 0, 1, vcc
	v_lshlrev_b32_e32 v4, 2, v4
	v_add_lshl_u32 v5, v4, v1, 2
	;; [unrolled: 8-line block ×5, first 2 shown]
	ds_bpermute_b32 v4, v1, v2
	ds_bpermute_b32 v5, v1, v3
	v_and_b32_e32 v1, 63, v0
	v_cmp_eq_u32_e32 vcc, 0, v1
	s_waitcnt lgkmcnt(0)
	v_add_f64 v[2:3], v[2:3], v[4:5]
	s_and_saveexec_b64 s[2:3], vcc
	s_cbranch_execz .LBB76_8
; %bb.7:
	v_lshrrev_b32_e32 v1, 3, v0
	ds_write_b64 v1, v[2:3] offset:16384
.LBB76_8:
	s_or_b64 exec, exec, s[2:3]
	v_cmp_eq_u32_e32 vcc, 0, v0
	s_waitcnt lgkmcnt(0)
	s_barrier
	s_and_saveexec_b64 s[2:3], vcc
	s_cbranch_execz .LBB76_10
; %bb.9:
	v_mov_b32_e32 v1, 0x4008
	ds_read2_b64 v[4:7], v1 offset1:1
	v_mov_b32_e32 v1, 0x4018
	ds_read2_b64 v[10:13], v1 offset1:1
	v_mov_b32_e32 v1, 0x4028
	s_mul_i32 s23, s7, s23
	s_waitcnt lgkmcnt(1)
	v_add_f64 v[2:3], v[2:3], v[4:5]
	v_add_f64 v[6:7], v[2:3], v[6:7]
	ds_read2_b64 v[2:5], v1 offset1:1
	s_waitcnt lgkmcnt(1)
	v_add_f64 v[6:7], v[6:7], v[10:11]
	v_mov_b32_e32 v1, 0x4038
	v_add_f64 v[6:7], v[6:7], v[12:13]
	ds_read2_b64 v[10:13], v1 offset1:1
	s_waitcnt lgkmcnt(1)
	v_add_f64 v[2:3], v[6:7], v[2:3]
	v_mov_b32_e32 v1, 0x4048
	v_add_f64 v[6:7], v[2:3], v[4:5]
	ds_read2_b64 v[2:5], v1 offset1:1
	v_mov_b32_e32 v1, 0x4058
	ds_read2_b64 v[14:17], v1 offset1:1
	s_mul_hi_u32 s24, s7, s22
	s_waitcnt lgkmcnt(2)
	v_add_f64 v[6:7], v[6:7], v[10:11]
	s_add_i32 s23, s24, s23
	s_mul_i32 s6, s6, s22
	v_add_f64 v[6:7], v[6:7], v[12:13]
	s_add_i32 s23, s23, s6
	s_mul_i32 s22, s7, s22
	s_waitcnt lgkmcnt(1)
	v_add_f64 v[2:3], v[6:7], v[2:3]
	s_lshl_b64 s[6:7], s[22:23], 3
	v_add_f64 v[2:3], v[2:3], v[4:5]
	v_mov_b32_e32 v1, 0x4068
	s_add_u32 s6, s20, s6
	s_waitcnt lgkmcnt(0)
	v_add_f64 v[6:7], v[2:3], v[14:15]
	ds_read2_b64 v[2:5], v1 offset1:1
	s_addc_u32 s7, s21, s7
	v_mov_b32_e32 v1, 0
	ds_read_b64 v[10:11], v1 offset:16504
	s_load_dwordx2 s[6:7], s[6:7], 0x0
	v_add_f64 v[6:7], v[6:7], v[16:17]
	s_waitcnt lgkmcnt(0)
	v_add_f64 v[2:3], v[6:7], v[2:3]
	v_add_f64 v[2:3], v[2:3], v[4:5]
	;; [unrolled: 1-line block ×3, first 2 shown]
	v_mul_f64 v[4:5], s[6:7], -0.5
	v_mul_f64 v[2:3], v[2:3], v[4:5]
	ds_write_b64 v1, v[2:3] offset:16384
.LBB76_10:
	s_or_b64 exec, exec, s[2:3]
	s_waitcnt lgkmcnt(0)
	s_barrier
	s_and_saveexec_b64 s[2:3], s[0:1]
	s_cbranch_execz .LBB76_14
; %bb.11:
	v_mov_b32_e32 v1, 0
	ds_read2st64_b64 v[10:13], v8 offset1:16
	ds_read_b64 v[2:3], v1 offset:16384
	v_or_b32_e32 v6, 0x400, v0
	v_cmp_gt_i32_e32 vcc, s33, v6
	s_waitcnt lgkmcnt(0)
	v_fmac_f64_e32 v[12:13], v[2:3], v[10:11]
	global_store_dwordx2 v8, v[12:13], s[18:19]
	s_and_b64 exec, exec, vcc
	s_cbranch_execz .LBB76_14
; %bb.12:
	s_add_u32 s0, s12, s16
	s_addc_u32 s1, s13, s17
	s_add_u32 s0, s14, s0
	s_addc_u32 s1, s15, s1
	v_mov_b32_e32 v0, s1
	v_add_co_u32_e32 v1, vcc, s0, v8
	s_lshl_b64 s[0:1], s[4:5], 3
	s_lshl_b64 s[2:3], s[10:11], 3
	s_add_u32 s0, s0, s2
	v_addc_co_u32_e32 v4, vcc, 0, v0, vcc
	s_addc_u32 s1, s1, s3
	v_add_co_u32_e32 v0, vcc, 0x2000, v1
	s_add_u32 s0, s8, s0
	v_addc_co_u32_e32 v1, vcc, 0, v4, vcc
	s_addc_u32 s1, s9, s1
	v_mov_b32_e32 v4, s1
	v_add_co_u32_e32 v5, vcc, s0, v8
	v_addc_co_u32_e32 v7, vcc, 0, v4, vcc
	v_add_co_u32_e32 v4, vcc, 0x2000, v5
	v_addc_co_u32_e32 v5, vcc, 0, v7, vcc
	s_mov_b64 s[0:1], 0
.LBB76_13:                              ; =>This Inner Loop Header: Depth=1
	global_load_dwordx2 v[8:9], v[0:1], off
	global_load_dwordx2 v[10:11], v[4:5], off
	v_add_u32_e32 v6, 0x400, v6
	v_cmp_le_i32_e32 vcc, s33, v6
	s_or_b64 s[0:1], vcc, s[0:1]
	s_waitcnt vmcnt(0)
	v_fmac_f64_e32 v[8:9], v[2:3], v[10:11]
	global_store_dwordx2 v[0:1], v[8:9], off
	v_add_co_u32_e32 v0, vcc, 0x2000, v0
	v_addc_co_u32_e32 v1, vcc, 0, v1, vcc
	v_add_co_u32_e32 v4, vcc, 0x2000, v4
	v_addc_co_u32_e32 v5, vcc, 0, v5, vcc
	s_andn2_b64 exec, exec, s[0:1]
	s_cbranch_execnz .LBB76_13
.LBB76_14:
	s_endpgm
	.section	.rodata,"a",@progbits
	.p2align	6, 0x0
	.amdhsa_kernel _ZN9rocsolver6v33100L20latrd_dot_scale_axpyILi1024EdiPdEEvT1_T2_llPT0_llS6_l
		.amdhsa_group_segment_fixed_size 16512
		.amdhsa_private_segment_fixed_size 0
		.amdhsa_kernarg_size 72
		.amdhsa_user_sgpr_count 6
		.amdhsa_user_sgpr_private_segment_buffer 1
		.amdhsa_user_sgpr_dispatch_ptr 0
		.amdhsa_user_sgpr_queue_ptr 0
		.amdhsa_user_sgpr_kernarg_segment_ptr 1
		.amdhsa_user_sgpr_dispatch_id 0
		.amdhsa_user_sgpr_flat_scratch_init 0
		.amdhsa_user_sgpr_kernarg_preload_length 0
		.amdhsa_user_sgpr_kernarg_preload_offset 0
		.amdhsa_user_sgpr_private_segment_size 0
		.amdhsa_uses_dynamic_stack 0
		.amdhsa_system_sgpr_private_segment_wavefront_offset 0
		.amdhsa_system_sgpr_workgroup_id_x 1
		.amdhsa_system_sgpr_workgroup_id_y 0
		.amdhsa_system_sgpr_workgroup_id_z 1
		.amdhsa_system_sgpr_workgroup_info 0
		.amdhsa_system_vgpr_workitem_id 0
		.amdhsa_next_free_vgpr 18
		.amdhsa_next_free_sgpr 34
		.amdhsa_accum_offset 20
		.amdhsa_reserve_vcc 1
		.amdhsa_reserve_flat_scratch 0
		.amdhsa_float_round_mode_32 0
		.amdhsa_float_round_mode_16_64 0
		.amdhsa_float_denorm_mode_32 3
		.amdhsa_float_denorm_mode_16_64 3
		.amdhsa_dx10_clamp 1
		.amdhsa_ieee_mode 1
		.amdhsa_fp16_overflow 0
		.amdhsa_tg_split 0
		.amdhsa_exception_fp_ieee_invalid_op 0
		.amdhsa_exception_fp_denorm_src 0
		.amdhsa_exception_fp_ieee_div_zero 0
		.amdhsa_exception_fp_ieee_overflow 0
		.amdhsa_exception_fp_ieee_underflow 0
		.amdhsa_exception_fp_ieee_inexact 0
		.amdhsa_exception_int_div_zero 0
	.end_amdhsa_kernel
	.section	.text._ZN9rocsolver6v33100L20latrd_dot_scale_axpyILi1024EdiPdEEvT1_T2_llPT0_llS6_l,"axG",@progbits,_ZN9rocsolver6v33100L20latrd_dot_scale_axpyILi1024EdiPdEEvT1_T2_llPT0_llS6_l,comdat
.Lfunc_end76:
	.size	_ZN9rocsolver6v33100L20latrd_dot_scale_axpyILi1024EdiPdEEvT1_T2_llPT0_llS6_l, .Lfunc_end76-_ZN9rocsolver6v33100L20latrd_dot_scale_axpyILi1024EdiPdEEvT1_T2_llPT0_llS6_l
                                        ; -- End function
	.section	.AMDGPU.csdata,"",@progbits
; Kernel info:
; codeLenInByte = 1360
; NumSgprs: 38
; NumVgprs: 18
; NumAgprs: 0
; TotalNumVgprs: 18
; ScratchSize: 0
; MemoryBound: 0
; FloatMode: 240
; IeeeMode: 1
; LDSByteSize: 16512 bytes/workgroup (compile time only)
; SGPRBlocks: 4
; VGPRBlocks: 2
; NumSGPRsForWavesPerEU: 38
; NumVGPRsForWavesPerEU: 18
; AccumOffset: 20
; Occupancy: 8
; WaveLimiterHint : 0
; COMPUTE_PGM_RSRC2:SCRATCH_EN: 0
; COMPUTE_PGM_RSRC2:USER_SGPR: 6
; COMPUTE_PGM_RSRC2:TRAP_HANDLER: 0
; COMPUTE_PGM_RSRC2:TGID_X_EN: 1
; COMPUTE_PGM_RSRC2:TGID_Y_EN: 0
; COMPUTE_PGM_RSRC2:TGID_Z_EN: 1
; COMPUTE_PGM_RSRC2:TIDIG_COMP_CNT: 0
; COMPUTE_PGM_RSRC3_GFX90A:ACCUM_OFFSET: 4
; COMPUTE_PGM_RSRC3_GFX90A:TG_SPLIT: 0
	.section	.text._ZN9rocsolver6v33100L26latrd_upper_updateA_kernelIdPdEEviiiT0_iilPT_iil,"axG",@progbits,_ZN9rocsolver6v33100L26latrd_upper_updateA_kernelIdPdEEviiiT0_iilPT_iil,comdat
	.globl	_ZN9rocsolver6v33100L26latrd_upper_updateA_kernelIdPdEEviiiT0_iilPT_iil ; -- Begin function _ZN9rocsolver6v33100L26latrd_upper_updateA_kernelIdPdEEviiiT0_iilPT_iil
	.p2align	8
	.type	_ZN9rocsolver6v33100L26latrd_upper_updateA_kernelIdPdEEviiiT0_iilPT_iil,@function
_ZN9rocsolver6v33100L26latrd_upper_updateA_kernelIdPdEEviiiT0_iilPT_iil: ; @_ZN9rocsolver6v33100L26latrd_upper_updateA_kernelIdPdEEviiiT0_iilPT_iil
; %bb.0:
	s_load_dword s0, s[4:5], 0x4c
	s_load_dwordx4 s[20:23], s[4:5], 0x0
	s_load_dwordx2 s[28:29], s[4:5], 0x40
	s_mov_b32 s33, 0
	s_waitcnt lgkmcnt(0)
	s_abs_i32 s1, s22
	s_and_b32 s30, s0, 0xffff
	v_cvt_f32_u32_e32 v1, s30
	s_sub_i32 s2, 0, s30
	s_ashr_i32 s23, s22, 31
	v_rcp_iflag_f32_e32 v1, v1
	v_mul_f32_e32 v1, 0x4f7ffffe, v1
	v_cvt_u32_f32_e32 v1, v1
	v_readfirstlane_b32 s3, v1
	s_mul_i32 s2, s2, s3
	s_mul_hi_u32 s2, s3, s2
	s_add_i32 s3, s3, s2
	s_mul_hi_u32 s2, s1, s3
	s_mul_i32 s3, s2, s30
	s_sub_i32 s1, s1, s3
	s_add_i32 s9, s2, 1
	s_sub_i32 s3, s1, s30
	s_cmp_ge_u32 s1, s30
	s_cselect_b32 s2, s9, s2
	s_cselect_b32 s1, s3, s1
	s_add_i32 s3, s2, 1
	s_cmp_ge_u32 s1, s30
	s_cselect_b32 s1, s3, s2
	s_abs_i32 s2, s28
	v_cvt_f32_u32_e32 v1, s2
	s_sub_i32 s3, 0, s2
	s_xor_b32 s1, s1, s23
	s_sub_i32 s1, s1, s23
	v_rcp_iflag_f32_e32 v1, v1
	s_xor_b32 s9, s1, s28
	s_abs_i32 s1, s1
	s_ashr_i32 s9, s9, 31
	v_mul_f32_e32 v1, 0x4f7ffffe, v1
	v_cvt_u32_f32_e32 v1, v1
	v_readfirstlane_b32 s10, v1
	s_mul_i32 s3, s3, s10
	s_mul_hi_u32 s3, s10, s3
	s_add_i32 s10, s10, s3
	s_mul_hi_u32 s3, s1, s10
	s_mul_i32 s10, s3, s2
	s_sub_i32 s1, s1, s10
	s_add_i32 s11, s3, 1
	s_sub_i32 s10, s1, s2
	s_cmp_ge_u32 s1, s2
	s_cselect_b32 s3, s11, s3
	s_cselect_b32 s1, s10, s1
	s_add_i32 s10, s3, 1
	s_cmp_ge_u32 s1, s2
	s_cselect_b32 s1, s10, s3
	s_xor_b32 s1, s1, s9
	s_sub_i32 s31, s1, s9
	s_cmp_lt_i32 s31, 0
	s_cbranch_scc1 .LBB77_20
; %bb.1:
	s_load_dwordx8 s[12:19], s[4:5], 0x10
	s_load_dwordx4 s[24:27], s[4:5], 0x30
	s_ashr_i32 s4, s8, 31
	s_lshr_b32 s34, s0, 16
	v_and_b32_e32 v12, 0x3ff, v0
	s_waitcnt lgkmcnt(0)
	s_mul_i32 s2, s8, s17
	s_mul_hi_u32 s3, s8, s16
	s_add_i32 s2, s3, s2
	s_mul_i32 s3, s4, s16
	s_add_i32 s3, s2, s3
	s_mul_i32 s2, s8, s16
	s_ashr_i32 s1, s14, 31
	s_lshl_b64 s[2:3], s[2:3], 3
	s_mov_b32 s0, s14
	s_add_u32 s2, s12, s2
	s_addc_u32 s3, s13, s3
	s_lshl_b64 s[0:1], s[0:1], 3
	s_add_u32 s5, s2, s0
	s_addc_u32 s9, s3, s1
	s_mul_i32 s2, s8, s27
	s_mul_hi_u32 s3, s8, s26
	s_add_i32 s2, s3, s2
	s_mul_i32 s4, s4, s26
	s_add_i32 s3, s2, s4
	s_mul_i32 s2, s8, s26
	s_ashr_i32 s1, s24, 31
	s_lshl_b64 s[2:3], s[2:3], 3
	s_mov_b32 s0, s24
	s_add_u32 s2, s18, s2
	s_addc_u32 s3, s19, s3
	s_lshl_b64 s[0:1], s[0:1], 3
	s_add_u32 s2, s2, s0
	s_addc_u32 s3, s3, s1
	s_not_b32 s18, s22
	s_mul_hi_i32 s1, s15, s22
	s_mul_i32 s0, s15, s22
	s_add_i32 s18, s18, s20
	s_add_i32 s4, s22, 1
	s_lshl_b64 s[0:1], s[0:1], 3
	v_bfe_u32 v13, v0, 10, 10
	s_add_u32 s19, s5, s0
	v_cvt_f32_u32_e32 v0, s34
	s_addc_u32 s24, s9, s1
	s_mul_hi_i32 s1, s15, s4
	s_mul_i32 s0, s15, s4
	s_lshl_b64 s[0:1], s[0:1], 3
	s_add_u32 s26, s5, s0
	s_addc_u32 s27, s9, s1
	s_sub_i32 s0, s21, s20
	v_rcp_iflag_f32_e32 v0, v0
	s_add_i32 s4, s4, s0
	s_mul_hi_i32 s1, s25, s4
	s_mul_i32 s0, s25, s4
	s_lshl_b64 s[0:1], s[0:1], 3
	s_add_u32 s20, s2, s0
	v_mul_f32_e32 v0, 0x4f7ffffe, v0
	s_addc_u32 s21, s3, s1
	s_lshl_b64 s[0:1], s[22:23], 3
	v_cvt_u32_f32_e32 v0, v0
	s_add_u32 s23, s20, s0
	s_addc_u32 s35, s21, s1
	s_add_u32 s36, s26, s0
	s_addc_u32 s37, s27, s1
	s_sub_i32 s2, 0, s34
	v_readfirstlane_b32 s3, v0
	s_mul_i32 s2, s2, s3
	s_add_i32 s0, s18, -1
	s_mul_hi_u32 s2, s3, s2
	s_ashr_i32 s1, s0, 31
	s_abs_i32 s0, s0
	s_add_i32 s3, s3, s2
	s_mul_hi_u32 s2, s0, s3
	s_mul_i32 s3, s2, s34
	s_sub_i32 s0, s0, s3
	s_add_i32 s3, s2, 1
	s_sub_i32 s4, s0, s34
	s_cmp_ge_u32 s0, s34
	s_cselect_b32 s2, s3, s2
	s_cselect_b32 s0, s4, s0
	s_add_i32 s3, s2, 1
	s_cmp_ge_u32 s0, s34
	s_cselect_b32 s0, s3, s2
	s_abs_i32 s2, s29
	v_cvt_f32_u32_e32 v0, s2
	s_sub_i32 s3, 0, s2
	s_xor_b32 s0, s0, s1
	s_sub_i32 s0, s0, s1
	v_rcp_iflag_f32_e32 v0, v0
	s_xor_b32 s1, s0, s29
	s_abs_i32 s0, s0
	s_ashr_i32 s1, s1, 31
	v_mul_f32_e32 v0, 0x4f7ffffe, v0
	v_cvt_u32_f32_e32 v0, v0
	s_mul_i32 s7, s7, s34
	v_add_u32_e32 v14, s7, v13
	s_mul_i32 s38, s29, s34
	v_readfirstlane_b32 s4, v0
	s_mul_i32 s3, s3, s4
	s_mul_hi_u32 s3, s4, s3
	s_add_i32 s4, s4, s3
	s_mul_hi_u32 s3, s0, s4
	s_mul_i32 s4, s3, s2
	s_sub_i32 s0, s0, s4
	s_add_i32 s4, s3, 1
	s_sub_i32 s5, s0, s2
	s_cmp_ge_u32 s0, s2
	s_cselect_b32 s3, s4, s3
	s_cselect_b32 s0, s5, s0
	s_add_i32 s4, s3, 1
	s_cmp_ge_u32 s0, s2
	s_cselect_b32 s0, s4, s3
	s_xor_b32 s0, s0, s1
	s_sub_i32 s7, s0, s1
	s_cmp_gt_i32 s7, -1
	v_mul_u32_u24_e32 v0, s30, v13
	v_lshl_add_u32 v15, v12, 3, 0
	s_mul_i32 s4, s6, s30
	v_cmp_ne_u32_e64 s[0:1], 0, v14
	v_lshl_add_u32 v16, v0, 3, v15
	v_cmp_ne_u32_e64 s[2:3], 0, v13
	s_cselect_b64 s[12:13], -1, 0
	s_add_i32 s7, s7, 1
	v_add_u32_e32 v17, s4, v12
	s_mul_i32 s29, s28, s30
	v_mul_lo_u32 v18, s15, v14
	s_mul_i32 s39, s38, s15
	v_mul_lo_u32 v19, s25, v14
	s_mul_i32 s25, s38, s25
	v_cmp_gt_u16_e64 s[14:15], s34, 1
	s_branch .LBB77_3
.LBB77_2:                               ;   in Loop: Header=BB77_3 Depth=1
	s_or_b64 exec, exec, s[4:5]
	s_add_i32 s4, s33, 1
	v_add_u32_e32 v17, s29, v17
	s_cmp_eq_u32 s33, s31
	s_mov_b32 s33, s4
	s_cbranch_scc1 .LBB77_20
.LBB77_3:                               ; =>This Loop Header: Depth=1
                                        ;     Child Loop BB77_12 Depth 2
                                        ;     Child Loop BB77_9 Depth 2
	s_mul_i32 s4, s33, s28
	s_add_i32 s4, s4, s6
	s_mul_i32 s4, s4, s30
	v_add_u32_e32 v0, s4, v12
	v_cmp_lt_i32_e64 s[4:5], s22, v0
	s_or_b64 s[8:9], s[0:1], s[4:5]
	s_xor_b64 s[10:11], s[8:9], -1
	v_pk_mov_b32 v[2:3], 0, 0
	v_ashrrev_i32_e32 v1, 31, v0
	s_and_saveexec_b64 s[8:9], s[10:11]
	s_cbranch_execz .LBB77_5
; %bb.4:                                ;   in Loop: Header=BB77_3 Depth=1
	v_lshlrev_b64 v[2:3], 3, v[0:1]
	v_mov_b32_e32 v4, s24
	v_add_co_u32_e32 v2, vcc, s19, v2
	v_addc_co_u32_e32 v3, vcc, v4, v3, vcc
	global_load_dwordx2 v[2:3], v[2:3], off
.LBB77_5:                               ;   in Loop: Header=BB77_3 Depth=1
	s_or_b64 exec, exec, s[8:9]
	s_andn2_b64 vcc, exec, s[12:13]
	v_mov_b32_e32 v20, v14
	v_mov_b32_e32 v4, v19
	;; [unrolled: 1-line block ×3, first 2 shown]
	s_mov_b32 s40, s7
	s_cbranch_vccz .LBB77_12
.LBB77_6:                               ;   in Loop: Header=BB77_3 Depth=1
	s_andn2_b64 vcc, exec, s[14:15]
	s_mov_b32 s10, s34
	s_waitcnt vmcnt(0)
	ds_write_b64 v16, v[2:3]
	s_waitcnt lgkmcnt(0)
	s_barrier
	s_cbranch_vccnz .LBB77_18
; %bb.7:                                ;   in Loop: Header=BB77_3 Depth=1
	s_lshr_b32 s11, s10, 1
	v_cmp_gt_u32_e32 vcc, s11, v13
	s_and_saveexec_b64 s[8:9], vcc
	s_cbranch_execz .LBB77_9
.LBB77_8:                               ;   in Loop: Header=BB77_3 Depth=1
	v_add_u32_e32 v4, s11, v13
	v_mul_u32_u24_e32 v4, s30, v4
	v_lshl_add_u32 v4, v4, 3, v15
	ds_read_b64 v[4:5], v4
	s_waitcnt lgkmcnt(0)
	v_add_f64 v[2:3], v[2:3], v[4:5]
	ds_write_b64 v16, v[2:3]
.LBB77_9:                               ;   Parent Loop BB77_3 Depth=1
                                        ; =>  This Inner Loop Header: Depth=2
	s_or_b64 exec, exec, s[8:9]
	s_cmp_lt_u32 s10, 4
	s_waitcnt lgkmcnt(0)
	s_barrier
	s_cbranch_scc1 .LBB77_18
; %bb.10:                               ;   in Loop: Header=BB77_9 Depth=2
	s_mov_b32 s10, s11
	s_lshr_b32 s11, s10, 1
	v_cmp_gt_u32_e32 vcc, s11, v13
	s_and_saveexec_b64 s[8:9], vcc
	s_cbranch_execnz .LBB77_8
	s_branch .LBB77_9
.LBB77_11:                              ;   in Loop: Header=BB77_12 Depth=2
	s_or_b64 exec, exec, s[8:9]
	s_add_i32 s40, s40, -1
	v_add_u32_e32 v6, s39, v6
	v_add_u32_e32 v4, s25, v4
	s_cmp_eq_u32 s40, 0
	v_add_u32_e32 v20, s38, v20
	s_cbranch_scc1 .LBB77_6
.LBB77_12:                              ;   Parent Loop BB77_3 Depth=1
                                        ; =>  This Inner Loop Header: Depth=2
	s_waitcnt vmcnt(0)
	v_pk_mov_b32 v[10:11], 0, 0
	v_cmp_le_i32_e32 vcc, s18, v20
	v_cmp_gt_i32_e64 s[8:9], s18, v20
	v_pk_mov_b32 v[8:9], v[10:11], v[10:11] op_sel:[0,1]
	s_and_saveexec_b64 s[16:17], s[8:9]
	s_cbranch_execz .LBB77_14
; %bb.13:                               ;   in Loop: Header=BB77_12 Depth=2
	v_ashrrev_i32_e32 v5, 31, v4
	v_lshlrev_b64 v[8:9], 3, v[4:5]
	v_mov_b32_e32 v5, s35
	v_add_co_u32_e64 v8, s[10:11], s23, v8
	v_addc_co_u32_e64 v9, s[10:11], v5, v9, s[10:11]
	global_load_dwordx2 v[8:9], v[8:9], off
.LBB77_14:                              ;   in Loop: Header=BB77_12 Depth=2
	s_or_b64 exec, exec, s[16:17]
	s_and_saveexec_b64 s[10:11], s[8:9]
	s_cbranch_execz .LBB77_16
; %bb.15:                               ;   in Loop: Header=BB77_12 Depth=2
	v_ashrrev_i32_e32 v7, 31, v6
	v_lshlrev_b64 v[10:11], 3, v[6:7]
	v_mov_b32_e32 v5, s37
	v_add_co_u32_e64 v10, s[8:9], s36, v10
	v_addc_co_u32_e64 v11, s[8:9], v5, v11, s[8:9]
	global_load_dwordx2 v[10:11], v[10:11], off
.LBB77_16:                              ;   in Loop: Header=BB77_12 Depth=2
	s_or_b64 exec, exec, s[10:11]
	s_or_b64 s[8:9], s[4:5], vcc
	s_xor_b64 s[10:11], s[8:9], -1
	s_and_saveexec_b64 s[8:9], s[10:11]
	s_cbranch_execz .LBB77_11
; %bb.17:                               ;   in Loop: Header=BB77_12 Depth=2
	v_add_u32_e32 v22, v17, v6
	v_ashrrev_i32_e32 v23, 31, v22
	v_lshlrev_b64 v[22:23], 3, v[22:23]
	v_add_u32_e32 v24, v17, v4
	v_mov_b32_e32 v5, s27
	v_add_co_u32_e32 v22, vcc, s26, v22
	v_ashrrev_i32_e32 v25, 31, v24
	v_addc_co_u32_e32 v23, vcc, v5, v23, vcc
	v_lshlrev_b64 v[24:25], 3, v[24:25]
	v_mov_b32_e32 v5, s21
	v_add_co_u32_e32 v24, vcc, s20, v24
	v_addc_co_u32_e32 v25, vcc, v5, v25, vcc
	global_load_dwordx2 v[26:27], v[24:25], off
	global_load_dwordx2 v[28:29], v[22:23], off
	s_waitcnt vmcnt(1)
	v_mul_f64 v[10:11], v[10:11], v[26:27]
	s_waitcnt vmcnt(0)
	v_fmac_f64_e32 v[10:11], v[8:9], v[28:29]
	v_add_f64 v[2:3], v[2:3], -v[10:11]
	s_branch .LBB77_11
.LBB77_18:                              ;   in Loop: Header=BB77_3 Depth=1
	s_or_b64 s[4:5], s[2:3], s[4:5]
	s_xor_b64 s[8:9], s[4:5], -1
	s_and_saveexec_b64 s[4:5], s[8:9]
	s_cbranch_execz .LBB77_2
; %bb.19:                               ;   in Loop: Header=BB77_3 Depth=1
	v_lshlrev_b64 v[0:1], 3, v[0:1]
	v_mov_b32_e32 v4, s24
	v_add_co_u32_e32 v0, vcc, s19, v0
	v_addc_co_u32_e32 v1, vcc, v4, v1, vcc
	global_store_dwordx2 v[0:1], v[2:3], off
	s_branch .LBB77_2
.LBB77_20:
	s_endpgm
	.section	.rodata,"a",@progbits
	.p2align	6, 0x0
	.amdhsa_kernel _ZN9rocsolver6v33100L26latrd_upper_updateA_kernelIdPdEEviiiT0_iilPT_iil
		.amdhsa_group_segment_fixed_size 0
		.amdhsa_private_segment_fixed_size 0
		.amdhsa_kernarg_size 320
		.amdhsa_user_sgpr_count 6
		.amdhsa_user_sgpr_private_segment_buffer 1
		.amdhsa_user_sgpr_dispatch_ptr 0
		.amdhsa_user_sgpr_queue_ptr 0
		.amdhsa_user_sgpr_kernarg_segment_ptr 1
		.amdhsa_user_sgpr_dispatch_id 0
		.amdhsa_user_sgpr_flat_scratch_init 0
		.amdhsa_user_sgpr_kernarg_preload_length 0
		.amdhsa_user_sgpr_kernarg_preload_offset 0
		.amdhsa_user_sgpr_private_segment_size 0
		.amdhsa_uses_dynamic_stack 0
		.amdhsa_system_sgpr_private_segment_wavefront_offset 0
		.amdhsa_system_sgpr_workgroup_id_x 1
		.amdhsa_system_sgpr_workgroup_id_y 1
		.amdhsa_system_sgpr_workgroup_id_z 1
		.amdhsa_system_sgpr_workgroup_info 0
		.amdhsa_system_vgpr_workitem_id 1
		.amdhsa_next_free_vgpr 30
		.amdhsa_next_free_sgpr 41
		.amdhsa_accum_offset 32
		.amdhsa_reserve_vcc 1
		.amdhsa_reserve_flat_scratch 0
		.amdhsa_float_round_mode_32 0
		.amdhsa_float_round_mode_16_64 0
		.amdhsa_float_denorm_mode_32 3
		.amdhsa_float_denorm_mode_16_64 3
		.amdhsa_dx10_clamp 1
		.amdhsa_ieee_mode 1
		.amdhsa_fp16_overflow 0
		.amdhsa_tg_split 0
		.amdhsa_exception_fp_ieee_invalid_op 0
		.amdhsa_exception_fp_denorm_src 0
		.amdhsa_exception_fp_ieee_div_zero 0
		.amdhsa_exception_fp_ieee_overflow 0
		.amdhsa_exception_fp_ieee_underflow 0
		.amdhsa_exception_fp_ieee_inexact 0
		.amdhsa_exception_int_div_zero 0
	.end_amdhsa_kernel
	.section	.text._ZN9rocsolver6v33100L26latrd_upper_updateA_kernelIdPdEEviiiT0_iilPT_iil,"axG",@progbits,_ZN9rocsolver6v33100L26latrd_upper_updateA_kernelIdPdEEviiiT0_iilPT_iil,comdat
.Lfunc_end77:
	.size	_ZN9rocsolver6v33100L26latrd_upper_updateA_kernelIdPdEEviiiT0_iilPT_iil, .Lfunc_end77-_ZN9rocsolver6v33100L26latrd_upper_updateA_kernelIdPdEEviiiT0_iilPT_iil
                                        ; -- End function
	.section	.AMDGPU.csdata,"",@progbits
; Kernel info:
; codeLenInByte = 1436
; NumSgprs: 45
; NumVgprs: 30
; NumAgprs: 0
; TotalNumVgprs: 30
; ScratchSize: 0
; MemoryBound: 0
; FloatMode: 240
; IeeeMode: 1
; LDSByteSize: 0 bytes/workgroup (compile time only)
; SGPRBlocks: 5
; VGPRBlocks: 3
; NumSGPRsForWavesPerEU: 45
; NumVGPRsForWavesPerEU: 30
; AccumOffset: 32
; Occupancy: 8
; WaveLimiterHint : 0
; COMPUTE_PGM_RSRC2:SCRATCH_EN: 0
; COMPUTE_PGM_RSRC2:USER_SGPR: 6
; COMPUTE_PGM_RSRC2:TRAP_HANDLER: 0
; COMPUTE_PGM_RSRC2:TGID_X_EN: 1
; COMPUTE_PGM_RSRC2:TGID_Y_EN: 1
; COMPUTE_PGM_RSRC2:TGID_Z_EN: 1
; COMPUTE_PGM_RSRC2:TIDIG_COMP_CNT: 1
; COMPUTE_PGM_RSRC3_GFX90A:ACCUM_OFFSET: 7
; COMPUTE_PGM_RSRC3_GFX90A:TG_SPLIT: 0
	.section	.text._ZN9rocsolver6v33100L33latrd_upper_computeW_gemvt_kernelILi256EdPdEEviiiT1_iilPT0_iilS5_iilS5_l,"axG",@progbits,_ZN9rocsolver6v33100L33latrd_upper_computeW_gemvt_kernelILi256EdPdEEviiiT1_iilPT0_iilS5_iilS5_l,comdat
	.globl	_ZN9rocsolver6v33100L33latrd_upper_computeW_gemvt_kernelILi256EdPdEEviiiT1_iilPT0_iilS5_iilS5_l ; -- Begin function _ZN9rocsolver6v33100L33latrd_upper_computeW_gemvt_kernelILi256EdPdEEviiiT1_iilPT0_iilS5_iilS5_l
	.p2align	8
	.type	_ZN9rocsolver6v33100L33latrd_upper_computeW_gemvt_kernelILi256EdPdEEviiiT1_iilPT0_iilS5_iilS5_l,@function
_ZN9rocsolver6v33100L33latrd_upper_computeW_gemvt_kernelILi256EdPdEEviiiT1_iilPT0_iilS5_iilS5_l: ; @_ZN9rocsolver6v33100L33latrd_upper_computeW_gemvt_kernelILi256EdPdEEviiiT1_iilPT0_iilS5_iilS5_l
; %bb.0:
	s_load_dwordx4 s[16:19], s[4:5], 0x0
	s_load_dwordx4 s[0:3], s[4:5], 0x38
	s_waitcnt lgkmcnt(0)
	s_ashr_i32 s19, s7, 31
	s_cmp_lt_i32 s6, s16
	s_cselect_b64 s[22:23], -1, 0
	s_and_b64 s[8:9], s[22:23], exec
	s_cselect_b32 s8, 0, s16
	s_sub_i32 s20, s6, s8
	s_ashr_i32 s21, s20, 31
	s_cmp_eq_u32 s20, s18
	s_cbranch_scc1 .LBB78_12
; %bb.1:
	s_load_dwordx8 s[8:15], s[4:5], 0x10
	s_load_dwordx2 s[28:29], s[4:5], 0x30
	s_mul_i32 s1, s7, s1
	v_cmp_gt_i32_e32 vcc, s18, v0
	v_cndmask_b32_e32 v1, 0, v0, vcc
	s_waitcnt lgkmcnt(0)
	s_ashr_i32 s25, s10, 31
	s_mov_b32 s24, s10
	s_mul_i32 s6, s7, s13
	s_mul_hi_u32 s10, s7, s12
	s_add_i32 s6, s10, s6
	s_mul_i32 s10, s19, s12
	s_add_i32 s13, s6, s10
	s_mul_i32 s12, s7, s12
	s_lshl_b64 s[12:13], s[12:13], 3
	s_add_u32 s6, s8, s12
	s_addc_u32 s10, s9, s13
	s_lshl_b64 s[24:25], s[24:25], 3
	s_add_u32 s6, s6, s24
	s_addc_u32 s26, s10, s25
	s_mul_hi_u32 s10, s7, s0
	s_add_i32 s1, s10, s1
	s_mul_i32 s10, s19, s0
	s_add_i32 s1, s1, s10
	s_mul_i32 s0, s7, s0
	s_ashr_i32 s31, s28, 31
	s_lshl_b64 s[0:1], s[0:1], 3
	s_mov_b32 s30, s28
	s_add_u32 s10, s14, s0
	s_addc_u32 s14, s15, s1
	s_lshl_b64 s[0:1], s[30:31], 3
	s_add_u32 s10, s10, s0
	s_addc_u32 s14, s14, s1
	s_sub_i32 s0, s17, s16
	s_add_i32 s0, s0, s18
	s_add_i32 s0, s0, 1
	s_mul_hi_i32 s1, s29, s0
	s_mul_i32 s0, s29, s0
	s_lshl_b64 s[0:1], s[0:1], 3
	s_add_u32 s10, s10, s0
	s_addc_u32 s16, s14, s1
	s_and_b64 s[14:15], s[22:23], exec
	s_cselect_b32 s14, s11, s29
	s_mul_hi_i32 s15, s14, s20
	s_mul_i32 s14, s14, s20
	s_cselect_b32 s16, s26, s16
	s_cselect_b32 s10, s6, s10
	s_lshl_b64 s[14:15], s[14:15], 3
	v_lshlrev_b32_e32 v1, 3, v1
	s_add_u32 s10, s14, s10
	s_addc_u32 s14, s15, s16
	v_add_co_u32_e32 v4, vcc, s10, v1
	s_ashr_i32 s10, s18, 31
	s_lshr_b32 s10, s10, 24
	s_add_i32 s10, s18, s10
	v_mov_b32_e32 v2, s14
	s_and_b32 s10, s10, 0xffffff00
	s_mul_hi_i32 s1, s11, s18
	s_mul_i32 s0, s11, s18
	s_mov_b32 s11, 0
	v_addc_co_u32_e32 v5, vcc, 0, v2, vcc
	s_cmpk_lt_i32 s18, 0x100
	v_pk_mov_b32 v[2:3], 0, 0
	s_cbranch_scc1 .LBB78_4
; %bb.2:
	s_lshl_b64 s[14:15], s[0:1], 3
	s_add_u32 s12, s12, s14
	s_addc_u32 s13, s13, s15
	s_add_u32 s12, s12, s24
	s_addc_u32 s13, s13, s25
	s_add_u32 s8, s8, s12
	v_lshlrev_b32_e32 v1, 3, v0
	s_addc_u32 s9, s9, s13
	v_mov_b32_e32 v2, s9
	v_add_co_u32_e32 v6, vcc, s8, v1
	v_addc_co_u32_e32 v7, vcc, 0, v2, vcc
	v_pk_mov_b32 v[2:3], 0, 0
	v_pk_mov_b32 v[8:9], v[4:5], v[4:5] op_sel:[0,1]
.LBB78_3:                               ; =>This Inner Loop Header: Depth=1
	global_load_dwordx2 v[10:11], v[8:9], off
	global_load_dwordx2 v[12:13], v[6:7], off
	v_add_co_u32_e32 v6, vcc, 0x800, v6
	v_addc_co_u32_e32 v7, vcc, 0, v7, vcc
	s_addk_i32 s11, 0x100
	v_add_co_u32_e32 v8, vcc, 0x800, v8
	s_cmp_ge_i32 s11, s10
	v_addc_co_u32_e32 v9, vcc, 0, v9, vcc
	s_waitcnt vmcnt(0)
	v_fmac_f64_e32 v[2:3], v[10:11], v[12:13]
	s_cbranch_scc0 .LBB78_3
.LBB78_4:
	v_add_u32_e32 v6, s10, v0
	v_cmp_gt_i32_e32 vcc, s18, v6
	s_and_saveexec_b64 s[8:9], vcc
	s_cbranch_execz .LBB78_6
; %bb.5:
	s_lshl_b64 s[0:1], s[0:1], 3
	s_add_u32 s0, s6, s0
	v_ashrrev_i32_e32 v7, 31, v6
	s_addc_u32 s1, s26, s1
	v_lshlrev_b64 v[6:7], 3, v[6:7]
	v_mov_b32_e32 v1, s1
	v_add_co_u32_e32 v6, vcc, s0, v6
	s_ashr_i32 s11, s10, 31
	v_addc_co_u32_e32 v7, vcc, v1, v7, vcc
	s_lshl_b64 s[0:1], s[10:11], 3
	v_mov_b32_e32 v1, s1
	v_add_co_u32_e32 v4, vcc, s0, v4
	v_addc_co_u32_e32 v5, vcc, v5, v1, vcc
	global_load_dwordx2 v[8:9], v[4:5], off
	global_load_dwordx2 v[10:11], v[6:7], off
	s_waitcnt vmcnt(0)
	v_fmac_f64_e32 v[2:3], v[8:9], v[10:11]
.LBB78_6:
	s_or_b64 exec, exec, s[8:9]
	v_mbcnt_lo_u32_b32 v1, -1, 0
	v_mbcnt_hi_u32_b32 v1, -1, v1
	v_and_b32_e32 v6, 63, v1
	v_cmp_ne_u32_e32 vcc, 63, v6
	v_addc_co_u32_e32 v4, vcc, 0, v1, vcc
	v_lshlrev_b32_e32 v5, 2, v4
	ds_bpermute_b32 v4, v5, v2
	ds_bpermute_b32 v5, v5, v3
	v_cmp_gt_u32_e32 vcc, 62, v6
	s_waitcnt lgkmcnt(0)
	v_add_f64 v[2:3], v[2:3], v[4:5]
	v_cndmask_b32_e64 v4, 0, 1, vcc
	v_lshlrev_b32_e32 v4, 1, v4
	v_add_lshl_u32 v5, v4, v1, 2
	ds_bpermute_b32 v4, v5, v2
	ds_bpermute_b32 v5, v5, v3
	v_cmp_gt_u32_e32 vcc, 60, v6
	s_waitcnt lgkmcnt(0)
	v_add_f64 v[2:3], v[2:3], v[4:5]
	v_cndmask_b32_e64 v4, 0, 1, vcc
	v_lshlrev_b32_e32 v4, 2, v4
	v_add_lshl_u32 v5, v4, v1, 2
	;; [unrolled: 8-line block ×5, first 2 shown]
	ds_bpermute_b32 v4, v1, v2
	ds_bpermute_b32 v5, v1, v3
	v_and_b32_e32 v1, 63, v0
	v_cmp_eq_u32_e32 vcc, 0, v1
	s_waitcnt lgkmcnt(0)
	v_add_f64 v[4:5], v[2:3], v[4:5]
	s_and_saveexec_b64 s[0:1], vcc
	s_cbranch_execz .LBB78_8
; %bb.7:
	v_lshrrev_b32_e32 v1, 3, v0
	ds_write_b64 v1, v[4:5]
.LBB78_8:
	s_or_b64 exec, exec, s[0:1]
	v_cmp_eq_u32_e32 vcc, 0, v0
	s_mov_b64 s[0:1], 0
	v_pk_mov_b32 v[2:3], 0, 0
	s_waitcnt lgkmcnt(0)
	s_barrier
	s_and_saveexec_b64 s[8:9], vcc
	s_cbranch_execz .LBB78_10
; %bb.9:
	v_mov_b32_e32 v1, 0
	ds_read2_b64 v[6:9], v1 offset0:1 offset1:2
	ds_read_b64 v[2:3], v1 offset:24
	s_mov_b64 s[0:1], exec
	s_waitcnt lgkmcnt(1)
	v_add_f64 v[4:5], v[4:5], v[6:7]
	v_add_f64 v[4:5], v[4:5], v[8:9]
	s_waitcnt lgkmcnt(0)
	v_add_f64 v[2:3], v[4:5], v[2:3]
.LBB78_10:
	s_or_b64 exec, exec, s[8:9]
	s_and_saveexec_b64 s[8:9], s[0:1]
	s_cbranch_execnz .LBB78_13
.LBB78_11:
	s_endpgm
.LBB78_12:
	s_mov_b64 s[0:1], -1
	v_pk_mov_b32 v[2:3], 0, 0
	s_and_saveexec_b64 s[8:9], s[0:1]
	s_cbranch_execz .LBB78_11
.LBB78_13:
	v_cmp_eq_u32_e32 vcc, 0, v0
	s_and_b64 exec, exec, vcc
	s_cbranch_execz .LBB78_11
; %bb.14:
	s_load_dword s0, s[4:5], 0x48
	s_load_dwordx4 s[8:11], s[4:5], 0x50
	s_load_dwordx2 s[12:13], s[4:5], 0x60
	v_mov_b32_e32 v0, 0
	s_waitcnt lgkmcnt(0)
	s_ashr_i32 s1, s0, 31
	s_mul_i32 s4, s7, s9
	s_mul_hi_u32 s5, s7, s8
	s_add_i32 s4, s5, s4
	s_mul_i32 s5, s19, s8
	s_add_i32 s5, s4, s5
	s_mul_i32 s4, s7, s8
	s_lshl_b64 s[4:5], s[4:5], 3
	s_add_u32 s2, s2, s4
	s_addc_u32 s3, s3, s5
	s_lshl_b64 s[0:1], s[0:1], 3
	s_add_u32 s2, s2, s0
	s_addc_u32 s3, s3, s1
	s_mul_i32 s0, s7, s13
	s_mul_hi_u32 s1, s7, s12
	s_add_i32 s0, s1, s0
	s_mul_i32 s1, s19, s12
	s_add_i32 s1, s0, s1
	s_mul_i32 s0, s7, s12
	s_lshl_b64 s[0:1], s[0:1], 3
	s_add_u32 s4, s10, s0
	s_addc_u32 s5, s11, s1
	s_and_b64 s[0:1], s[22:23], exec
	s_cselect_b32 s3, s3, s5
	s_cselect_b32 s2, s2, s4
	s_lshl_b64 s[0:1], s[20:21], 3
	s_add_u32 s0, s2, s0
	s_addc_u32 s1, s3, s1
	global_store_dwordx2 v0, v[2:3], s[0:1]
	s_endpgm
	.section	.rodata,"a",@progbits
	.p2align	6, 0x0
	.amdhsa_kernel _ZN9rocsolver6v33100L33latrd_upper_computeW_gemvt_kernelILi256EdPdEEviiiT1_iilPT0_iilS5_iilS5_l
		.amdhsa_group_segment_fixed_size 2048
		.amdhsa_private_segment_fixed_size 0
		.amdhsa_kernarg_size 104
		.amdhsa_user_sgpr_count 6
		.amdhsa_user_sgpr_private_segment_buffer 1
		.amdhsa_user_sgpr_dispatch_ptr 0
		.amdhsa_user_sgpr_queue_ptr 0
		.amdhsa_user_sgpr_kernarg_segment_ptr 1
		.amdhsa_user_sgpr_dispatch_id 0
		.amdhsa_user_sgpr_flat_scratch_init 0
		.amdhsa_user_sgpr_kernarg_preload_length 0
		.amdhsa_user_sgpr_kernarg_preload_offset 0
		.amdhsa_user_sgpr_private_segment_size 0
		.amdhsa_uses_dynamic_stack 0
		.amdhsa_system_sgpr_private_segment_wavefront_offset 0
		.amdhsa_system_sgpr_workgroup_id_x 1
		.amdhsa_system_sgpr_workgroup_id_y 0
		.amdhsa_system_sgpr_workgroup_id_z 1
		.amdhsa_system_sgpr_workgroup_info 0
		.amdhsa_system_vgpr_workitem_id 0
		.amdhsa_next_free_vgpr 14
		.amdhsa_next_free_sgpr 32
		.amdhsa_accum_offset 16
		.amdhsa_reserve_vcc 1
		.amdhsa_reserve_flat_scratch 0
		.amdhsa_float_round_mode_32 0
		.amdhsa_float_round_mode_16_64 0
		.amdhsa_float_denorm_mode_32 3
		.amdhsa_float_denorm_mode_16_64 3
		.amdhsa_dx10_clamp 1
		.amdhsa_ieee_mode 1
		.amdhsa_fp16_overflow 0
		.amdhsa_tg_split 0
		.amdhsa_exception_fp_ieee_invalid_op 0
		.amdhsa_exception_fp_denorm_src 0
		.amdhsa_exception_fp_ieee_div_zero 0
		.amdhsa_exception_fp_ieee_overflow 0
		.amdhsa_exception_fp_ieee_underflow 0
		.amdhsa_exception_fp_ieee_inexact 0
		.amdhsa_exception_int_div_zero 0
	.end_amdhsa_kernel
	.section	.text._ZN9rocsolver6v33100L33latrd_upper_computeW_gemvt_kernelILi256EdPdEEviiiT1_iilPT0_iilS5_iilS5_l,"axG",@progbits,_ZN9rocsolver6v33100L33latrd_upper_computeW_gemvt_kernelILi256EdPdEEviiiT1_iilPT0_iilS5_iilS5_l,comdat
.Lfunc_end78:
	.size	_ZN9rocsolver6v33100L33latrd_upper_computeW_gemvt_kernelILi256EdPdEEviiiT1_iilPT0_iilS5_iilS5_l, .Lfunc_end78-_ZN9rocsolver6v33100L33latrd_upper_computeW_gemvt_kernelILi256EdPdEEviiiT1_iilPT0_iilS5_iilS5_l
                                        ; -- End function
	.section	.AMDGPU.csdata,"",@progbits
; Kernel info:
; codeLenInByte = 1192
; NumSgprs: 36
; NumVgprs: 14
; NumAgprs: 0
; TotalNumVgprs: 14
; ScratchSize: 0
; MemoryBound: 0
; FloatMode: 240
; IeeeMode: 1
; LDSByteSize: 2048 bytes/workgroup (compile time only)
; SGPRBlocks: 4
; VGPRBlocks: 1
; NumSGPRsForWavesPerEU: 36
; NumVGPRsForWavesPerEU: 14
; AccumOffset: 16
; Occupancy: 8
; WaveLimiterHint : 0
; COMPUTE_PGM_RSRC2:SCRATCH_EN: 0
; COMPUTE_PGM_RSRC2:USER_SGPR: 6
; COMPUTE_PGM_RSRC2:TRAP_HANDLER: 0
; COMPUTE_PGM_RSRC2:TGID_X_EN: 1
; COMPUTE_PGM_RSRC2:TGID_Y_EN: 0
; COMPUTE_PGM_RSRC2:TGID_Z_EN: 1
; COMPUTE_PGM_RSRC2:TIDIG_COMP_CNT: 0
; COMPUTE_PGM_RSRC3_GFX90A:ACCUM_OFFSET: 3
; COMPUTE_PGM_RSRC3_GFX90A:TG_SPLIT: 0
	.section	.text._ZN9rocsolver6v33100L26latrd_upper_updateW_kernelIdPdEEviiiT0_iilPT_iilS5_lS5_l,"axG",@progbits,_ZN9rocsolver6v33100L26latrd_upper_updateW_kernelIdPdEEviiiT0_iilPT_iilS5_lS5_l,comdat
	.globl	_ZN9rocsolver6v33100L26latrd_upper_updateW_kernelIdPdEEviiiT0_iilPT_iilS5_lS5_l ; -- Begin function _ZN9rocsolver6v33100L26latrd_upper_updateW_kernelIdPdEEviiiT0_iilPT_iilS5_lS5_l
	.p2align	8
	.type	_ZN9rocsolver6v33100L26latrd_upper_updateW_kernelIdPdEEviiiT0_iilPT_iilS5_lS5_l,@function
_ZN9rocsolver6v33100L26latrd_upper_updateW_kernelIdPdEEviiiT0_iilPT_iilS5_lS5_l: ; @_ZN9rocsolver6v33100L26latrd_upper_updateW_kernelIdPdEEviiiT0_iilPT_iilS5_lS5_l
; %bb.0:
	s_load_dword s0, s[4:5], 0x6c
	s_load_dwordx4 s[28:31], s[4:5], 0x0
	s_load_dwordx2 s[10:11], s[4:5], 0x60
	s_mov_b32 s37, 0
	s_waitcnt lgkmcnt(0)
	s_and_b32 s33, s0, 0xffff
	v_cvt_f32_u32_e32 v1, s33
	s_sub_i32 s3, 0, s33
	s_add_i32 s1, s30, -1
	s_ashr_i32 s2, s1, 31
	v_rcp_iflag_f32_e32 v1, v1
	s_abs_i32 s1, s1
	v_mul_f32_e32 v1, 0x4f7ffffe, v1
	v_cvt_u32_f32_e32 v1, v1
	v_readfirstlane_b32 s9, v1
	s_mul_i32 s3, s3, s9
	s_mul_hi_u32 s3, s9, s3
	s_add_i32 s9, s9, s3
	s_mul_hi_u32 s3, s1, s9
	s_mul_i32 s9, s3, s33
	s_sub_i32 s1, s1, s9
	s_add_i32 s12, s3, 1
	s_sub_i32 s9, s1, s33
	s_cmp_ge_u32 s1, s33
	s_cselect_b32 s3, s12, s3
	s_cselect_b32 s1, s9, s1
	s_add_i32 s9, s3, 1
	s_cmp_ge_u32 s1, s33
	s_cselect_b32 s1, s9, s3
	s_abs_i32 s3, s10
	v_cvt_f32_u32_e32 v1, s3
	s_sub_i32 s9, 0, s3
	s_xor_b32 s1, s1, s2
	s_sub_i32 s1, s1, s2
	v_rcp_iflag_f32_e32 v1, v1
	s_xor_b32 s2, s1, s10
	s_abs_i32 s1, s1
	s_ashr_i32 s2, s2, 31
	v_mul_f32_e32 v1, 0x4f7ffffe, v1
	v_cvt_u32_f32_e32 v1, v1
	v_readfirstlane_b32 s12, v1
	s_mul_i32 s9, s9, s12
	s_mul_hi_u32 s9, s12, s9
	s_add_i32 s12, s12, s9
	s_mul_hi_u32 s9, s1, s12
	s_mul_i32 s12, s9, s3
	s_sub_i32 s1, s1, s12
	s_add_i32 s13, s9, 1
	s_sub_i32 s12, s1, s3
	s_cmp_ge_u32 s1, s3
	s_cselect_b32 s9, s13, s9
	s_cselect_b32 s1, s12, s1
	s_add_i32 s12, s9, 1
	s_cmp_ge_u32 s1, s3
	s_cselect_b32 s1, s12, s9
	s_xor_b32 s1, s1, s2
	s_sub_i32 s36, s1, s2
	s_cmp_lt_i32 s36, 0
	s_cbranch_scc1 .LBB79_20
; %bb.1:
	s_load_dwordx8 s[12:19], s[4:5], 0x10
	s_load_dwordx2 s[34:35], s[4:5], 0x30
	s_load_dwordx8 s[20:27], s[4:5], 0x38
	s_load_dwordx2 s[2:3], s[4:5], 0x58
	s_ashr_i32 s9, s8, 31
	s_waitcnt lgkmcnt(0)
	s_mul_i32 s4, s8, s17
	s_mul_hi_u32 s5, s8, s16
	s_add_i32 s4, s5, s4
	s_mul_i32 s5, s9, s16
	s_add_i32 s5, s4, s5
	s_mul_i32 s4, s8, s16
	s_lshr_b32 s38, s0, 16
	s_ashr_i32 s1, s14, 31
	s_lshl_b64 s[4:5], s[4:5], 3
	s_mov_b32 s0, s14
	s_add_u32 s4, s12, s4
	s_addc_u32 s5, s13, s5
	s_lshl_b64 s[0:1], s[0:1], 3
	s_add_u32 s12, s4, s0
	s_addc_u32 s13, s5, s1
	s_mul_i32 s4, s8, s21
	s_mul_hi_u32 s5, s8, s20
	s_add_i32 s4, s5, s4
	s_mul_i32 s5, s9, s20
	s_add_i32 s5, s4, s5
	s_mul_i32 s4, s8, s20
	s_ashr_i32 s1, s34, 31
	s_lshl_b64 s[4:5], s[4:5], 3
	s_mov_b32 s0, s34
	s_add_u32 s4, s18, s4
	s_addc_u32 s5, s19, s5
	s_lshl_b64 s[0:1], s[0:1], 3
	s_add_u32 s4, s4, s0
	s_addc_u32 s5, s5, s1
	s_mul_i32 s0, s8, s25
	s_mul_hi_u32 s1, s8, s24
	s_add_i32 s0, s1, s0
	s_mul_i32 s1, s9, s24
	s_add_i32 s1, s0, s1
	s_mul_i32 s0, s8, s24
	s_lshl_b64 s[0:1], s[0:1], 3
	s_add_u32 s20, s22, s0
	s_addc_u32 s21, s23, s1
	s_mul_i32 s0, s8, s3
	s_mul_hi_u32 s1, s8, s2
	s_add_i32 s0, s1, s0
	s_mul_i32 s9, s9, s2
	s_add_i32 s1, s0, s9
	s_mul_i32 s0, s8, s2
	s_lshl_b64 s[0:1], s[0:1], 3
	s_add_u32 s2, s26, s0
	s_addc_u32 s3, s27, s1
	s_sub_i32 s0, s30, s28
	s_add_i32 s8, s0, s29
	s_not_b32 s22, s30
	s_mul_hi_i32 s1, s35, s8
	s_mul_i32 s0, s35, s8
	s_add_i32 s22, s22, s28
	s_lshl_b64 s[0:1], s[0:1], 3
	s_add_u32 s23, s4, s0
	v_and_b32_e32 v14, 0x3ff, v0
	v_bfe_u32 v15, v0, 10, 10
	s_addc_u32 s24, s5, s1
	s_add_i32 s0, s30, 1
	v_cvt_f32_u32_e32 v0, s38
	s_mul_hi_i32 s1, s15, s0
	s_mul_i32 s0, s15, s0
	s_lshl_b64 s[0:1], s[0:1], 3
	s_add_u32 s25, s12, s0
	s_addc_u32 s26, s13, s1
	s_add_i32 s8, s8, 1
	v_rcp_iflag_f32_e32 v0, v0
	s_mul_hi_i32 s1, s35, s8
	s_mul_i32 s0, s35, s8
	s_lshl_b64 s[0:1], s[0:1], 3
	s_add_u32 s27, s4, s0
	s_addc_u32 s28, s5, s1
	s_ashr_i32 s31, s30, 31
	v_mul_f32_e32 v0, 0x4f7ffffe, v0
	s_lshl_b64 s[0:1], s[30:31], 3
	v_cvt_u32_f32_e32 v0, v0
	s_add_u32 s4, s23, s0
	s_addc_u32 s5, s24, s1
	s_add_u32 s12, s2, s0
	s_addc_u32 s13, s3, s1
	s_sub_i32 s2, 0, s38
	v_readfirstlane_b32 s3, v0
	s_mul_i32 s2, s2, s3
	s_add_i32 s0, s22, -1
	s_mul_hi_u32 s2, s3, s2
	s_ashr_i32 s1, s0, 31
	s_abs_i32 s0, s0
	s_add_i32 s3, s3, s2
	s_mul_hi_u32 s2, s0, s3
	s_mul_i32 s3, s2, s38
	s_sub_i32 s0, s0, s3
	s_add_i32 s3, s2, 1
	s_sub_i32 s8, s0, s38
	s_cmp_ge_u32 s0, s38
	s_cselect_b32 s2, s3, s2
	s_cselect_b32 s0, s8, s0
	s_add_i32 s3, s2, 1
	s_cmp_ge_u32 s0, s38
	s_cselect_b32 s0, s3, s2
	s_abs_i32 s2, s11
	v_cvt_f32_u32_e32 v0, s2
	s_mul_i32 s7, s7, s38
	v_add_u32_e32 v16, s7, v15
	s_sub_i32 s3, 0, s2
	v_rcp_iflag_f32_e32 v0, v0
	s_xor_b32 s0, s0, s1
	s_sub_i32 s0, s0, s1
	s_xor_b32 s1, s0, s11
	v_mul_f32_e32 v0, 0x4f7ffffe, v0
	v_cvt_u32_f32_e32 v0, v0
	s_abs_i32 s0, s0
	s_ashr_i32 s1, s1, 31
	v_lshl_add_u32 v17, v14, 3, 0
	v_readfirstlane_b32 s7, v0
	s_mul_i32 s3, s3, s7
	s_mul_hi_u32 s3, s7, s3
	s_add_i32 s7, s7, s3
	s_mul_hi_u32 s3, s0, s7
	s_mul_i32 s7, s3, s2
	s_sub_i32 s0, s0, s7
	s_add_i32 s7, s3, 1
	s_sub_i32 s8, s0, s2
	s_cmp_ge_u32 s0, s2
	s_cselect_b32 s3, s7, s3
	s_cselect_b32 s0, s8, s0
	s_add_i32 s7, s3, 1
	s_cmp_ge_u32 s0, s2
	s_cselect_b32 s0, s7, s3
	s_xor_b32 s0, s0, s1
	s_sub_i32 s31, s0, s1
	s_cmp_gt_i32 s31, -1
	v_mul_u32_u24_e32 v0, s33, v15
	v_lshl_add_u32 v18, v0, 3, v17
	s_cselect_b64 s[16:17], -1, 0
	s_add_u32 s7, s4, 8
	v_mul_lo_u32 v0, s15, v16
	s_mul_i32 s4, s6, s33
	s_mul_i32 s29, s11, s38
	v_add3_u32 v19, v14, v0, s4
	v_mul_lo_u32 v0, s35, v16
	v_cmp_eq_u32_e64 s[0:1], 0, v16
	v_cmp_eq_u32_e64 s[2:3], 0, v15
	s_addc_u32 s11, s5, 0
	s_add_i32 s31, s31, 1
	s_mul_i32 s34, s10, s33
	s_mul_i32 s39, s29, s15
	v_add3_u32 v20, v14, v0, s4
	s_mul_i32 s35, s29, s35
	v_mov_b32_e32 v21, 0
	v_cmp_gt_u16_e64 s[14:15], s38, 1
	s_branch .LBB79_3
.LBB79_2:                               ;   in Loop: Header=BB79_3 Depth=1
	s_or_b64 exec, exec, s[4:5]
	s_add_i32 s4, s37, 1
	v_add_u32_e32 v19, s34, v19
	v_add_u32_e32 v20, s34, v20
	s_cmp_eq_u32 s37, s36
	s_mov_b32 s37, s4
	s_cbranch_scc1 .LBB79_20
.LBB79_3:                               ; =>This Loop Header: Depth=1
                                        ;     Child Loop BB79_12 Depth 2
                                        ;     Child Loop BB79_9 Depth 2
	s_mul_i32 s4, s37, s10
	s_add_i32 s4, s4, s6
	s_mul_i32 s4, s4, s33
	v_add_u32_e32 v0, s4, v14
	v_cmp_gt_i32_e64 s[4:5], s30, v0
	s_and_b64 s[18:19], s[0:1], s[4:5]
	v_pk_mov_b32 v[2:3], 0, 0
	v_ashrrev_i32_e32 v1, 31, v0
	s_and_saveexec_b64 s[8:9], s[18:19]
	s_cbranch_execz .LBB79_5
; %bb.4:                                ;   in Loop: Header=BB79_3 Depth=1
	v_lshlrev_b64 v[2:3], 3, v[0:1]
	v_mov_b32_e32 v4, s24
	v_add_co_u32_e32 v2, vcc, s23, v2
	v_addc_co_u32_e32 v3, vcc, v4, v3, vcc
	global_load_dwordx2 v[2:3], v[2:3], off
.LBB79_5:                               ;   in Loop: Header=BB79_3 Depth=1
	s_or_b64 exec, exec, s[8:9]
	s_andn2_b64 vcc, exec, s[16:17]
	v_mov_b32_e32 v4, v16
	v_mov_b32_e32 v6, v20
	;; [unrolled: 1-line block ×3, first 2 shown]
	s_mov_b32 s40, s31
	s_cbranch_vccz .LBB79_12
.LBB79_6:                               ;   in Loop: Header=BB79_3 Depth=1
	s_andn2_b64 vcc, exec, s[14:15]
	s_mov_b32 s18, s38
	s_waitcnt vmcnt(0)
	ds_write_b64 v18, v[2:3]
	s_waitcnt lgkmcnt(0)
	s_barrier
	s_cbranch_vccnz .LBB79_18
; %bb.7:                                ;   in Loop: Header=BB79_3 Depth=1
	s_lshr_b32 s19, s18, 1
	v_cmp_gt_u32_e32 vcc, s19, v15
	s_and_saveexec_b64 s[8:9], vcc
	s_cbranch_execz .LBB79_9
.LBB79_8:                               ;   in Loop: Header=BB79_3 Depth=1
	v_add_u32_e32 v4, s19, v15
	v_mul_u32_u24_e32 v4, s33, v4
	v_lshl_add_u32 v4, v4, 3, v17
	ds_read_b64 v[4:5], v4
	s_waitcnt lgkmcnt(0)
	v_add_f64 v[2:3], v[2:3], v[4:5]
	ds_write_b64 v18, v[2:3]
.LBB79_9:                               ;   Parent Loop BB79_3 Depth=1
                                        ; =>  This Inner Loop Header: Depth=2
	s_or_b64 exec, exec, s[8:9]
	s_cmp_lt_u32 s18, 4
	s_waitcnt lgkmcnt(0)
	s_barrier
	s_cbranch_scc1 .LBB79_18
; %bb.10:                               ;   in Loop: Header=BB79_9 Depth=2
	s_mov_b32 s18, s19
	s_lshr_b32 s19, s18, 1
	v_cmp_gt_u32_e32 vcc, s19, v15
	s_and_saveexec_b64 s[8:9], vcc
	s_cbranch_execnz .LBB79_8
	s_branch .LBB79_9
.LBB79_11:                              ;   in Loop: Header=BB79_12 Depth=2
	s_or_b64 exec, exec, s[8:9]
	s_add_i32 s40, s40, -1
	v_add_u32_e32 v8, s39, v8
	v_add_u32_e32 v6, s35, v6
	s_cmp_eq_u32 s40, 0
	v_add_u32_e32 v4, s29, v4
	s_cbranch_scc1 .LBB79_6
.LBB79_12:                              ;   Parent Loop BB79_3 Depth=1
                                        ; =>  This Inner Loop Header: Depth=2
	s_waitcnt vmcnt(0)
	v_pk_mov_b32 v[12:13], 0, 0
	v_cmp_gt_i32_e32 vcc, s22, v4
	v_ashrrev_i32_e32 v5, 31, v4
	v_pk_mov_b32 v[10:11], v[12:13], v[12:13] op_sel:[0,1]
	s_and_saveexec_b64 s[18:19], vcc
	s_cbranch_execnz .LBB79_15
; %bb.13:                               ;   in Loop: Header=BB79_12 Depth=2
	s_or_b64 exec, exec, s[18:19]
	s_and_saveexec_b64 s[18:19], vcc
	s_cbranch_execnz .LBB79_16
.LBB79_14:                              ;   in Loop: Header=BB79_12 Depth=2
	s_or_b64 exec, exec, s[18:19]
	s_and_b64 s[18:19], s[4:5], vcc
	s_and_saveexec_b64 s[8:9], s[18:19]
	s_cbranch_execz .LBB79_11
	s_branch .LBB79_17
.LBB79_15:                              ;   in Loop: Header=BB79_12 Depth=2
	v_lshlrev_b64 v[10:11], 3, v[4:5]
	v_mov_b32_e32 v7, s21
	v_add_co_u32_e64 v10, s[8:9], s20, v10
	v_addc_co_u32_e64 v11, s[8:9], v7, v11, s[8:9]
	global_load_dwordx2 v[10:11], v[10:11], off
	s_or_b64 exec, exec, s[18:19]
	s_and_saveexec_b64 s[18:19], vcc
	s_cbranch_execz .LBB79_14
.LBB79_16:                              ;   in Loop: Header=BB79_12 Depth=2
	v_lshlrev_b64 v[12:13], 3, v[4:5]
	v_mov_b32_e32 v5, s11
	v_add_co_u32_e64 v12, s[8:9], s7, v12
	v_addc_co_u32_e64 v13, s[8:9], v5, v13, s[8:9]
	global_load_dwordx2 v[12:13], v[12:13], off
	s_or_b64 exec, exec, s[18:19]
	s_and_b64 s[18:19], s[4:5], vcc
	s_and_saveexec_b64 s[8:9], s[18:19]
	s_cbranch_execz .LBB79_11
.LBB79_17:                              ;   in Loop: Header=BB79_12 Depth=2
	v_ashrrev_i32_e32 v9, 31, v8
	v_lshlrev_b64 v[22:23], 3, v[8:9]
	v_mov_b32_e32 v5, s26
	v_add_co_u32_e32 v22, vcc, s25, v22
	v_ashrrev_i32_e32 v7, 31, v6
	v_addc_co_u32_e32 v23, vcc, v5, v23, vcc
	v_lshlrev_b64 v[24:25], 3, v[6:7]
	v_mov_b32_e32 v5, s28
	v_add_co_u32_e32 v24, vcc, s27, v24
	v_addc_co_u32_e32 v25, vcc, v5, v25, vcc
	global_load_dwordx2 v[26:27], v[24:25], off
	global_load_dwordx2 v[28:29], v[22:23], off
	s_waitcnt vmcnt(1)
	v_mul_f64 v[12:13], v[12:13], v[26:27]
	s_waitcnt vmcnt(0)
	v_fmac_f64_e32 v[12:13], v[10:11], v[28:29]
	v_add_f64 v[2:3], v[2:3], -v[12:13]
	s_branch .LBB79_11
.LBB79_18:                              ;   in Loop: Header=BB79_3 Depth=1
	s_and_b64 s[8:9], s[2:3], s[4:5]
	s_and_saveexec_b64 s[4:5], s[8:9]
	s_cbranch_execz .LBB79_2
; %bb.19:                               ;   in Loop: Header=BB79_3 Depth=1
	global_load_dwordx2 v[4:5], v21, s[12:13] offset:-8
	v_lshlrev_b64 v[0:1], 3, v[0:1]
	v_mov_b32_e32 v6, s24
	v_add_co_u32_e32 v0, vcc, s23, v0
	v_addc_co_u32_e32 v1, vcc, v6, v1, vcc
	s_waitcnt vmcnt(0)
	v_mul_f64 v[2:3], v[2:3], v[4:5]
	global_store_dwordx2 v[0:1], v[2:3], off
	s_branch .LBB79_2
.LBB79_20:
	s_endpgm
	.section	.rodata,"a",@progbits
	.p2align	6, 0x0
	.amdhsa_kernel _ZN9rocsolver6v33100L26latrd_upper_updateW_kernelIdPdEEviiiT0_iilPT_iilS5_lS5_l
		.amdhsa_group_segment_fixed_size 0
		.amdhsa_private_segment_fixed_size 0
		.amdhsa_kernarg_size 352
		.amdhsa_user_sgpr_count 6
		.amdhsa_user_sgpr_private_segment_buffer 1
		.amdhsa_user_sgpr_dispatch_ptr 0
		.amdhsa_user_sgpr_queue_ptr 0
		.amdhsa_user_sgpr_kernarg_segment_ptr 1
		.amdhsa_user_sgpr_dispatch_id 0
		.amdhsa_user_sgpr_flat_scratch_init 0
		.amdhsa_user_sgpr_kernarg_preload_length 0
		.amdhsa_user_sgpr_kernarg_preload_offset 0
		.amdhsa_user_sgpr_private_segment_size 0
		.amdhsa_uses_dynamic_stack 0
		.amdhsa_system_sgpr_private_segment_wavefront_offset 0
		.amdhsa_system_sgpr_workgroup_id_x 1
		.amdhsa_system_sgpr_workgroup_id_y 1
		.amdhsa_system_sgpr_workgroup_id_z 1
		.amdhsa_system_sgpr_workgroup_info 0
		.amdhsa_system_vgpr_workitem_id 1
		.amdhsa_next_free_vgpr 30
		.amdhsa_next_free_sgpr 41
		.amdhsa_accum_offset 32
		.amdhsa_reserve_vcc 1
		.amdhsa_reserve_flat_scratch 0
		.amdhsa_float_round_mode_32 0
		.amdhsa_float_round_mode_16_64 0
		.amdhsa_float_denorm_mode_32 3
		.amdhsa_float_denorm_mode_16_64 3
		.amdhsa_dx10_clamp 1
		.amdhsa_ieee_mode 1
		.amdhsa_fp16_overflow 0
		.amdhsa_tg_split 0
		.amdhsa_exception_fp_ieee_invalid_op 0
		.amdhsa_exception_fp_denorm_src 0
		.amdhsa_exception_fp_ieee_div_zero 0
		.amdhsa_exception_fp_ieee_overflow 0
		.amdhsa_exception_fp_ieee_underflow 0
		.amdhsa_exception_fp_ieee_inexact 0
		.amdhsa_exception_int_div_zero 0
	.end_amdhsa_kernel
	.section	.text._ZN9rocsolver6v33100L26latrd_upper_updateW_kernelIdPdEEviiiT0_iilPT_iilS5_lS5_l,"axG",@progbits,_ZN9rocsolver6v33100L26latrd_upper_updateW_kernelIdPdEEviiiT0_iilPT_iilS5_lS5_l,comdat
.Lfunc_end79:
	.size	_ZN9rocsolver6v33100L26latrd_upper_updateW_kernelIdPdEEviiiT0_iilPT_iilS5_lS5_l, .Lfunc_end79-_ZN9rocsolver6v33100L26latrd_upper_updateW_kernelIdPdEEviiiT0_iilPT_iilS5_lS5_l
                                        ; -- End function
	.section	.AMDGPU.csdata,"",@progbits
; Kernel info:
; codeLenInByte = 1584
; NumSgprs: 45
; NumVgprs: 30
; NumAgprs: 0
; TotalNumVgprs: 30
; ScratchSize: 0
; MemoryBound: 0
; FloatMode: 240
; IeeeMode: 1
; LDSByteSize: 0 bytes/workgroup (compile time only)
; SGPRBlocks: 5
; VGPRBlocks: 3
; NumSGPRsForWavesPerEU: 45
; NumVGPRsForWavesPerEU: 30
; AccumOffset: 32
; Occupancy: 8
; WaveLimiterHint : 0
; COMPUTE_PGM_RSRC2:SCRATCH_EN: 0
; COMPUTE_PGM_RSRC2:USER_SGPR: 6
; COMPUTE_PGM_RSRC2:TRAP_HANDLER: 0
; COMPUTE_PGM_RSRC2:TGID_X_EN: 1
; COMPUTE_PGM_RSRC2:TGID_Y_EN: 1
; COMPUTE_PGM_RSRC2:TGID_Z_EN: 1
; COMPUTE_PGM_RSRC2:TIDIG_COMP_CNT: 1
; COMPUTE_PGM_RSRC3_GFX90A:ACCUM_OFFSET: 7
; COMPUTE_PGM_RSRC3_GFX90A:TG_SPLIT: 0
	.section	.text._ZN9rocsolver6v33100L11set_tridiagIddPdTnNSt9enable_ifIXnt18rocblas_is_complexIT_EEiE4typeELi0EEEv13rocblas_fill_iT1_iilPT0_lSA_l,"axG",@progbits,_ZN9rocsolver6v33100L11set_tridiagIddPdTnNSt9enable_ifIXnt18rocblas_is_complexIT_EEiE4typeELi0EEEv13rocblas_fill_iT1_iilPT0_lSA_l,comdat
	.globl	_ZN9rocsolver6v33100L11set_tridiagIddPdTnNSt9enable_ifIXnt18rocblas_is_complexIT_EEiE4typeELi0EEEv13rocblas_fill_iT1_iilPT0_lSA_l ; -- Begin function _ZN9rocsolver6v33100L11set_tridiagIddPdTnNSt9enable_ifIXnt18rocblas_is_complexIT_EEiE4typeELi0EEEv13rocblas_fill_iT1_iilPT0_lSA_l
	.p2align	8
	.type	_ZN9rocsolver6v33100L11set_tridiagIddPdTnNSt9enable_ifIXnt18rocblas_is_complexIT_EEiE4typeELi0EEEv13rocblas_fill_iT1_iilPT0_lSA_l,@function
_ZN9rocsolver6v33100L11set_tridiagIddPdTnNSt9enable_ifIXnt18rocblas_is_complexIT_EEiE4typeELi0EEEv13rocblas_fill_iT1_iilPT0_lSA_l: ; @_ZN9rocsolver6v33100L11set_tridiagIddPdTnNSt9enable_ifIXnt18rocblas_is_complexIT_EEiE4typeELi0EEEv13rocblas_fill_iT1_iilPT0_lSA_l
; %bb.0:
	s_load_dword s0, s[4:5], 0x4c
	s_load_dwordx2 s[16:17], s[4:5], 0x0
	s_waitcnt lgkmcnt(0)
	s_and_b32 s0, s0, 0xffff
	s_mul_i32 s6, s6, s0
	v_add_u32_e32 v2, s6, v0
	v_cmp_gt_i32_e32 vcc, s17, v2
	s_and_saveexec_b64 s[0:1], vcc
	s_cbranch_execz .LBB80_7
; %bb.1:
	s_load_dwordx4 s[0:3], s[4:5], 0x8
	s_load_dwordx8 s[8:15], s[4:5], 0x18
	s_ashr_i32 s18, s7, 31
	s_waitcnt lgkmcnt(0)
	s_ashr_i32 s21, s2, 31
	s_mov_b32 s20, s2
	s_mul_i32 s2, s7, s9
	s_mul_hi_u32 s6, s7, s8
	s_add_i32 s2, s6, s2
	s_mul_i32 s6, s18, s8
	s_add_i32 s9, s2, s6
	s_mul_i32 s8, s7, s8
	s_lshl_b64 s[8:9], s[8:9], 3
	s_add_u32 s2, s0, s8
	s_addc_u32 s6, s1, s9
	s_lshl_b64 s[0:1], s[20:21], 3
	s_add_u32 s2, s2, s0
	s_addc_u32 s6, s6, s1
	v_mad_u64_u32 v[0:1], s[0:1], v2, s3, v[2:3]
	v_ashrrev_i32_e32 v1, 31, v0
	v_lshlrev_b64 v[4:5], 3, v[0:1]
	v_mov_b32_e32 v1, s6
	v_add_co_u32_e32 v4, vcc, s2, v4
	v_addc_co_u32_e32 v5, vcc, v1, v5, vcc
	global_load_dwordx2 v[6:7], v[4:5], off
	s_mul_i32 s1, s7, s13
	s_mul_hi_u32 s8, s7, s12
	s_mul_i32 s9, s18, s12
	s_add_i32 s1, s8, s1
	s_mul_i32 s0, s7, s12
	s_add_i32 s1, s1, s9
	s_lshl_b64 s[0:1], s[0:1], 3
	v_ashrrev_i32_e32 v3, 31, v2
	s_add_u32 s0, s10, s0
	v_lshlrev_b64 v[4:5], 3, v[2:3]
	s_addc_u32 s1, s11, s1
	v_mov_b32_e32 v1, s1
	v_add_co_u32_e32 v8, vcc, s0, v4
	s_add_i32 s8, s17, -1
	v_addc_co_u32_e32 v9, vcc, v1, v5, vcc
	v_cmp_gt_i32_e32 vcc, s8, v2
	s_waitcnt vmcnt(0)
	global_store_dwordx2 v[8:9], v[6:7], off
	s_and_b64 exec, exec, vcc
	s_cbranch_execz .LBB80_7
; %bb.2:
	s_load_dwordx2 s[0:1], s[4:5], 0x38
	s_waitcnt lgkmcnt(0)
	s_mul_i32 s1, s7, s1
	s_mul_hi_u32 s4, s7, s0
	s_mul_i32 s5, s18, s0
	s_add_i32 s1, s4, s1
	s_mul_i32 s0, s7, s0
	s_add_i32 s1, s1, s5
	s_lshl_b64 s[0:1], s[0:1], 3
	s_add_u32 s0, s14, s0
	s_addc_u32 s1, s15, s1
	v_mov_b32_e32 v1, s1
	v_add_co_u32_e32 v2, vcc, s0, v4
	v_addc_co_u32_e32 v3, vcc, v1, v5, vcc
	global_load_dwordx2 v[2:3], v[2:3], off
	s_cmpk_lg_i32 s16, 0x7a
	s_cbranch_scc0 .LBB80_4
; %bb.3:
	v_add_u32_e32 v4, s3, v0
	s_cbranch_execz .LBB80_5
	s_branch .LBB80_6
.LBB80_4:
                                        ; implicit-def: $vgpr4
.LBB80_5:
	v_add_u32_e32 v4, 1, v0
.LBB80_6:
	v_ashrrev_i32_e32 v5, 31, v4
	v_lshlrev_b64 v[0:1], 3, v[4:5]
	v_mov_b32_e32 v4, s6
	v_add_co_u32_e32 v0, vcc, s2, v0
	v_addc_co_u32_e32 v1, vcc, v4, v1, vcc
	s_waitcnt vmcnt(0)
	global_store_dwordx2 v[0:1], v[2:3], off
.LBB80_7:
	s_endpgm
	.section	.rodata,"a",@progbits
	.p2align	6, 0x0
	.amdhsa_kernel _ZN9rocsolver6v33100L11set_tridiagIddPdTnNSt9enable_ifIXnt18rocblas_is_complexIT_EEiE4typeELi0EEEv13rocblas_fill_iT1_iilPT0_lSA_l
		.amdhsa_group_segment_fixed_size 0
		.amdhsa_private_segment_fixed_size 0
		.amdhsa_kernarg_size 320
		.amdhsa_user_sgpr_count 6
		.amdhsa_user_sgpr_private_segment_buffer 1
		.amdhsa_user_sgpr_dispatch_ptr 0
		.amdhsa_user_sgpr_queue_ptr 0
		.amdhsa_user_sgpr_kernarg_segment_ptr 1
		.amdhsa_user_sgpr_dispatch_id 0
		.amdhsa_user_sgpr_flat_scratch_init 0
		.amdhsa_user_sgpr_kernarg_preload_length 0
		.amdhsa_user_sgpr_kernarg_preload_offset 0
		.amdhsa_user_sgpr_private_segment_size 0
		.amdhsa_uses_dynamic_stack 0
		.amdhsa_system_sgpr_private_segment_wavefront_offset 0
		.amdhsa_system_sgpr_workgroup_id_x 1
		.amdhsa_system_sgpr_workgroup_id_y 1
		.amdhsa_system_sgpr_workgroup_id_z 0
		.amdhsa_system_sgpr_workgroup_info 0
		.amdhsa_system_vgpr_workitem_id 0
		.amdhsa_next_free_vgpr 10
		.amdhsa_next_free_sgpr 22
		.amdhsa_accum_offset 12
		.amdhsa_reserve_vcc 1
		.amdhsa_reserve_flat_scratch 0
		.amdhsa_float_round_mode_32 0
		.amdhsa_float_round_mode_16_64 0
		.amdhsa_float_denorm_mode_32 3
		.amdhsa_float_denorm_mode_16_64 3
		.amdhsa_dx10_clamp 1
		.amdhsa_ieee_mode 1
		.amdhsa_fp16_overflow 0
		.amdhsa_tg_split 0
		.amdhsa_exception_fp_ieee_invalid_op 0
		.amdhsa_exception_fp_denorm_src 0
		.amdhsa_exception_fp_ieee_div_zero 0
		.amdhsa_exception_fp_ieee_overflow 0
		.amdhsa_exception_fp_ieee_underflow 0
		.amdhsa_exception_fp_ieee_inexact 0
		.amdhsa_exception_int_div_zero 0
	.end_amdhsa_kernel
	.section	.text._ZN9rocsolver6v33100L11set_tridiagIddPdTnNSt9enable_ifIXnt18rocblas_is_complexIT_EEiE4typeELi0EEEv13rocblas_fill_iT1_iilPT0_lSA_l,"axG",@progbits,_ZN9rocsolver6v33100L11set_tridiagIddPdTnNSt9enable_ifIXnt18rocblas_is_complexIT_EEiE4typeELi0EEEv13rocblas_fill_iT1_iilPT0_lSA_l,comdat
.Lfunc_end80:
	.size	_ZN9rocsolver6v33100L11set_tridiagIddPdTnNSt9enable_ifIXnt18rocblas_is_complexIT_EEiE4typeELi0EEEv13rocblas_fill_iT1_iilPT0_lSA_l, .Lfunc_end80-_ZN9rocsolver6v33100L11set_tridiagIddPdTnNSt9enable_ifIXnt18rocblas_is_complexIT_EEiE4typeELi0EEEv13rocblas_fill_iT1_iilPT0_lSA_l
                                        ; -- End function
	.section	.AMDGPU.csdata,"",@progbits
; Kernel info:
; codeLenInByte = 388
; NumSgprs: 26
; NumVgprs: 10
; NumAgprs: 0
; TotalNumVgprs: 10
; ScratchSize: 0
; MemoryBound: 0
; FloatMode: 240
; IeeeMode: 1
; LDSByteSize: 0 bytes/workgroup (compile time only)
; SGPRBlocks: 3
; VGPRBlocks: 1
; NumSGPRsForWavesPerEU: 26
; NumVGPRsForWavesPerEU: 10
; AccumOffset: 12
; Occupancy: 8
; WaveLimiterHint : 0
; COMPUTE_PGM_RSRC2:SCRATCH_EN: 0
; COMPUTE_PGM_RSRC2:USER_SGPR: 6
; COMPUTE_PGM_RSRC2:TRAP_HANDLER: 0
; COMPUTE_PGM_RSRC2:TGID_X_EN: 1
; COMPUTE_PGM_RSRC2:TGID_Y_EN: 1
; COMPUTE_PGM_RSRC2:TGID_Z_EN: 0
; COMPUTE_PGM_RSRC2:TIDIG_COMP_CNT: 0
; COMPUTE_PGM_RSRC3_GFX90A:ACCUM_OFFSET: 2
; COMPUTE_PGM_RSRC3_GFX90A:TG_SPLIT: 0
	.section	.text._ZN9rocsolver6v33100L12sterf_kernelIdEEviPT_lS3_lPiS4_iS2_S2_S2_,"axG",@progbits,_ZN9rocsolver6v33100L12sterf_kernelIdEEviPT_lS3_lPiS4_iS2_S2_S2_,comdat
	.globl	_ZN9rocsolver6v33100L12sterf_kernelIdEEviPT_lS3_lPiS4_iS2_S2_S2_ ; -- Begin function _ZN9rocsolver6v33100L12sterf_kernelIdEEviPT_lS3_lPiS4_iS2_S2_S2_
	.p2align	8
	.type	_ZN9rocsolver6v33100L12sterf_kernelIdEEviPT_lS3_lPiS4_iS2_S2_S2_,@function
_ZN9rocsolver6v33100L12sterf_kernelIdEEviPT_lS3_lPiS4_iS2_S2_S2_: ; @_ZN9rocsolver6v33100L12sterf_kernelIdEEviPT_lS3_lPiS4_iS2_S2_S2_
; %bb.0:
	s_load_dwordx8 s[12:19], s[4:5], 0x8
	s_load_dword s33, s[4:5], 0x0
	s_load_dword s58, s[4:5], 0x38
	s_ashr_i32 s7, s6, 31
	s_waitcnt lgkmcnt(0)
	s_mul_i32 s0, s6, s15
	s_mul_hi_u32 s1, s6, s14
	s_add_i32 s0, s1, s0
	s_mul_i32 s1, s7, s14
	s_add_i32 s1, s0, s1
	s_mul_i32 s0, s6, s14
	s_lshl_b64 s[10:11], s[0:1], 3
	s_add_u32 s56, s12, s10
	s_mul_i32 s0, s6, s19
	s_mul_hi_u32 s1, s6, s18
	s_addc_u32 s57, s13, s11
	s_add_i32 s0, s1, s0
	s_mul_i32 s1, s7, s18
	s_add_i32 s1, s0, s1
	s_mul_i32 s0, s6, s18
	s_lshl_b64 s[0:1], s[0:1], 3
	s_add_u32 s14, s16, s0
	s_addc_u32 s15, s17, s1
	s_min_i32 s2, s33, s58
	s_cmp_lt_i32 s2, 1
	s_cbranch_scc1 .LBB81_152
; %bb.1:
	s_add_i32 s59, s33, -1
	s_add_u32 s60, s14, -8
	s_addc_u32 s61, s15, -1
	s_add_u32 s62, s56, -8
	s_addc_u32 s63, s57, -1
	s_add_u32 s64, s16, s0
	s_addc_u32 s65, s17, s1
	s_add_u32 s66, s64, -8
	s_addc_u32 s67, s65, -1
	s_add_u32 s68, s12, s10
	s_load_dwordx4 s[20:23], s[4:5], 0x40
	s_load_dwordx2 s[18:19], s[4:5], 0x50
	s_addc_u32 s69, s13, s11
	s_add_u32 s70, s68, 8
	s_addc_u32 s71, s69, 0
	s_add_u32 s72, s64, 8
	s_mov_b32 s24, 0
	s_mov_b32 s26, 0x667f3bcd
	s_waitcnt lgkmcnt(0)
	v_mul_f64 v[0:1], s[20:21], s[20:21]
	s_addc_u32 s73, s65, 0
	s_mov_b32 s17, 0
	v_mov_b32_e32 v2, 0
	s_brev_b32 s25, 8
	v_mov_b32_e32 v24, 0x260
	s_mov_b32 s27, 0x3ff6a09e
	s_mov_b32 s74, 0
	;; [unrolled: 1-line block ×3, first 2 shown]
	s_branch .LBB81_4
.LBB81_2:                               ;   in Loop: Header=BB81_4 Depth=1
	s_cmp_ge_i32 s37, s58
	s_cselect_b64 s[0:1], -1, 0
	s_cmp_ge_i32 s74, s33
	s_cselect_b64 s[2:3], -1, 0
	s_or_b64 s[0:1], s[2:3], s[0:1]
.LBB81_3:                               ;   in Loop: Header=BB81_4 Depth=1
	s_and_b64 vcc, exec, s[0:1]
	s_mov_b32 s75, s37
	s_cbranch_vccnz .LBB81_152
.LBB81_4:                               ; =>This Loop Header: Depth=1
                                        ;     Child Loop BB81_6 Depth 2
                                        ;       Child Loop BB81_12 Depth 3
                                        ;       Child Loop BB81_19 Depth 3
                                        ;     Child Loop BB81_36 Depth 2
                                        ;     Child Loop BB81_30 Depth 2
                                        ;     Child Loop BB81_41 Depth 2
                                        ;     Child Loop BB81_49 Depth 2
                                        ;       Child Loop BB81_51 Depth 3
                                        ;       Child Loop BB81_63 Depth 3
                                        ;     Child Loop BB81_97 Depth 2
                                        ;       Child Loop BB81_99 Depth 3
                                        ;       Child Loop BB81_112 Depth 3
                                        ;     Child Loop BB81_147 Depth 2
                                        ;     Child Loop BB81_151 Depth 2
	s_mov_b32 s0, s74
	s_branch .LBB81_6
.LBB81_5:                               ;   in Loop: Header=BB81_6 Depth=2
	s_andn2_b64 vcc, exec, s[34:35]
	s_mov_b32 s0, s74
	s_cbranch_vccz .LBB81_25
.LBB81_6:                               ;   Parent Loop BB81_4 Depth=1
                                        ; =>  This Loop Header: Depth=2
                                        ;       Child Loop BB81_12 Depth 3
                                        ;       Child Loop BB81_19 Depth 3
	s_cmp_gt_i32 s0, 0
	s_mov_b64 s[8:9], -1
                                        ; implicit-def: $sgpr2_sgpr3
	s_cbranch_scc1 .LBB81_8
; %bb.7:                                ;   in Loop: Header=BB81_6 Depth=2
	s_mov_b32 s1, s17
	s_mov_b64 s[8:9], 0
	s_mov_b64 s[2:3], s[0:1]
.LBB81_8:                               ;   in Loop: Header=BB81_6 Depth=2
	s_andn2_b64 vcc, exec, s[8:9]
	s_cbranch_vccnz .LBB81_10
; %bb.9:                                ;   in Loop: Header=BB81_6 Depth=2
	s_mov_b32 s1, s17
	s_lshl_b64 s[2:3], s[0:1], 3
	s_add_u32 s2, s60, s2
	s_addc_u32 s3, s61, s3
	v_mov_b32_e32 v3, v2
	global_store_dwordx2 v2, v[2:3], s[2:3]
	s_mov_b64 s[2:3], s[0:1]
.LBB81_10:                              ;   in Loop: Header=BB81_6 Depth=2
	s_lshl_b64 s[28:29], s[2:3], 3
	s_add_u32 s34, s66, s28
	s_addc_u32 s35, s67, s29
	s_add_u32 s8, s70, s28
	s_addc_u32 s9, s71, s29
	s_mov_b32 s74, s0
	s_branch .LBB81_12
.LBB81_11:                              ;   in Loop: Header=BB81_12 Depth=3
	s_andn2_b64 vcc, exec, s[38:39]
	s_cbranch_vccz .LBB81_14
.LBB81_12:                              ;   Parent Loop BB81_4 Depth=1
                                        ;     Parent Loop BB81_6 Depth=2
                                        ; =>    This Inner Loop Header: Depth=3
	s_mov_b64 s[36:37], -1
	s_mov_b32 s16, s74
	s_cmp_ge_i32 s74, s59
	s_mov_b64 s[38:39], -1
                                        ; implicit-def: $sgpr74
                                        ; implicit-def: $sgpr30_sgpr31
	s_cbranch_scc1 .LBB81_11
; %bb.13:                               ;   in Loop: Header=BB81_12 Depth=3
	global_load_dwordx4 v[4:7], v2, s[8:9] offset:-8
	global_load_dwordx2 v[8:9], v2, s[34:35] offset:8
	s_add_u32 s30, s34, 8
	s_addc_u32 s31, s35, 0
	s_mov_b64 s[36:37], 0
	s_waitcnt vmcnt(1)
	v_cmp_lt_f64_e64 s[34:35], |v[4:5]|, s[24:25]
	v_cndmask_b32_e64 v3, 0, 1, s[34:35]
	v_cmp_lt_f64_e64 s[38:39], |v[6:7]|, s[24:25]
	v_cndmask_b32_e64 v10, 0, 1, s[38:39]
	v_lshlrev_b32_e32 v3, 8, v3
	v_lshlrev_b32_e32 v10, 8, v10
	v_ldexp_f64 v[4:5], |v[4:5]|, v3
	v_ldexp_f64 v[6:7], |v[6:7]|, v10
	v_rsq_f64_e32 v[10:11], v[4:5]
	v_rsq_f64_e32 v[12:13], v[6:7]
	s_and_b64 s[34:35], s[34:35], exec
	s_cselect_b32 s1, 0xffffff80, 0
	v_mul_f64 v[14:15], v[4:5], v[10:11]
	v_mul_f64 v[10:11], v[10:11], 0.5
	v_mul_f64 v[16:17], v[6:7], v[12:13]
	v_mul_f64 v[12:13], v[12:13], 0.5
	v_fma_f64 v[18:19], -v[10:11], v[14:15], 0.5
	v_fma_f64 v[20:21], -v[12:13], v[16:17], 0.5
	v_fmac_f64_e32 v[14:15], v[14:15], v[18:19]
	v_fmac_f64_e32 v[10:11], v[10:11], v[18:19]
	v_fmac_f64_e32 v[16:17], v[16:17], v[20:21]
	v_fma_f64 v[18:19], -v[14:15], v[14:15], v[4:5]
	v_fmac_f64_e32 v[12:13], v[12:13], v[20:21]
	v_fma_f64 v[20:21], -v[16:17], v[16:17], v[6:7]
	v_fmac_f64_e32 v[14:15], v[18:19], v[10:11]
	s_add_i32 s74, s16, 1
	v_fmac_f64_e32 v[16:17], v[20:21], v[12:13]
	v_fma_f64 v[18:19], -v[14:15], v[14:15], v[4:5]
	s_and_b64 s[34:35], s[38:39], exec
	v_fma_f64 v[20:21], -v[16:17], v[16:17], v[6:7]
	v_fmac_f64_e32 v[14:15], v[18:19], v[10:11]
	s_cselect_b32 s34, 0xffffff80, 0
	v_fmac_f64_e32 v[16:17], v[20:21], v[12:13]
	v_ldexp_f64 v[10:11], v[14:15], s1
	v_cmp_class_f64_e32 vcc, v[4:5], v24
	v_ldexp_f64 v[12:13], v[16:17], s34
	v_cndmask_b32_e32 v5, v11, v5, vcc
	v_cndmask_b32_e32 v4, v10, v4, vcc
	v_cmp_class_f64_e32 vcc, v[6:7], v24
	v_cndmask_b32_e32 v7, v13, v7, vcc
	v_cndmask_b32_e32 v6, v12, v6, vcc
	v_mul_f64 v[4:5], v[4:5], v[6:7]
	s_add_u32 s8, s8, 8
	v_mul_f64 v[4:5], v[4:5], s[20:21]
	s_addc_u32 s9, s9, 0
	s_waitcnt vmcnt(0)
	v_cmp_le_f64_e64 s[38:39], |v[8:9]|, v[4:5]
	s_mov_b64 s[34:35], s[30:31]
	s_branch .LBB81_11
.LBB81_14:                              ;   in Loop: Header=BB81_6 Depth=2
	s_andn2_b64 vcc, exec, s[36:37]
	s_mov_b64 s[8:9], -1
	s_cbranch_vccnz .LBB81_21
; %bb.15:                               ;   in Loop: Header=BB81_6 Depth=2
	s_andn2_b64 vcc, exec, s[8:9]
	s_cbranch_vccz .LBB81_22
.LBB81_16:                              ;   in Loop: Header=BB81_6 Depth=2
	s_cmp_lg_u32 s16, s0
	s_mov_b64 s[34:35], -1
	s_cbranch_scc0 .LBB81_23
.LBB81_17:                              ;   in Loop: Header=BB81_6 Depth=2
	s_lshl_b64 s[8:9], s[16:17], 3
	s_add_u32 s30, s56, s8
	s_addc_u32 s31, s57, s9
	global_load_dwordx2 v[6:7], v2, s[30:31]
	s_cmp_lt_i32 s0, s16
	s_cselect_b64 s[8:9], -1, 0
	s_cmp_ge_i32 s0, s16
	s_waitcnt vmcnt(0)
	v_and_b32_e32 v5, 0x7fffffff, v7
	v_mov_b32_e32 v4, v6
	s_cbranch_scc1 .LBB81_20
; %bb.18:                               ;   in Loop: Header=BB81_6 Depth=2
	s_add_u32 s36, s68, s28
	s_addc_u32 s37, s69, s29
	s_add_u32 s38, s64, s28
	s_addc_u32 s39, s65, s29
	s_mov_b32 s1, s0
.LBB81_19:                              ;   Parent Loop BB81_4 Depth=1
                                        ;     Parent Loop BB81_6 Depth=2
                                        ; =>    This Inner Loop Header: Depth=3
	global_load_dwordx2 v[8:9], v2, s[38:39]
	global_load_dwordx2 v[10:11], v2, s[36:37]
	s_add_i32 s1, s1, 1
	s_add_u32 s36, s36, 8
	s_addc_u32 s37, s37, 0
	s_add_u32 s38, s38, 8
	v_max_f64 v[4:5], v[4:5], v[4:5]
	s_addc_u32 s39, s39, 0
	s_cmp_lt_i32 s1, s16
	s_waitcnt vmcnt(1)
	v_max_f64 v[8:9], |v[8:9]|, |v[8:9]|
	s_waitcnt vmcnt(0)
	v_max_f64 v[10:11], |v[10:11]|, |v[10:11]|
	v_max_f64 v[8:9], v[10:11], v[8:9]
	v_max_f64 v[4:5], v[4:5], v[8:9]
	s_cbranch_scc1 .LBB81_19
.LBB81_20:                              ;   in Loop: Header=BB81_6 Depth=2
	v_cmp_eq_f64_e64 s[38:39], 0, v[4:5]
	s_mov_b64 s[36:37], -1
	s_and_b64 vcc, exec, s[38:39]
	s_mov_b32 s76, s0
	s_cbranch_vccz .LBB81_5
	s_branch .LBB81_24
.LBB81_21:                              ;   in Loop: Header=BB81_6 Depth=2
	v_mov_b32_e32 v3, v2
	global_store_dwordx2 v2, v[2:3], s[30:31]
	s_cbranch_execnz .LBB81_16
.LBB81_22:                              ;   in Loop: Header=BB81_6 Depth=2
	s_max_i32 s16, s0, s59
	s_add_i32 s74, s16, 1
	s_cmp_lg_u32 s16, s0
	s_mov_b64 s[34:35], -1
	s_cbranch_scc1 .LBB81_17
.LBB81_23:                              ;   in Loop: Header=BB81_6 Depth=2
                                        ; implicit-def: $sgpr36_sgpr37
                                        ; implicit-def: $sgpr30_sgpr31
                                        ; implicit-def: $vgpr6_vgpr7
                                        ; implicit-def: $sgpr8_sgpr9
                                        ; implicit-def: $vgpr4_vgpr5
	s_mov_b32 s76, s0
	s_cbranch_execz .LBB81_5
.LBB81_24:                              ;   in Loop: Header=BB81_6 Depth=2
	s_cmp_ge_i32 s74, s33
	s_mov_b64 s[36:37], 0
	s_cselect_b64 s[34:35], -1, 0
	s_mov_b32 s76, s0
	s_branch .LBB81_5
.LBB81_25:                              ;   in Loop: Header=BB81_4 Depth=1
	s_mov_b64 s[0:1], -1
	s_and_b64 vcc, exec, s[36:37]
                                        ; implicit-def: $sgpr37
	s_cbranch_vccz .LBB81_3
; %bb.26:                               ;   in Loop: Header=BB81_4 Depth=1
	v_cmp_nlt_f64_e32 vcc, s[18:19], v[4:5]
	s_cbranch_vccz .LBB81_32
; %bb.27:                               ;   in Loop: Header=BB81_4 Depth=1
	v_cmp_gt_f64_e32 vcc, s[22:23], v[4:5]
	s_cbranch_vccz .LBB81_33
; %bb.28:                               ;   in Loop: Header=BB81_4 Depth=1
	v_div_scale_f64 v[8:9], s[0:1], s[22:23], s[22:23], v[4:5]
	v_rcp_f64_e32 v[10:11], v[8:9]
	v_div_scale_f64 v[12:13], vcc, v[4:5], s[22:23], v[4:5]
	s_mov_b64 s[0:1], 0
	v_fma_f64 v[14:15], -v[8:9], v[10:11], 1.0
	v_fmac_f64_e32 v[10:11], v[10:11], v[14:15]
	v_fma_f64 v[14:15], -v[8:9], v[10:11], 1.0
	v_fmac_f64_e32 v[10:11], v[10:11], v[14:15]
	v_mul_f64 v[14:15], v[12:13], v[10:11]
	v_fma_f64 v[8:9], -v[8:9], v[14:15], v[12:13]
	v_div_fmas_f64 v[8:9], v[8:9], v[10:11], v[14:15]
	v_div_fixup_f64 v[8:9], v[8:9], s[22:23], v[4:5]
	s_waitcnt vmcnt(0)
	v_mul_f64 v[10:11], v[6:7], v[8:9]
	s_and_b64 vcc, exec, s[8:9]
	global_store_dwordx2 v2, v[10:11], s[30:31]
	s_cbranch_vccz .LBB81_33
; %bb.29:                               ;   in Loop: Header=BB81_4 Depth=1
	s_add_u32 s0, s68, s28
	s_addc_u32 s1, s69, s29
	s_add_u32 s34, s64, s28
	s_addc_u32 s35, s65, s29
	s_mov_b32 s36, s76
.LBB81_30:                              ;   Parent Loop BB81_4 Depth=1
                                        ; =>  This Inner Loop Header: Depth=2
	global_load_dwordx2 v[10:11], v2, s[0:1]
	s_add_i32 s36, s36, 1
	s_waitcnt vmcnt(0)
	v_mul_f64 v[10:11], v[8:9], v[10:11]
	global_store_dwordx2 v2, v[10:11], s[0:1]
	global_load_dwordx2 v[10:11], v2, s[34:35]
	s_add_u32 s0, s0, 8
	s_addc_u32 s1, s1, 0
	s_waitcnt vmcnt(0)
	v_mul_f64 v[10:11], v[8:9], v[10:11]
	global_store_dwordx2 v2, v[10:11], s[34:35]
	s_add_u32 s34, s34, 8
	s_addc_u32 s35, s35, 0
	s_cmp_lt_i32 s36, s16
	s_cbranch_scc1 .LBB81_30
; %bb.31:                               ;   in Loop: Header=BB81_4 Depth=1
	s_mov_b64 s[0:1], -1
	s_branch .LBB81_38
.LBB81_32:                              ;   in Loop: Header=BB81_4 Depth=1
	s_mov_b64 s[0:1], 0
	s_cbranch_execnz .LBB81_34
	s_branch .LBB81_38
.LBB81_33:                              ;   in Loop: Header=BB81_4 Depth=1
	s_branch .LBB81_38
.LBB81_34:                              ;   in Loop: Header=BB81_4 Depth=1
	v_div_scale_f64 v[8:9], s[34:35], s[18:19], s[18:19], v[4:5]
	v_rcp_f64_e32 v[10:11], v[8:9]
	v_div_scale_f64 v[12:13], vcc, v[4:5], s[18:19], v[4:5]
	v_fma_f64 v[14:15], -v[8:9], v[10:11], 1.0
	v_fmac_f64_e32 v[10:11], v[10:11], v[14:15]
	v_fma_f64 v[14:15], -v[8:9], v[10:11], 1.0
	v_fmac_f64_e32 v[10:11], v[10:11], v[14:15]
	v_mul_f64 v[14:15], v[12:13], v[10:11]
	v_fma_f64 v[8:9], -v[8:9], v[14:15], v[12:13]
	v_div_fmas_f64 v[8:9], v[8:9], v[10:11], v[14:15]
	v_div_fixup_f64 v[8:9], v[8:9], s[18:19], v[4:5]
	s_waitcnt vmcnt(0)
	v_mul_f64 v[6:7], v[6:7], v[8:9]
	s_and_b64 vcc, exec, s[8:9]
	global_store_dwordx2 v2, v[6:7], s[30:31]
	s_cbranch_vccz .LBB81_38
; %bb.35:                               ;   in Loop: Header=BB81_4 Depth=1
	s_add_u32 s0, s68, s28
	s_addc_u32 s1, s69, s29
	s_add_u32 s34, s64, s28
	s_addc_u32 s35, s65, s29
	s_mov_b32 s36, s76
.LBB81_36:                              ;   Parent Loop BB81_4 Depth=1
                                        ; =>  This Inner Loop Header: Depth=2
	global_load_dwordx2 v[6:7], v2, s[0:1]
	s_add_i32 s36, s36, 1
	s_waitcnt vmcnt(0)
	v_mul_f64 v[6:7], v[8:9], v[6:7]
	global_store_dwordx2 v2, v[6:7], s[0:1]
	global_load_dwordx2 v[6:7], v2, s[34:35]
	s_add_u32 s0, s0, 8
	s_addc_u32 s1, s1, 0
	s_waitcnt vmcnt(0)
	v_mul_f64 v[6:7], v[8:9], v[6:7]
	global_store_dwordx2 v2, v[6:7], s[34:35]
	s_add_u32 s34, s34, 8
	s_addc_u32 s35, s35, 0
	s_cmp_ge_i32 s36, s16
	s_cbranch_scc0 .LBB81_36
; %bb.37:                               ;   in Loop: Header=BB81_4 Depth=1
	s_mov_b64 s[0:1], -1
.LBB81_38:                              ;   in Loop: Header=BB81_4 Depth=1
	v_cndmask_b32_e64 v3, 0, 1, s[8:9]
	s_and_b64 vcc, exec, s[0:1]
	v_cmp_ne_u32_e64 s[0:1], 1, v3
	s_cbranch_vccz .LBB81_42
; %bb.39:                               ;   in Loop: Header=BB81_4 Depth=1
	s_and_b64 vcc, exec, s[0:1]
	s_cbranch_vccnz .LBB81_42
; %bb.40:                               ;   in Loop: Header=BB81_4 Depth=1
	s_add_u32 s8, s64, s28
	s_addc_u32 s9, s65, s29
	s_mov_b32 s34, s76
.LBB81_41:                              ;   Parent Loop BB81_4 Depth=1
                                        ; =>  This Inner Loop Header: Depth=2
	global_load_dwordx2 v[6:7], v2, s[8:9]
	s_add_i32 s34, s34, 1
	s_waitcnt vmcnt(0)
	v_mul_f64 v[6:7], v[6:7], v[6:7]
	global_store_dwordx2 v2, v[6:7], s[8:9]
	s_add_u32 s8, s8, 8
	s_addc_u32 s9, s9, 0
	s_cmp_lt_i32 s34, s16
	s_cbranch_scc1 .LBB81_41
.LBB81_42:                              ;   in Loop: Header=BB81_4 Depth=1
	s_lshl_b64 s[2:3], s[2:3], 3
	s_add_u32 s2, s56, s2
	s_addc_u32 s3, s57, s3
	global_load_dwordx2 v[6:7], v2, s[30:31]
	global_load_dwordx2 v[8:9], v2, s[2:3]
	s_mov_b64 s[8:9], -1
                                        ; implicit-def: $sgpr37
	s_waitcnt vmcnt(0)
	v_cmp_lt_f64_e64 s[2:3], |v[6:7]|, |v[8:9]|
	s_and_b64 s[2:3], s[2:3], exec
	s_cselect_b32 s77, s76, s16
	s_cselect_b32 s34, s16, s76
	s_cmp_lt_i32 s75, s58
	s_cselect_b64 s[2:3], -1, 0
	v_cndmask_b32_e64 v3, 0, 1, s[2:3]
	s_cmp_lt_i32 s77, s34
	v_cmp_ne_u32_e64 s[2:3], 1, v3
	s_cbranch_scc0 .LBB81_45
; %bb.43:                               ;   in Loop: Header=BB81_4 Depth=1
	s_andn2_b64 vcc, exec, s[8:9]
	s_cbranch_vccz .LBB81_47
.LBB81_44:                              ;   in Loop: Header=BB81_4 Depth=1
	v_cmp_lt_f64_e32 vcc, s[18:19], v[4:5]
	s_andn2_b64 vcc, exec, vcc
	s_cbranch_vccz .LBB81_145
	s_branch .LBB81_148
.LBB81_45:                              ;   in Loop: Header=BB81_4 Depth=1
	s_and_b64 vcc, exec, s[2:3]
	s_mov_b32 s37, s75
	s_mov_b32 s36, s34
	;; [unrolled: 1-line block ×3, first 2 shown]
	s_cbranch_vccz .LBB81_49
.LBB81_46:                              ;   in Loop: Header=BB81_4 Depth=1
	s_cbranch_execnz .LBB81_44
.LBB81_47:                              ;   in Loop: Header=BB81_4 Depth=1
	s_and_b64 vcc, exec, s[2:3]
	s_cbranch_vccz .LBB81_97
	s_branch .LBB81_144
.LBB81_48:                              ;   in Loop: Header=BB81_49 Depth=2
	s_andn2_b64 vcc, exec, s[38:39]
	s_mov_b32 s36, s43
	s_cbranch_vccz .LBB81_46
.LBB81_49:                              ;   Parent Loop BB81_4 Depth=1
                                        ; =>  This Loop Header: Depth=2
                                        ;       Child Loop BB81_51 Depth 3
                                        ;       Child Loop BB81_63 Depth 3
	s_mov_b32 s37, s17
	s_max_i32 s42, s77, s36
	s_lshl_b64 s[44:45], s[36:37], 3
	s_add_u32 s38, s66, s44
	s_addc_u32 s39, s67, s45
	s_add_u32 s8, s70, s44
	s_addc_u32 s9, s71, s45
	s_mov_b32 s43, s36
	s_branch .LBB81_51
.LBB81_50:                              ;   in Loop: Header=BB81_51 Depth=3
	s_andn2_b64 vcc, exec, s[48:49]
	s_cbranch_vccz .LBB81_53
.LBB81_51:                              ;   Parent Loop BB81_4 Depth=1
                                        ;     Parent Loop BB81_49 Depth=2
                                        ; =>    This Inner Loop Header: Depth=3
	s_mov_b64 s[46:47], -1
	s_mov_b32 s37, s43
	s_cmp_ge_i32 s43, s77
	s_mov_b64 s[48:49], -1
                                        ; implicit-def: $sgpr43
                                        ; implicit-def: $sgpr40_sgpr41
	s_cbranch_scc1 .LBB81_50
; %bb.52:                               ;   in Loop: Header=BB81_51 Depth=3
	global_load_dwordx4 v[6:9], v2, s[8:9] offset:-8
	global_load_dwordx2 v[10:11], v2, s[38:39] offset:8
	s_add_u32 s40, s38, 8
	s_addc_u32 s41, s39, 0
	s_add_i32 s43, s37, 1
	s_add_u32 s8, s8, 8
	s_mov_b64 s[46:47], 0
	s_addc_u32 s9, s9, 0
	s_mov_b64 s[38:39], s[40:41]
	s_waitcnt vmcnt(1)
	v_mul_f64 v[6:7], v[6:7], v[8:9]
	v_mul_f64 v[6:7], v[0:1], |v[6:7]|
	s_waitcnt vmcnt(0)
	v_cmp_le_f64_e64 s[48:49], |v[10:11]|, v[6:7]
	s_branch .LBB81_50
.LBB81_53:                              ;   in Loop: Header=BB81_49 Depth=2
	s_andn2_b64 vcc, exec, s[46:47]
	s_cbranch_vccz .LBB81_55
; %bb.54:                               ;   in Loop: Header=BB81_49 Depth=2
	v_mov_b32_e32 v3, v2
	s_mov_b32 s42, s37
	global_store_dwordx2 v2, v[2:3], s[40:41]
.LBB81_55:                              ;   in Loop: Header=BB81_49 Depth=2
	s_add_i32 s43, s36, 1
	s_cmp_eq_u32 s42, s36
	s_mov_b64 s[38:39], -1
	s_cbranch_scc1 .LBB81_71
; %bb.56:                               ;   in Loop: Header=BB81_49 Depth=2
	s_add_u32 s40, s56, s44
	s_addc_u32 s41, s57, s45
	global_load_dwordx2 v[6:7], v2, s[40:41]
	s_cmp_lg_u32 s42, s43
	s_cbranch_scc0 .LBB81_72
; %bb.57:                               ;   in Loop: Header=BB81_49 Depth=2
	s_mov_b64 s[46:47], 0
	s_cmp_lg_u32 s35, s58
	s_mov_b64 s[8:9], 0
                                        ; implicit-def: $sgpr50
	s_cbranch_scc0 .LBB81_76
; %bb.58:                               ;   in Loop: Header=BB81_49 Depth=2
	s_add_u32 s48, s14, s44
	s_addc_u32 s49, s15, s45
	global_load_dwordx2 v[8:9], v2, s[48:49]
	global_load_dwordx2 v[10:11], v2, s[40:41] offset:8
	s_mov_b32 s43, s17
	s_waitcnt vmcnt(1)
	v_cmp_gt_f64_e32 vcc, s[24:25], v[8:9]
	v_cndmask_b32_e64 v3, 0, 1, vcc
	v_lshlrev_b32_e32 v3, 8, v3
	v_ldexp_f64 v[8:9], v[8:9], v3
	v_rsq_f64_e32 v[12:13], v[8:9]
	s_and_b64 s[8:9], vcc, exec
	s_cselect_b32 s8, 0xffffff80, 0
	v_cmp_class_f64_e32 vcc, v[8:9], v24
	v_mul_f64 v[14:15], v[8:9], v[12:13]
	v_mul_f64 v[12:13], v[12:13], 0.5
	v_fma_f64 v[16:17], -v[12:13], v[14:15], 0.5
	v_fmac_f64_e32 v[14:15], v[14:15], v[16:17]
	v_fmac_f64_e32 v[12:13], v[12:13], v[16:17]
	v_fma_f64 v[16:17], -v[14:15], v[14:15], v[8:9]
	v_fmac_f64_e32 v[14:15], v[16:17], v[12:13]
	v_fma_f64 v[16:17], -v[14:15], v[14:15], v[8:9]
	v_fmac_f64_e32 v[14:15], v[16:17], v[12:13]
	v_ldexp_f64 v[12:13], v[14:15], s8
	v_cndmask_b32_e32 v9, v13, v9, vcc
	v_cndmask_b32_e32 v8, v12, v8, vcc
	s_waitcnt vmcnt(0)
	v_add_f64 v[10:11], v[10:11], -v[6:7]
	v_add_f64 v[12:13], v[8:9], v[8:9]
	v_div_scale_f64 v[14:15], s[8:9], v[12:13], v[12:13], v[10:11]
	v_rcp_f64_e32 v[16:17], v[14:15]
	v_div_scale_f64 v[18:19], vcc, v[10:11], v[12:13], v[10:11]
	v_fma_f64 v[20:21], -v[14:15], v[16:17], 1.0
	v_fmac_f64_e32 v[16:17], v[16:17], v[20:21]
	v_fma_f64 v[20:21], -v[14:15], v[16:17], 1.0
	v_fmac_f64_e32 v[16:17], v[16:17], v[20:21]
	v_mul_f64 v[20:21], v[18:19], v[16:17]
	v_fma_f64 v[14:15], -v[14:15], v[20:21], v[18:19]
	v_div_fmas_f64 v[14:15], v[14:15], v[16:17], v[20:21]
	v_div_fixup_f64 v[10:11], v[14:15], v[12:13], v[10:11]
	v_fma_f64 v[12:13], v[10:11], v[10:11], 1.0
	v_cmp_gt_f64_e32 vcc, s[24:25], v[12:13]
	s_and_b64 s[8:9], vcc, exec
	s_cselect_b32 s37, 0xffffff80, 0
	s_lshl_b64 s[8:9], s[42:43], 3
	s_add_u32 s8, s56, s8
	s_addc_u32 s9, s57, s9
	global_load_dwordx2 v[14:15], v2, s[8:9]
	v_cndmask_b32_e64 v3, 0, 1, vcc
	v_lshlrev_b32_e32 v3, 8, v3
	v_ldexp_f64 v[12:13], v[12:13], v3
	v_rsq_f64_e32 v[16:17], v[12:13]
	v_cmp_class_f64_e32 vcc, v[12:13], v24
	s_cmp_le_i32 s42, s36
	v_mul_f64 v[18:19], v[12:13], v[16:17]
	v_mul_f64 v[16:17], v[16:17], 0.5
	v_fma_f64 v[20:21], -v[16:17], v[18:19], 0.5
	v_fmac_f64_e32 v[18:19], v[18:19], v[20:21]
	v_fmac_f64_e32 v[16:17], v[16:17], v[20:21]
	v_fma_f64 v[20:21], -v[18:19], v[18:19], v[12:13]
	v_fmac_f64_e32 v[18:19], v[20:21], v[16:17]
	v_fma_f64 v[20:21], -v[18:19], v[18:19], v[12:13]
	v_fmac_f64_e32 v[18:19], v[20:21], v[16:17]
	v_ldexp_f64 v[16:17], v[18:19], s37
	v_cndmask_b32_e32 v3, v17, v13, vcc
	v_cndmask_b32_e32 v12, v16, v12, vcc
	v_and_b32_e32 v13, 0x7fffffff, v3
	v_or_b32_e32 v3, 0x80000000, v3
	v_cmp_nle_f64_e32 vcc, 0, v[10:11]
	v_cndmask_b32_e32 v13, v13, v3, vcc
	v_add_f64 v[10:11], v[10:11], v[12:13]
	v_div_scale_f64 v[12:13], s[8:9], v[10:11], v[10:11], v[8:9]
	v_rcp_f64_e32 v[16:17], v[12:13]
	v_div_scale_f64 v[18:19], vcc, v[8:9], v[10:11], v[8:9]
	v_fma_f64 v[20:21], -v[12:13], v[16:17], 1.0
	v_fmac_f64_e32 v[16:17], v[16:17], v[20:21]
	v_fma_f64 v[20:21], -v[12:13], v[16:17], 1.0
	v_fmac_f64_e32 v[16:17], v[16:17], v[20:21]
	v_mul_f64 v[20:21], v[18:19], v[16:17]
	v_fma_f64 v[12:13], -v[12:13], v[20:21], v[18:19]
	v_div_fmas_f64 v[12:13], v[12:13], v[16:17], v[20:21]
	v_div_fixup_f64 v[8:9], v[12:13], v[10:11], v[8:9]
	v_add_f64 v[8:9], v[6:7], -v[8:9]
	v_pk_mov_b32 v[12:13], 0, 0
	s_waitcnt vmcnt(0)
	v_add_f64 v[14:15], v[14:15], -v[8:9]
	v_mul_f64 v[16:17], v[14:15], v[14:15]
	s_cbranch_scc1 .LBB81_75
; %bb.59:                               ;   in Loop: Header=BB81_49 Depth=2
	s_ashr_i32 s43, s42, 31
	s_lshl_b64 s[8:9], s[42:43], 3
	s_add_u32 s50, s60, s8
	s_addc_u32 s51, s61, s9
	global_load_dwordx2 v[10:11], v2, s[50:51]
	s_add_u32 s50, s62, s8
	s_addc_u32 s51, s63, s9
	global_load_dwordx2 v[20:21], v2, s[50:51]
	s_add_u32 s50, s56, s8
	s_addc_u32 s51, s57, s9
	s_waitcnt vmcnt(1)
	v_add_f64 v[12:13], v[16:17], v[10:11]
	v_div_scale_f64 v[18:19], s[8:9], v[12:13], v[12:13], v[16:17]
	v_div_scale_f64 v[26:27], s[8:9], v[12:13], v[12:13], v[10:11]
	v_rcp_f64_e32 v[28:29], v[18:19]
	v_rcp_f64_e32 v[30:31], v[26:27]
	v_div_scale_f64 v[22:23], vcc, v[16:17], v[12:13], v[16:17]
	v_fma_f64 v[36:37], -v[18:19], v[28:29], 1.0
	v_fma_f64 v[38:39], -v[26:27], v[30:31], 1.0
	v_fmac_f64_e32 v[28:29], v[28:29], v[36:37]
	v_fmac_f64_e32 v[30:31], v[30:31], v[38:39]
	v_fma_f64 v[36:37], -v[18:19], v[28:29], 1.0
	v_fma_f64 v[38:39], -v[26:27], v[30:31], 1.0
	v_fmac_f64_e32 v[28:29], v[28:29], v[36:37]
	v_div_scale_f64 v[32:33], s[8:9], v[10:11], v[12:13], v[10:11]
	v_fmac_f64_e32 v[30:31], v[30:31], v[38:39]
	v_mul_f64 v[36:37], v[22:23], v[28:29]
	v_mul_f64 v[38:39], v[32:33], v[30:31]
	v_fma_f64 v[18:19], -v[18:19], v[36:37], v[22:23]
	v_fma_f64 v[22:23], -v[26:27], v[38:39], v[32:33]
	v_div_fmas_f64 v[18:19], v[18:19], v[28:29], v[36:37]
	s_mov_b64 vcc, s[8:9]
	v_div_fixup_f64 v[16:17], v[18:19], v[12:13], v[16:17]
	v_div_fmas_f64 v[18:19], v[22:23], v[30:31], v[38:39]
	v_div_fixup_f64 v[12:13], v[18:19], v[12:13], v[10:11]
	s_waitcnt vmcnt(0)
	v_add_f64 v[34:35], v[20:21], -v[8:9]
	v_mul_f64 v[18:19], v[14:15], v[12:13]
	v_fma_f64 v[18:19], v[16:17], v[34:35], -v[18:19]
	v_cmp_eq_f64_e32 vcc, 0, v[16:17]
	v_add_f64 v[20:21], v[20:21], -v[18:19]
	v_add_f64 v[14:15], v[14:15], v[20:21]
	global_store_dwordx2 v2, v[14:15], s[50:51]
	s_cbranch_vccnz .LBB81_61
; %bb.60:                               ;   in Loop: Header=BB81_49 Depth=2
	v_mul_f64 v[10:11], v[18:19], v[18:19]
	v_div_scale_f64 v[14:15], s[8:9], v[16:17], v[16:17], v[10:11]
	v_rcp_f64_e32 v[20:21], v[14:15]
	v_div_scale_f64 v[22:23], vcc, v[10:11], v[16:17], v[10:11]
	v_fma_f64 v[26:27], -v[14:15], v[20:21], 1.0
	v_fmac_f64_e32 v[20:21], v[20:21], v[26:27]
	v_fma_f64 v[26:27], -v[14:15], v[20:21], 1.0
	v_fmac_f64_e32 v[20:21], v[20:21], v[26:27]
	v_mul_f64 v[26:27], v[22:23], v[20:21]
	v_fma_f64 v[14:15], -v[14:15], v[26:27], v[22:23]
	v_div_fmas_f64 v[14:15], v[14:15], v[20:21], v[26:27]
	v_div_fixup_f64 v[10:11], v[14:15], v[16:17], v[10:11]
.LBB81_61:                              ;   in Loop: Header=BB81_49 Depth=2
	s_add_i32 s8, s42, -1
	s_cmp_le_i32 s8, s36
	s_cbranch_scc1 .LBB81_73
; %bb.62:                               ;   in Loop: Header=BB81_49 Depth=2
	s_add_i32 s8, s42, -2
	s_ashr_i32 s9, s8, 31
	s_lshl_b64 s[8:9], s[8:9], 3
	s_add_u32 s52, s70, s8
	s_addc_u32 s53, s71, s9
	s_add_u32 s8, s72, s8
	s_addc_u32 s9, s73, s9
	s_mov_b32 s37, -1
.LBB81_63:                              ;   Parent Loop BB81_4 Depth=1
                                        ;     Parent Loop BB81_49 Depth=2
                                        ; =>    This Inner Loop Header: Depth=3
	global_load_dwordx2 v[20:21], v2, s[8:9] offset:-8
	s_add_u32 s50, s8, -8
	s_addc_u32 s51, s9, -1
	s_cmp_eq_u32 s37, 0
	s_waitcnt vmcnt(0)
	v_add_f64 v[14:15], v[10:11], v[20:21]
	s_cbranch_scc1 .LBB81_65
; %bb.64:                               ;   in Loop: Header=BB81_63 Depth=3
	v_mul_f64 v[12:13], v[12:13], v[14:15]
	global_store_dwordx2 v2, v[12:13], s[8:9]
.LBB81_65:                              ;   in Loop: Header=BB81_63 Depth=3
	global_load_dwordx2 v[26:27], v2, s[52:53] offset:-8
	v_div_scale_f64 v[12:13], s[8:9], v[14:15], v[14:15], v[10:11]
	v_div_scale_f64 v[28:29], s[8:9], v[14:15], v[14:15], v[20:21]
	v_rcp_f64_e32 v[32:33], v[12:13]
	v_rcp_f64_e32 v[34:35], v[28:29]
	v_div_scale_f64 v[22:23], vcc, v[10:11], v[14:15], v[10:11]
	v_fma_f64 v[36:37], -v[12:13], v[32:33], 1.0
	v_fma_f64 v[38:39], -v[28:29], v[34:35], 1.0
	v_fmac_f64_e32 v[32:33], v[32:33], v[36:37]
	v_fmac_f64_e32 v[34:35], v[34:35], v[38:39]
	v_fma_f64 v[36:37], -v[12:13], v[32:33], 1.0
	v_fma_f64 v[38:39], -v[28:29], v[34:35], 1.0
	v_fmac_f64_e32 v[32:33], v[32:33], v[36:37]
	v_div_scale_f64 v[30:31], s[8:9], v[20:21], v[14:15], v[20:21]
	v_fmac_f64_e32 v[34:35], v[34:35], v[38:39]
	v_mul_f64 v[36:37], v[22:23], v[32:33]
	v_mul_f64 v[38:39], v[30:31], v[34:35]
	v_fma_f64 v[12:13], -v[12:13], v[36:37], v[22:23]
	v_fma_f64 v[28:29], -v[28:29], v[38:39], v[30:31]
	v_div_fmas_f64 v[12:13], v[12:13], v[32:33], v[36:37]
	s_mov_b64 vcc, s[8:9]
	v_div_fixup_f64 v[22:23], v[12:13], v[14:15], v[10:11]
	v_div_fmas_f64 v[10:11], v[28:29], v[34:35], v[38:39]
	v_div_fixup_f64 v[12:13], v[10:11], v[14:15], v[20:21]
	v_mul_f64 v[10:11], v[18:19], v[12:13]
	s_add_u32 s54, s52, -8
	v_cmp_eq_f64_e32 vcc, 0, v[22:23]
	s_addc_u32 s55, s53, -1
	s_and_b64 vcc, exec, vcc
	s_waitcnt vmcnt(0)
	v_add_f64 v[14:15], v[26:27], -v[8:9]
	v_fma_f64 v[14:15], v[22:23], v[14:15], -v[10:11]
	v_add_f64 v[10:11], v[26:27], -v[14:15]
	v_add_f64 v[10:11], v[18:19], v[10:11]
	global_store_dwordx2 v2, v[10:11], s[52:53]
	s_cbranch_vccz .LBB81_70
; %bb.66:                               ;   in Loop: Header=BB81_63 Depth=3
	v_mul_f64 v[10:11], v[16:17], v[20:21]
	s_cbranch_execnz .LBB81_68
.LBB81_67:                              ;   in Loop: Header=BB81_63 Depth=3
	v_mul_f64 v[10:11], v[14:15], v[14:15]
	v_div_scale_f64 v[16:17], s[8:9], v[22:23], v[22:23], v[10:11]
	v_rcp_f64_e32 v[18:19], v[16:17]
	v_div_scale_f64 v[20:21], vcc, v[10:11], v[22:23], v[10:11]
	v_fma_f64 v[26:27], -v[16:17], v[18:19], 1.0
	v_fmac_f64_e32 v[18:19], v[18:19], v[26:27]
	v_fma_f64 v[26:27], -v[16:17], v[18:19], 1.0
	v_fmac_f64_e32 v[18:19], v[18:19], v[26:27]
	v_mul_f64 v[26:27], v[20:21], v[18:19]
	v_fma_f64 v[16:17], -v[16:17], v[26:27], v[20:21]
	v_div_fmas_f64 v[16:17], v[16:17], v[18:19], v[26:27]
	v_div_fixup_f64 v[10:11], v[16:17], v[22:23], v[10:11]
.LBB81_68:                              ;   in Loop: Header=BB81_63 Depth=3
	s_add_i32 s37, s37, -1
	s_add_i32 s8, s42, s37
	s_cmp_le_i32 s8, s36
	s_cbranch_scc1 .LBB81_74
; %bb.69:                               ;   in Loop: Header=BB81_63 Depth=3
	s_mov_b64 s[8:9], s[50:51]
	s_mov_b64 s[52:53], s[54:55]
	v_pk_mov_b32 v[16:17], v[22:23], v[22:23] op_sel:[0,1]
	v_pk_mov_b32 v[18:19], v[14:15], v[14:15] op_sel:[0,1]
	s_branch .LBB81_63
.LBB81_70:                              ;   in Loop: Header=BB81_63 Depth=3
                                        ; implicit-def: $vgpr10_vgpr11
	s_branch .LBB81_67
.LBB81_71:                              ;   in Loop: Header=BB81_49 Depth=2
                                        ; implicit-def: $sgpr37
	s_cbranch_execz .LBB81_48
	s_branch .LBB81_95
.LBB81_72:                              ;   in Loop: Header=BB81_49 Depth=2
	s_mov_b64 s[8:9], 0
                                        ; implicit-def: $sgpr37
                                        ; implicit-def: $sgpr43
                                        ; implicit-def: $sgpr50
	s_cbranch_execnz .LBB81_77
	s_branch .LBB81_94
.LBB81_73:                              ;   in Loop: Header=BB81_49 Depth=2
	v_pk_mov_b32 v[14:15], v[18:19], v[18:19] op_sel:[0,1]
.LBB81_74:                              ;   in Loop: Header=BB81_49 Depth=2
	v_pk_mov_b32 v[16:17], v[10:11], v[10:11] op_sel:[0,1]
.LBB81_75:                              ;   in Loop: Header=BB81_49 Depth=2
	v_mul_f64 v[10:11], v[12:13], v[16:17]
	v_add_f64 v[8:9], v[8:9], v[14:15]
	s_add_i32 s50, s35, 1
	global_store_dwordx2 v2, v[10:11], s[48:49]
	global_store_dwordx2 v2, v[8:9], s[40:41]
	s_mov_b64 s[8:9], -1
.LBB81_76:                              ;   in Loop: Header=BB81_49 Depth=2
	s_mov_b32 s37, s58
	s_mov_b32 s43, s36
	s_and_b64 vcc, exec, s[46:47]
	s_cbranch_vccz .LBB81_94
.LBB81_77:                              ;   in Loop: Header=BB81_49 Depth=2
	s_add_u32 s8, s14, s44
	s_addc_u32 s9, s15, s45
	global_load_dwordx2 v[8:9], v2, s[8:9]
	s_mov_b32 s43, s17
	s_waitcnt vmcnt(0)
	v_cmp_gt_f64_e32 vcc, s[24:25], v[8:9]
	s_and_b64 s[44:45], vcc, exec
	s_cselect_b32 s37, 0xffffff80, 0
	s_lshl_b64 s[42:43], s[42:43], 3
	s_add_u32 s42, s56, s42
	s_addc_u32 s43, s57, s43
	global_load_dwordx2 v[10:11], v2, s[42:43]
	v_cndmask_b32_e64 v3, 0, 1, vcc
	v_lshlrev_b32_e32 v3, 8, v3
	v_ldexp_f64 v[8:9], v[8:9], v3
	v_rsq_f64_e32 v[12:13], v[8:9]
	v_cmp_class_f64_e32 vcc, v[8:9], v24
	v_mul_f64 v[14:15], v[8:9], v[12:13]
	v_mul_f64 v[12:13], v[12:13], 0.5
	v_fma_f64 v[16:17], -v[12:13], v[14:15], 0.5
	v_fmac_f64_e32 v[14:15], v[14:15], v[16:17]
	v_fmac_f64_e32 v[12:13], v[12:13], v[16:17]
	v_fma_f64 v[16:17], -v[14:15], v[14:15], v[8:9]
	v_fmac_f64_e32 v[14:15], v[16:17], v[12:13]
	v_fma_f64 v[16:17], -v[14:15], v[14:15], v[8:9]
	v_fmac_f64_e32 v[14:15], v[16:17], v[12:13]
	v_ldexp_f64 v[12:13], v[14:15], s37
	v_cndmask_b32_e32 v9, v13, v9, vcc
	v_cndmask_b32_e32 v8, v12, v8, vcc
	v_add_f64 v[16:17], v[8:9], v[8:9]
	s_waitcnt vmcnt(0)
	v_add_f64 v[14:15], v[6:7], -v[10:11]
	v_cmp_ngt_f64_e64 s[44:45], |v[14:15]|, |v[16:17]|
	s_and_b64 vcc, exec, s[44:45]
	s_cbranch_vccz .LBB81_80
; %bb.78:                               ;   in Loop: Header=BB81_49 Depth=2
	v_cmp_nlt_f64_e64 s[44:45], |v[14:15]|, |v[16:17]|
	s_and_b64 vcc, exec, s[44:45]
	s_cbranch_vccz .LBB81_81
; %bb.79:                               ;   in Loop: Header=BB81_49 Depth=2
	v_mul_f64 v[12:13], |v[16:17]|, s[26:27]
	s_cbranch_execz .LBB81_82
	s_branch .LBB81_83
.LBB81_80:                              ;   in Loop: Header=BB81_49 Depth=2
                                        ; implicit-def: $vgpr12_vgpr13
	s_branch .LBB81_84
.LBB81_81:                              ;   in Loop: Header=BB81_49 Depth=2
                                        ; implicit-def: $vgpr12_vgpr13
.LBB81_82:                              ;   in Loop: Header=BB81_49 Depth=2
	v_and_b32_e32 v13, 0x7fffffff, v15
	v_mov_b32_e32 v12, v14
	v_and_b32_e32 v19, 0x7fffffff, v17
	v_mov_b32_e32 v18, v16
	v_div_scale_f64 v[20:21], s[44:45], v[18:19], v[18:19], v[12:13]
	v_rcp_f64_e32 v[22:23], v[20:21]
	v_div_scale_f64 v[12:13], vcc, v[12:13], v[18:19], v[12:13]
	v_fma_f64 v[26:27], -v[20:21], v[22:23], 1.0
	v_fmac_f64_e32 v[22:23], v[22:23], v[26:27]
	v_fma_f64 v[26:27], -v[20:21], v[22:23], 1.0
	v_fmac_f64_e32 v[22:23], v[22:23], v[26:27]
	v_mul_f64 v[18:19], v[12:13], v[22:23]
	v_fma_f64 v[12:13], -v[20:21], v[18:19], v[12:13]
	v_div_fmas_f64 v[12:13], v[12:13], v[22:23], v[18:19]
	v_div_fixup_f64 v[12:13], v[12:13], |v[16:17]|, |v[14:15]|
	v_fma_f64 v[12:13], v[12:13], v[12:13], 1.0
	v_cmp_gt_f64_e32 vcc, s[24:25], v[12:13]
	v_cndmask_b32_e64 v3, 0, 1, vcc
	v_lshlrev_b32_e32 v3, 8, v3
	v_ldexp_f64 v[12:13], v[12:13], v3
	v_rsq_f64_e32 v[18:19], v[12:13]
	s_and_b64 s[44:45], vcc, exec
	s_cselect_b32 s37, 0xffffff80, 0
	v_cmp_class_f64_e32 vcc, v[12:13], v24
	v_mul_f64 v[20:21], v[12:13], v[18:19]
	v_mul_f64 v[18:19], v[18:19], 0.5
	v_fma_f64 v[22:23], -v[18:19], v[20:21], 0.5
	v_fmac_f64_e32 v[20:21], v[20:21], v[22:23]
	v_fma_f64 v[26:27], -v[20:21], v[20:21], v[12:13]
	v_fmac_f64_e32 v[18:19], v[18:19], v[22:23]
	v_fmac_f64_e32 v[20:21], v[26:27], v[18:19]
	v_fma_f64 v[22:23], -v[20:21], v[20:21], v[12:13]
	v_fmac_f64_e32 v[20:21], v[22:23], v[18:19]
	v_ldexp_f64 v[18:19], v[20:21], s37
	v_cndmask_b32_e32 v13, v19, v13, vcc
	v_cndmask_b32_e32 v12, v18, v12, vcc
	v_mul_f64 v[12:13], |v[16:17]|, v[12:13]
.LBB81_83:                              ;   in Loop: Header=BB81_49 Depth=2
	s_cbranch_execnz .LBB81_85
.LBB81_84:                              ;   in Loop: Header=BB81_49 Depth=2
	v_and_b32_e32 v13, 0x7fffffff, v17
	v_mov_b32_e32 v12, v16
	v_and_b32_e32 v19, 0x7fffffff, v15
	v_mov_b32_e32 v18, v14
	v_div_scale_f64 v[20:21], s[44:45], v[18:19], v[18:19], v[12:13]
	v_rcp_f64_e32 v[22:23], v[20:21]
	v_div_scale_f64 v[12:13], vcc, v[12:13], v[18:19], v[12:13]
	v_fma_f64 v[26:27], -v[20:21], v[22:23], 1.0
	v_fmac_f64_e32 v[22:23], v[22:23], v[26:27]
	v_fma_f64 v[26:27], -v[20:21], v[22:23], 1.0
	v_fmac_f64_e32 v[22:23], v[22:23], v[26:27]
	v_mul_f64 v[18:19], v[12:13], v[22:23]
	v_fma_f64 v[12:13], -v[20:21], v[18:19], v[12:13]
	v_div_fmas_f64 v[12:13], v[12:13], v[22:23], v[18:19]
	v_div_fixup_f64 v[12:13], v[12:13], |v[14:15]|, |v[16:17]|
	v_fma_f64 v[12:13], v[12:13], v[12:13], 1.0
	v_cmp_gt_f64_e32 vcc, s[24:25], v[12:13]
	v_cndmask_b32_e64 v3, 0, 1, vcc
	v_lshlrev_b32_e32 v3, 8, v3
	v_ldexp_f64 v[12:13], v[12:13], v3
	v_rsq_f64_e32 v[16:17], v[12:13]
	s_and_b64 s[44:45], vcc, exec
	s_cselect_b32 s37, 0xffffff80, 0
	v_cmp_class_f64_e32 vcc, v[12:13], v24
	v_mul_f64 v[18:19], v[12:13], v[16:17]
	v_mul_f64 v[16:17], v[16:17], 0.5
	v_fma_f64 v[20:21], -v[16:17], v[18:19], 0.5
	v_fmac_f64_e32 v[18:19], v[18:19], v[20:21]
	v_fma_f64 v[22:23], -v[18:19], v[18:19], v[12:13]
	v_fmac_f64_e32 v[16:17], v[16:17], v[20:21]
	v_fmac_f64_e32 v[18:19], v[22:23], v[16:17]
	v_fma_f64 v[20:21], -v[18:19], v[18:19], v[12:13]
	v_fmac_f64_e32 v[18:19], v[20:21], v[16:17]
	v_ldexp_f64 v[16:17], v[18:19], s37
	v_cndmask_b32_e32 v13, v17, v13, vcc
	v_cndmask_b32_e32 v12, v16, v12, vcc
	v_mul_f64 v[12:13], |v[14:15]|, v[12:13]
.LBB81_85:                              ;   in Loop: Header=BB81_49 Depth=2
	v_add_f64 v[16:17], v[6:7], v[10:11]
	v_cmp_gt_f64_e64 vcc, |v[6:7]|, |v[10:11]|
	v_cndmask_b32_e32 v15, v7, v11, vcc
	v_cndmask_b32_e32 v14, v6, v10, vcc
	;; [unrolled: 1-line block ×4, first 2 shown]
	v_cmp_ngt_f64_e32 vcc, 0, v[16:17]
	s_cbranch_vccz .LBB81_88
; %bb.86:                               ;   in Loop: Header=BB81_49 Depth=2
	v_cmp_nlt_f64_e32 vcc, 0, v[16:17]
	s_cbranch_vccz .LBB81_89
; %bb.87:                               ;   in Loop: Header=BB81_49 Depth=2
	v_mul_f64 v[10:11], v[12:13], 0.5
	v_mul_f64 v[18:19], v[12:13], -0.5
	s_cbranch_execz .LBB81_90
	s_branch .LBB81_91
.LBB81_88:                              ;   in Loop: Header=BB81_49 Depth=2
                                        ; implicit-def: $vgpr18_vgpr19
                                        ; implicit-def: $vgpr10_vgpr11
	s_branch .LBB81_92
.LBB81_89:                              ;   in Loop: Header=BB81_49 Depth=2
                                        ; implicit-def: $vgpr18_vgpr19
                                        ; implicit-def: $vgpr10_vgpr11
.LBB81_90:                              ;   in Loop: Header=BB81_49 Depth=2
	v_add_f64 v[10:11], v[16:17], v[12:13]
	v_mul_f64 v[10:11], v[10:11], 0.5
	v_div_scale_f64 v[18:19], s[44:45], v[10:11], v[10:11], v[6:7]
	v_rcp_f64_e32 v[20:21], v[18:19]
	v_div_scale_f64 v[22:23], vcc, v[6:7], v[10:11], v[6:7]
	v_fma_f64 v[26:27], -v[18:19], v[20:21], 1.0
	v_fmac_f64_e32 v[20:21], v[20:21], v[26:27]
	v_fma_f64 v[26:27], -v[18:19], v[20:21], 1.0
	v_fmac_f64_e32 v[20:21], v[20:21], v[26:27]
	v_mul_f64 v[26:27], v[22:23], v[20:21]
	v_fma_f64 v[18:19], -v[18:19], v[26:27], v[22:23]
	v_div_scale_f64 v[22:23], s[44:45], v[10:11], v[10:11], v[8:9]
	v_rcp_f64_e32 v[28:29], v[22:23]
	v_div_fmas_f64 v[18:19], v[18:19], v[20:21], v[26:27]
	v_div_fixup_f64 v[18:19], v[18:19], v[10:11], v[6:7]
	v_fma_f64 v[20:21], -v[22:23], v[28:29], 1.0
	v_fmac_f64_e32 v[28:29], v[28:29], v[20:21]
	v_fma_f64 v[20:21], -v[22:23], v[28:29], 1.0
	v_fmac_f64_e32 v[28:29], v[28:29], v[20:21]
	v_div_scale_f64 v[20:21], vcc, v[8:9], v[10:11], v[8:9]
	v_mul_f64 v[26:27], v[20:21], v[28:29]
	v_fma_f64 v[20:21], -v[22:23], v[26:27], v[20:21]
	s_nop 1
	v_div_fmas_f64 v[20:21], v[20:21], v[28:29], v[26:27]
	v_div_fixup_f64 v[20:21], v[20:21], v[10:11], v[8:9]
	v_mul_f64 v[20:21], v[8:9], v[20:21]
	v_fma_f64 v[18:19], v[14:15], v[18:19], -v[20:21]
.LBB81_91:                              ;   in Loop: Header=BB81_49 Depth=2
	s_cbranch_execnz .LBB81_93
.LBB81_92:                              ;   in Loop: Header=BB81_49 Depth=2
	v_add_f64 v[10:11], v[16:17], -v[12:13]
	v_mul_f64 v[10:11], v[10:11], 0.5
	v_div_scale_f64 v[12:13], s[44:45], v[10:11], v[10:11], v[6:7]
	v_rcp_f64_e32 v[16:17], v[12:13]
	v_div_scale_f64 v[18:19], vcc, v[6:7], v[10:11], v[6:7]
	v_fma_f64 v[20:21], -v[12:13], v[16:17], 1.0
	v_fmac_f64_e32 v[16:17], v[16:17], v[20:21]
	v_fma_f64 v[20:21], -v[12:13], v[16:17], 1.0
	v_fmac_f64_e32 v[16:17], v[16:17], v[20:21]
	v_mul_f64 v[20:21], v[18:19], v[16:17]
	v_fma_f64 v[12:13], -v[12:13], v[20:21], v[18:19]
	v_div_scale_f64 v[18:19], s[44:45], v[10:11], v[10:11], v[8:9]
	v_rcp_f64_e32 v[22:23], v[18:19]
	v_div_fmas_f64 v[12:13], v[12:13], v[16:17], v[20:21]
	v_div_fixup_f64 v[6:7], v[12:13], v[10:11], v[6:7]
	v_fma_f64 v[12:13], -v[18:19], v[22:23], 1.0
	v_fmac_f64_e32 v[22:23], v[22:23], v[12:13]
	v_fma_f64 v[12:13], -v[18:19], v[22:23], 1.0
	v_fmac_f64_e32 v[22:23], v[22:23], v[12:13]
	v_div_scale_f64 v[12:13], vcc, v[8:9], v[10:11], v[8:9]
	v_mul_f64 v[16:17], v[12:13], v[22:23]
	v_fma_f64 v[12:13], -v[18:19], v[16:17], v[12:13]
	s_nop 1
	v_div_fmas_f64 v[12:13], v[12:13], v[22:23], v[16:17]
	v_div_fixup_f64 v[12:13], v[12:13], v[10:11], v[8:9]
	v_mul_f64 v[8:9], v[8:9], v[12:13]
	v_fma_f64 v[18:19], v[14:15], v[6:7], -v[8:9]
.LBB81_93:                              ;   in Loop: Header=BB81_49 Depth=2
	v_mov_b32_e32 v3, v2
	global_store_dwordx2 v2, v[10:11], s[40:41]
	global_store_dwordx2 v2, v[18:19], s[42:43]
	;; [unrolled: 1-line block ×3, first 2 shown]
	s_add_i32 s43, s36, 2
	s_mov_b64 s[8:9], -1
	s_mov_b32 s50, s35
                                        ; implicit-def: $sgpr37
.LBB81_94:                              ;   in Loop: Header=BB81_49 Depth=2
	s_mov_b32 s35, s50
	s_and_b64 vcc, exec, s[8:9]
	s_cbranch_vccz .LBB81_48
.LBB81_95:                              ;   in Loop: Header=BB81_49 Depth=2
	s_cmp_gt_i32 s43, s77
	s_cselect_b64 s[8:9], -1, 0
	s_cmp_ge_i32 s35, s58
	s_cselect_b64 s[36:37], -1, 0
	s_or_b64 s[38:39], s[8:9], s[36:37]
	s_mov_b32 s37, s35
	s_branch .LBB81_48
.LBB81_96:                              ;   in Loop: Header=BB81_97 Depth=2
	s_andn2_b64 vcc, exec, s[8:9]
	s_mov_b32 s34, s35
	s_cbranch_vccz .LBB81_143
.LBB81_97:                              ;   Parent Loop BB81_4 Depth=1
                                        ; =>  This Loop Header: Depth=2
                                        ;       Child Loop BB81_99 Depth 3
                                        ;       Child Loop BB81_112 Depth 3
	s_ashr_i32 s35, s34, 31
	s_min_i32 s38, s77, s34
	s_lshl_b64 s[2:3], s[34:35], 3
	s_add_u32 s36, s68, s2
	s_addc_u32 s37, s69, s3
	s_add_u32 s8, s72, s2
	s_addc_u32 s9, s73, s3
	s_mov_b32 s39, s34
	s_branch .LBB81_99
.LBB81_98:                              ;   in Loop: Header=BB81_99 Depth=3
	s_andn2_b64 vcc, exec, s[42:43]
	s_cbranch_vccz .LBB81_101
.LBB81_99:                              ;   Parent Loop BB81_4 Depth=1
                                        ;     Parent Loop BB81_97 Depth=2
                                        ; =>    This Inner Loop Header: Depth=3
	s_mov_b64 s[40:41], -1
	s_mov_b32 s35, s39
	s_cmp_le_i32 s39, s77
	s_mov_b64 s[42:43], -1
                                        ; implicit-def: $sgpr39
	s_cbranch_scc1 .LBB81_98
; %bb.100:                              ;   in Loop: Header=BB81_99 Depth=3
	global_load_dwordx4 v[6:9], v2, s[36:37] offset:-8
	global_load_dwordx2 v[10:11], v2, s[8:9] offset:-16
	s_add_i32 s39, s35, -1
	s_add_u32 s36, s36, -8
	s_addc_u32 s37, s37, -1
	s_add_u32 s8, s8, -8
	s_mov_b64 s[40:41], 0
	s_addc_u32 s9, s9, -1
	s_waitcnt vmcnt(1)
	v_mul_f64 v[6:7], v[8:9], v[6:7]
	v_mul_f64 v[6:7], v[0:1], |v[6:7]|
	s_waitcnt vmcnt(0)
	v_cmp_le_f64_e64 s[42:43], |v[10:11]|, v[6:7]
	s_branch .LBB81_98
.LBB81_101:                             ;   in Loop: Header=BB81_97 Depth=2
	s_andn2_b64 vcc, exec, s[40:41]
	s_cbranch_vccz .LBB81_103
; %bb.102:                              ;   in Loop: Header=BB81_97 Depth=2
	v_mov_b32_e32 v3, v2
	s_mov_b32 s38, s35
	global_store_dwordx2 v2, v[2:3], s[8:9] offset:-8
.LBB81_103:                             ;   in Loop: Header=BB81_97 Depth=2
	s_add_i32 s35, s34, -1
	s_cmp_eq_u32 s38, s34
	s_mov_b64 s[8:9], -1
	s_cbranch_scc1 .LBB81_118
; %bb.104:                              ;   in Loop: Header=BB81_97 Depth=2
	s_add_u32 s36, s56, s2
	s_addc_u32 s37, s57, s3
	global_load_dwordx2 v[6:7], v2, s[36:37]
	s_cmp_lg_u32 s38, s35
	s_cbranch_scc0 .LBB81_119
; %bb.105:                              ;   in Loop: Header=BB81_97 Depth=2
	s_mov_b64 s[40:41], 0
	s_cmp_lg_u32 s75, s58
	s_mov_b64 s[42:43], 0
                                        ; implicit-def: $sgpr39
	s_cbranch_scc0 .LBB81_123
; %bb.106:                              ;   in Loop: Header=BB81_97 Depth=2
	s_add_u32 s42, s60, s2
	s_addc_u32 s43, s61, s3
	global_load_dwordx2 v[8:9], v2, s[42:43]
	global_load_dwordx2 v[10:11], v2, s[36:37] offset:-8
	s_waitcnt vmcnt(1)
	v_cmp_gt_f64_e32 vcc, s[24:25], v[8:9]
	v_cndmask_b32_e64 v3, 0, 1, vcc
	v_lshlrev_b32_e32 v3, 8, v3
	v_ldexp_f64 v[8:9], v[8:9], v3
	v_rsq_f64_e32 v[12:13], v[8:9]
	s_and_b64 s[2:3], vcc, exec
	s_cselect_b32 s2, 0xffffff80, 0
	v_cmp_class_f64_e32 vcc, v[8:9], v24
	v_mul_f64 v[14:15], v[8:9], v[12:13]
	v_mul_f64 v[12:13], v[12:13], 0.5
	v_fma_f64 v[16:17], -v[12:13], v[14:15], 0.5
	v_fmac_f64_e32 v[14:15], v[14:15], v[16:17]
	v_fmac_f64_e32 v[12:13], v[12:13], v[16:17]
	v_fma_f64 v[16:17], -v[14:15], v[14:15], v[8:9]
	v_fmac_f64_e32 v[14:15], v[16:17], v[12:13]
	v_fma_f64 v[16:17], -v[14:15], v[14:15], v[8:9]
	v_fmac_f64_e32 v[14:15], v[16:17], v[12:13]
	v_ldexp_f64 v[12:13], v[14:15], s2
	v_cndmask_b32_e32 v9, v13, v9, vcc
	v_cndmask_b32_e32 v8, v12, v8, vcc
	s_waitcnt vmcnt(0)
	v_add_f64 v[10:11], v[10:11], -v[6:7]
	v_add_f64 v[12:13], v[8:9], v[8:9]
	v_div_scale_f64 v[14:15], s[2:3], v[12:13], v[12:13], v[10:11]
	v_rcp_f64_e32 v[16:17], v[14:15]
	v_div_scale_f64 v[18:19], vcc, v[10:11], v[12:13], v[10:11]
	v_fma_f64 v[20:21], -v[14:15], v[16:17], 1.0
	v_fmac_f64_e32 v[16:17], v[16:17], v[20:21]
	v_fma_f64 v[20:21], -v[14:15], v[16:17], 1.0
	v_fmac_f64_e32 v[16:17], v[16:17], v[20:21]
	v_mul_f64 v[20:21], v[18:19], v[16:17]
	v_fma_f64 v[14:15], -v[14:15], v[20:21], v[18:19]
	v_div_fmas_f64 v[14:15], v[14:15], v[16:17], v[20:21]
	v_div_fixup_f64 v[10:11], v[14:15], v[12:13], v[10:11]
	v_fma_f64 v[12:13], v[10:11], v[10:11], 1.0
	v_cmp_gt_f64_e32 vcc, s[24:25], v[12:13]
	s_and_b64 s[2:3], vcc, exec
	s_cselect_b32 s35, 0xffffff80, 0
	s_ashr_i32 s39, s38, 31
	s_lshl_b64 s[2:3], s[38:39], 3
	s_add_u32 s44, s56, s2
	s_addc_u32 s45, s57, s3
	global_load_dwordx2 v[14:15], v2, s[44:45]
	v_cndmask_b32_e64 v3, 0, 1, vcc
	v_lshlrev_b32_e32 v3, 8, v3
	v_ldexp_f64 v[12:13], v[12:13], v3
	v_rsq_f64_e32 v[16:17], v[12:13]
	v_cmp_class_f64_e32 vcc, v[12:13], v24
	s_cmp_ge_i32 s38, s34
	v_mul_f64 v[18:19], v[12:13], v[16:17]
	v_mul_f64 v[16:17], v[16:17], 0.5
	v_fma_f64 v[20:21], -v[16:17], v[18:19], 0.5
	v_fmac_f64_e32 v[18:19], v[18:19], v[20:21]
	v_fmac_f64_e32 v[16:17], v[16:17], v[20:21]
	v_fma_f64 v[20:21], -v[18:19], v[18:19], v[12:13]
	v_fmac_f64_e32 v[18:19], v[20:21], v[16:17]
	v_fma_f64 v[20:21], -v[18:19], v[18:19], v[12:13]
	v_fmac_f64_e32 v[18:19], v[20:21], v[16:17]
	v_ldexp_f64 v[16:17], v[18:19], s35
	v_cndmask_b32_e32 v3, v17, v13, vcc
	v_cndmask_b32_e32 v12, v16, v12, vcc
	v_and_b32_e32 v13, 0x7fffffff, v3
	v_or_b32_e32 v3, 0x80000000, v3
	v_cmp_nle_f64_e32 vcc, 0, v[10:11]
	v_cndmask_b32_e32 v13, v13, v3, vcc
	v_add_f64 v[10:11], v[10:11], v[12:13]
	v_div_scale_f64 v[12:13], s[46:47], v[10:11], v[10:11], v[8:9]
	v_rcp_f64_e32 v[16:17], v[12:13]
	v_div_scale_f64 v[18:19], vcc, v[8:9], v[10:11], v[8:9]
	v_fma_f64 v[20:21], -v[12:13], v[16:17], 1.0
	v_fmac_f64_e32 v[16:17], v[16:17], v[20:21]
	v_fma_f64 v[20:21], -v[12:13], v[16:17], 1.0
	v_fmac_f64_e32 v[16:17], v[16:17], v[20:21]
	v_mul_f64 v[20:21], v[18:19], v[16:17]
	v_fma_f64 v[12:13], -v[12:13], v[20:21], v[18:19]
	v_div_fmas_f64 v[12:13], v[12:13], v[16:17], v[20:21]
	v_div_fixup_f64 v[8:9], v[12:13], v[10:11], v[8:9]
	v_add_f64 v[8:9], v[6:7], -v[8:9]
	v_pk_mov_b32 v[12:13], 0, 0
	s_waitcnt vmcnt(0)
	v_add_f64 v[14:15], v[14:15], -v[8:9]
	v_mul_f64 v[16:17], v[14:15], v[14:15]
	s_cbranch_scc1 .LBB81_122
; %bb.107:                              ;   in Loop: Header=BB81_97 Depth=2
	s_add_u32 s2, s14, s2
	s_addc_u32 s3, s15, s3
	global_load_dwordx2 v[10:11], v2, s[2:3]
	global_load_dwordx2 v[20:21], v2, s[44:45] offset:8
	s_waitcnt vmcnt(1)
	v_add_f64 v[12:13], v[16:17], v[10:11]
	v_div_scale_f64 v[22:23], s[2:3], v[12:13], v[12:13], v[16:17]
	v_div_scale_f64 v[28:29], s[2:3], v[12:13], v[12:13], v[10:11]
	v_rcp_f64_e32 v[30:31], v[22:23]
	v_rcp_f64_e32 v[32:33], v[28:29]
	v_div_scale_f64 v[26:27], vcc, v[16:17], v[12:13], v[16:17]
	v_fma_f64 v[36:37], -v[22:23], v[30:31], 1.0
	v_fma_f64 v[38:39], -v[28:29], v[32:33], 1.0
	v_fmac_f64_e32 v[30:31], v[30:31], v[36:37]
	v_fmac_f64_e32 v[32:33], v[32:33], v[38:39]
	v_fma_f64 v[36:37], -v[22:23], v[30:31], 1.0
	v_fma_f64 v[38:39], -v[28:29], v[32:33], 1.0
	v_fmac_f64_e32 v[30:31], v[30:31], v[36:37]
	v_div_scale_f64 v[34:35], s[2:3], v[10:11], v[12:13], v[10:11]
	v_fmac_f64_e32 v[32:33], v[32:33], v[38:39]
	v_mul_f64 v[36:37], v[26:27], v[30:31]
	v_mul_f64 v[38:39], v[34:35], v[32:33]
	v_fma_f64 v[22:23], -v[22:23], v[36:37], v[26:27]
	v_fma_f64 v[26:27], -v[28:29], v[38:39], v[34:35]
	v_div_fmas_f64 v[22:23], v[22:23], v[30:31], v[36:37]
	s_mov_b64 vcc, s[2:3]
	v_div_fixup_f64 v[16:17], v[22:23], v[12:13], v[16:17]
	v_div_fmas_f64 v[22:23], v[26:27], v[32:33], v[38:39]
	v_div_fixup_f64 v[12:13], v[22:23], v[12:13], v[10:11]
	s_waitcnt vmcnt(0)
	v_add_f64 v[18:19], v[20:21], -v[8:9]
	v_mul_f64 v[22:23], v[14:15], v[12:13]
	v_fma_f64 v[18:19], v[16:17], v[18:19], -v[22:23]
	v_cmp_eq_f64_e32 vcc, 0, v[16:17]
	v_add_f64 v[20:21], v[20:21], -v[18:19]
	v_add_f64 v[14:15], v[14:15], v[20:21]
	global_store_dwordx2 v2, v[14:15], s[44:45]
	s_cbranch_vccnz .LBB81_109
; %bb.108:                              ;   in Loop: Header=BB81_97 Depth=2
	v_mul_f64 v[10:11], v[18:19], v[18:19]
	v_div_scale_f64 v[14:15], s[2:3], v[16:17], v[16:17], v[10:11]
	v_rcp_f64_e32 v[20:21], v[14:15]
	v_div_scale_f64 v[22:23], vcc, v[10:11], v[16:17], v[10:11]
	v_fma_f64 v[26:27], -v[14:15], v[20:21], 1.0
	v_fmac_f64_e32 v[20:21], v[20:21], v[26:27]
	v_fma_f64 v[26:27], -v[14:15], v[20:21], 1.0
	v_fmac_f64_e32 v[20:21], v[20:21], v[26:27]
	v_mul_f64 v[26:27], v[22:23], v[20:21]
	v_fma_f64 v[14:15], -v[14:15], v[26:27], v[22:23]
	v_div_fmas_f64 v[14:15], v[14:15], v[20:21], v[26:27]
	v_div_fixup_f64 v[10:11], v[14:15], v[16:17], v[10:11]
.LBB81_109:                             ;   in Loop: Header=BB81_97 Depth=2
	s_add_i32 s2, s38, 1
	s_cmp_ge_i32 s2, s34
	s_cbranch_scc1 .LBB81_120
; %bb.110:                              ;   in Loop: Header=BB81_97 Depth=2
	s_ashr_i32 s3, s2, 31
	s_lshl_b64 s[2:3], s[2:3], 3
	s_add_u32 s44, s64, s2
	s_addc_u32 s45, s65, s3
	s_add_u32 s46, s70, s2
	s_addc_u32 s47, s71, s3
	s_mov_b32 s35, 1
	global_load_dwordx2 v[20:21], v2, s[44:45]
	s_cmp_eq_u32 s35, 0
	s_waitcnt vmcnt(0)
	v_add_f64 v[14:15], v[10:11], v[20:21]
	s_cbranch_scc1 .LBB81_112
.LBB81_111:                             ;   in Loop: Header=BB81_97 Depth=2
	v_mul_f64 v[12:13], v[12:13], v[14:15]
	global_store_dwordx2 v2, v[12:13], s[44:45] offset:-8
.LBB81_112:                             ;   Parent Loop BB81_4 Depth=1
                                        ;     Parent Loop BB81_97 Depth=2
                                        ; =>    This Inner Loop Header: Depth=3
	global_load_dwordx2 v[26:27], v2, s[46:47]
	v_div_scale_f64 v[12:13], s[2:3], v[14:15], v[14:15], v[10:11]
	v_div_scale_f64 v[28:29], s[2:3], v[14:15], v[14:15], v[20:21]
	v_rcp_f64_e32 v[30:31], v[12:13]
	v_rcp_f64_e32 v[32:33], v[28:29]
	v_div_scale_f64 v[22:23], vcc, v[10:11], v[14:15], v[10:11]
	v_fma_f64 v[36:37], -v[12:13], v[30:31], 1.0
	v_fma_f64 v[38:39], -v[28:29], v[32:33], 1.0
	v_fmac_f64_e32 v[30:31], v[30:31], v[36:37]
	v_fmac_f64_e32 v[32:33], v[32:33], v[38:39]
	v_fma_f64 v[36:37], -v[12:13], v[30:31], 1.0
	v_fma_f64 v[38:39], -v[28:29], v[32:33], 1.0
	v_fmac_f64_e32 v[30:31], v[30:31], v[36:37]
	v_div_scale_f64 v[34:35], s[2:3], v[20:21], v[14:15], v[20:21]
	v_fmac_f64_e32 v[32:33], v[32:33], v[38:39]
	v_mul_f64 v[36:37], v[22:23], v[30:31]
	v_mul_f64 v[38:39], v[34:35], v[32:33]
	v_fma_f64 v[12:13], -v[12:13], v[36:37], v[22:23]
	v_fma_f64 v[28:29], -v[28:29], v[38:39], v[34:35]
	v_div_fmas_f64 v[12:13], v[12:13], v[30:31], v[36:37]
	s_mov_b64 vcc, s[2:3]
	v_div_fixup_f64 v[22:23], v[12:13], v[14:15], v[10:11]
	v_div_fmas_f64 v[10:11], v[28:29], v[32:33], v[38:39]
	v_div_fixup_f64 v[12:13], v[10:11], v[14:15], v[20:21]
	v_mul_f64 v[10:11], v[18:19], v[12:13]
	v_cmp_eq_f64_e32 vcc, 0, v[22:23]
	s_and_b64 vcc, exec, vcc
	s_waitcnt vmcnt(0)
	v_add_f64 v[14:15], v[26:27], -v[8:9]
	v_fma_f64 v[14:15], v[22:23], v[14:15], -v[10:11]
	v_add_f64 v[10:11], v[26:27], -v[14:15]
	v_add_f64 v[10:11], v[18:19], v[10:11]
	global_store_dwordx2 v2, v[10:11], s[46:47] offset:-8
	s_cbranch_vccz .LBB81_117
; %bb.113:                              ;   in Loop: Header=BB81_112 Depth=3
	v_mul_f64 v[10:11], v[16:17], v[20:21]
	s_cbranch_execnz .LBB81_115
.LBB81_114:                             ;   in Loop: Header=BB81_112 Depth=3
	v_mul_f64 v[10:11], v[14:15], v[14:15]
	v_div_scale_f64 v[16:17], s[2:3], v[22:23], v[22:23], v[10:11]
	v_rcp_f64_e32 v[18:19], v[16:17]
	v_div_scale_f64 v[20:21], vcc, v[10:11], v[22:23], v[10:11]
	v_fma_f64 v[26:27], -v[16:17], v[18:19], 1.0
	v_fmac_f64_e32 v[18:19], v[18:19], v[26:27]
	v_fma_f64 v[26:27], -v[16:17], v[18:19], 1.0
	v_fmac_f64_e32 v[18:19], v[18:19], v[26:27]
	v_mul_f64 v[26:27], v[20:21], v[18:19]
	v_fma_f64 v[16:17], -v[16:17], v[26:27], v[20:21]
	v_div_fmas_f64 v[16:17], v[16:17], v[18:19], v[26:27]
	v_div_fixup_f64 v[10:11], v[16:17], v[22:23], v[10:11]
.LBB81_115:                             ;   in Loop: Header=BB81_112 Depth=3
	s_add_i32 s35, s35, 1
	s_add_i32 s2, s38, s35
	s_add_u32 s44, s44, 8
	s_addc_u32 s45, s45, 0
	s_add_u32 s46, s46, 8
	s_addc_u32 s47, s47, 0
	s_cmp_ge_i32 s2, s34
	s_cbranch_scc1 .LBB81_121
; %bb.116:                              ;   in Loop: Header=BB81_112 Depth=3
	v_pk_mov_b32 v[16:17], v[22:23], v[22:23] op_sel:[0,1]
	v_pk_mov_b32 v[18:19], v[14:15], v[14:15] op_sel:[0,1]
	global_load_dwordx2 v[20:21], v2, s[44:45]
	s_cmp_eq_u32 s35, 0
	s_waitcnt vmcnt(0)
	v_add_f64 v[14:15], v[10:11], v[20:21]
	s_cbranch_scc0 .LBB81_111
	s_branch .LBB81_112
.LBB81_117:                             ;   in Loop: Header=BB81_112 Depth=3
                                        ; implicit-def: $vgpr10_vgpr11
	s_branch .LBB81_114
.LBB81_118:                             ;   in Loop: Header=BB81_97 Depth=2
                                        ; implicit-def: $sgpr2
	s_cbranch_execz .LBB81_96
	s_branch .LBB81_142
.LBB81_119:                             ;   in Loop: Header=BB81_97 Depth=2
	s_mov_b64 s[42:43], 0
                                        ; implicit-def: $sgpr2
                                        ; implicit-def: $sgpr35
                                        ; implicit-def: $sgpr39
	s_cbranch_execnz .LBB81_124
	s_branch .LBB81_141
.LBB81_120:                             ;   in Loop: Header=BB81_97 Depth=2
	v_pk_mov_b32 v[14:15], v[18:19], v[18:19] op_sel:[0,1]
.LBB81_121:                             ;   in Loop: Header=BB81_97 Depth=2
	v_pk_mov_b32 v[16:17], v[10:11], v[10:11] op_sel:[0,1]
.LBB81_122:                             ;   in Loop: Header=BB81_97 Depth=2
	v_mul_f64 v[10:11], v[16:17], v[12:13]
	v_add_f64 v[8:9], v[8:9], v[14:15]
	s_add_i32 s39, s75, 1
	global_store_dwordx2 v2, v[10:11], s[42:43]
	global_store_dwordx2 v2, v[8:9], s[36:37]
	s_mov_b64 s[42:43], -1
.LBB81_123:                             ;   in Loop: Header=BB81_97 Depth=2
	s_mov_b32 s2, s58
	s_mov_b32 s35, s34
	s_and_b64 vcc, exec, s[40:41]
	s_cbranch_vccz .LBB81_141
.LBB81_124:                             ;   in Loop: Header=BB81_97 Depth=2
	s_ashr_i32 s39, s38, 31
	s_lshl_b64 s[38:39], s[38:39], 3
	s_add_u32 s2, s14, s38
	s_addc_u32 s3, s15, s39
	global_load_dwordx2 v[8:9], v2, s[2:3]
	s_waitcnt vmcnt(0)
	v_cmp_gt_f64_e32 vcc, s[24:25], v[8:9]
	s_and_b64 s[40:41], vcc, exec
	s_cselect_b32 s35, 0xffffff80, 0
	s_add_u32 s38, s56, s38
	s_addc_u32 s39, s57, s39
	global_load_dwordx2 v[10:11], v2, s[38:39]
	v_cndmask_b32_e64 v3, 0, 1, vcc
	v_lshlrev_b32_e32 v3, 8, v3
	v_ldexp_f64 v[8:9], v[8:9], v3
	v_rsq_f64_e32 v[12:13], v[8:9]
	v_cmp_class_f64_e32 vcc, v[8:9], v24
	v_mul_f64 v[14:15], v[8:9], v[12:13]
	v_mul_f64 v[12:13], v[12:13], 0.5
	v_fma_f64 v[16:17], -v[12:13], v[14:15], 0.5
	v_fmac_f64_e32 v[14:15], v[14:15], v[16:17]
	v_fmac_f64_e32 v[12:13], v[12:13], v[16:17]
	v_fma_f64 v[16:17], -v[14:15], v[14:15], v[8:9]
	v_fmac_f64_e32 v[14:15], v[16:17], v[12:13]
	v_fma_f64 v[16:17], -v[14:15], v[14:15], v[8:9]
	v_fmac_f64_e32 v[14:15], v[16:17], v[12:13]
	v_ldexp_f64 v[12:13], v[14:15], s35
	v_cndmask_b32_e32 v9, v13, v9, vcc
	v_cndmask_b32_e32 v8, v12, v8, vcc
	v_add_f64 v[16:17], v[8:9], v[8:9]
	s_waitcnt vmcnt(0)
	v_add_f64 v[14:15], v[6:7], -v[10:11]
	v_cmp_ngt_f64_e64 s[40:41], |v[14:15]|, |v[16:17]|
	s_and_b64 vcc, exec, s[40:41]
	s_cbranch_vccz .LBB81_127
; %bb.125:                              ;   in Loop: Header=BB81_97 Depth=2
	v_cmp_nlt_f64_e64 s[40:41], |v[14:15]|, |v[16:17]|
	s_and_b64 vcc, exec, s[40:41]
	s_cbranch_vccz .LBB81_128
; %bb.126:                              ;   in Loop: Header=BB81_97 Depth=2
	v_mul_f64 v[12:13], |v[16:17]|, s[26:27]
	s_cbranch_execz .LBB81_129
	s_branch .LBB81_130
.LBB81_127:                             ;   in Loop: Header=BB81_97 Depth=2
                                        ; implicit-def: $vgpr12_vgpr13
	s_branch .LBB81_131
.LBB81_128:                             ;   in Loop: Header=BB81_97 Depth=2
                                        ; implicit-def: $vgpr12_vgpr13
.LBB81_129:                             ;   in Loop: Header=BB81_97 Depth=2
	v_and_b32_e32 v13, 0x7fffffff, v15
	v_mov_b32_e32 v12, v14
	v_and_b32_e32 v19, 0x7fffffff, v17
	v_mov_b32_e32 v18, v16
	v_div_scale_f64 v[20:21], s[40:41], v[18:19], v[18:19], v[12:13]
	v_rcp_f64_e32 v[22:23], v[20:21]
	v_div_scale_f64 v[12:13], vcc, v[12:13], v[18:19], v[12:13]
	v_fma_f64 v[26:27], -v[20:21], v[22:23], 1.0
	v_fmac_f64_e32 v[22:23], v[22:23], v[26:27]
	v_fma_f64 v[26:27], -v[20:21], v[22:23], 1.0
	v_fmac_f64_e32 v[22:23], v[22:23], v[26:27]
	v_mul_f64 v[18:19], v[12:13], v[22:23]
	v_fma_f64 v[12:13], -v[20:21], v[18:19], v[12:13]
	v_div_fmas_f64 v[12:13], v[12:13], v[22:23], v[18:19]
	v_div_fixup_f64 v[12:13], v[12:13], |v[16:17]|, |v[14:15]|
	v_fma_f64 v[12:13], v[12:13], v[12:13], 1.0
	v_cmp_gt_f64_e32 vcc, s[24:25], v[12:13]
	v_cndmask_b32_e64 v3, 0, 1, vcc
	v_lshlrev_b32_e32 v3, 8, v3
	v_ldexp_f64 v[12:13], v[12:13], v3
	v_rsq_f64_e32 v[18:19], v[12:13]
	s_and_b64 s[40:41], vcc, exec
	s_cselect_b32 s35, 0xffffff80, 0
	v_cmp_class_f64_e32 vcc, v[12:13], v24
	v_mul_f64 v[20:21], v[12:13], v[18:19]
	v_mul_f64 v[18:19], v[18:19], 0.5
	v_fma_f64 v[22:23], -v[18:19], v[20:21], 0.5
	v_fmac_f64_e32 v[20:21], v[20:21], v[22:23]
	v_fma_f64 v[26:27], -v[20:21], v[20:21], v[12:13]
	v_fmac_f64_e32 v[18:19], v[18:19], v[22:23]
	v_fmac_f64_e32 v[20:21], v[26:27], v[18:19]
	v_fma_f64 v[22:23], -v[20:21], v[20:21], v[12:13]
	v_fmac_f64_e32 v[20:21], v[22:23], v[18:19]
	v_ldexp_f64 v[18:19], v[20:21], s35
	v_cndmask_b32_e32 v13, v19, v13, vcc
	v_cndmask_b32_e32 v12, v18, v12, vcc
	v_mul_f64 v[12:13], |v[16:17]|, v[12:13]
.LBB81_130:                             ;   in Loop: Header=BB81_97 Depth=2
	s_cbranch_execnz .LBB81_132
.LBB81_131:                             ;   in Loop: Header=BB81_97 Depth=2
	v_and_b32_e32 v13, 0x7fffffff, v17
	v_mov_b32_e32 v12, v16
	v_and_b32_e32 v19, 0x7fffffff, v15
	v_mov_b32_e32 v18, v14
	v_div_scale_f64 v[20:21], s[40:41], v[18:19], v[18:19], v[12:13]
	v_rcp_f64_e32 v[22:23], v[20:21]
	v_div_scale_f64 v[12:13], vcc, v[12:13], v[18:19], v[12:13]
	v_fma_f64 v[26:27], -v[20:21], v[22:23], 1.0
	v_fmac_f64_e32 v[22:23], v[22:23], v[26:27]
	v_fma_f64 v[26:27], -v[20:21], v[22:23], 1.0
	v_fmac_f64_e32 v[22:23], v[22:23], v[26:27]
	v_mul_f64 v[18:19], v[12:13], v[22:23]
	v_fma_f64 v[12:13], -v[20:21], v[18:19], v[12:13]
	v_div_fmas_f64 v[12:13], v[12:13], v[22:23], v[18:19]
	v_div_fixup_f64 v[12:13], v[12:13], |v[14:15]|, |v[16:17]|
	v_fma_f64 v[12:13], v[12:13], v[12:13], 1.0
	v_cmp_gt_f64_e32 vcc, s[24:25], v[12:13]
	v_cndmask_b32_e64 v3, 0, 1, vcc
	v_lshlrev_b32_e32 v3, 8, v3
	v_ldexp_f64 v[12:13], v[12:13], v3
	v_rsq_f64_e32 v[16:17], v[12:13]
	s_and_b64 s[40:41], vcc, exec
	s_cselect_b32 s35, 0xffffff80, 0
	v_cmp_class_f64_e32 vcc, v[12:13], v24
	v_mul_f64 v[18:19], v[12:13], v[16:17]
	v_mul_f64 v[16:17], v[16:17], 0.5
	v_fma_f64 v[20:21], -v[16:17], v[18:19], 0.5
	v_fmac_f64_e32 v[18:19], v[18:19], v[20:21]
	v_fma_f64 v[22:23], -v[18:19], v[18:19], v[12:13]
	v_fmac_f64_e32 v[16:17], v[16:17], v[20:21]
	v_fmac_f64_e32 v[18:19], v[22:23], v[16:17]
	v_fma_f64 v[20:21], -v[18:19], v[18:19], v[12:13]
	v_fmac_f64_e32 v[18:19], v[20:21], v[16:17]
	v_ldexp_f64 v[16:17], v[18:19], s35
	v_cndmask_b32_e32 v13, v17, v13, vcc
	v_cndmask_b32_e32 v12, v16, v12, vcc
	v_mul_f64 v[12:13], |v[14:15]|, v[12:13]
.LBB81_132:                             ;   in Loop: Header=BB81_97 Depth=2
	v_add_f64 v[16:17], v[6:7], v[10:11]
	v_cmp_gt_f64_e64 vcc, |v[6:7]|, |v[10:11]|
	v_cndmask_b32_e32 v15, v7, v11, vcc
	v_cndmask_b32_e32 v14, v6, v10, vcc
	;; [unrolled: 1-line block ×4, first 2 shown]
	v_cmp_ngt_f64_e32 vcc, 0, v[16:17]
	s_cbranch_vccz .LBB81_135
; %bb.133:                              ;   in Loop: Header=BB81_97 Depth=2
	v_cmp_nlt_f64_e32 vcc, 0, v[16:17]
	s_cbranch_vccz .LBB81_136
; %bb.134:                              ;   in Loop: Header=BB81_97 Depth=2
	v_mul_f64 v[10:11], v[12:13], 0.5
	v_mul_f64 v[18:19], v[12:13], -0.5
	s_cbranch_execz .LBB81_137
	s_branch .LBB81_138
.LBB81_135:                             ;   in Loop: Header=BB81_97 Depth=2
                                        ; implicit-def: $vgpr18_vgpr19
                                        ; implicit-def: $vgpr10_vgpr11
	s_branch .LBB81_139
.LBB81_136:                             ;   in Loop: Header=BB81_97 Depth=2
                                        ; implicit-def: $vgpr18_vgpr19
                                        ; implicit-def: $vgpr10_vgpr11
.LBB81_137:                             ;   in Loop: Header=BB81_97 Depth=2
	v_add_f64 v[10:11], v[16:17], v[12:13]
	v_mul_f64 v[10:11], v[10:11], 0.5
	v_div_scale_f64 v[18:19], s[40:41], v[10:11], v[10:11], v[6:7]
	v_rcp_f64_e32 v[20:21], v[18:19]
	v_div_scale_f64 v[22:23], vcc, v[6:7], v[10:11], v[6:7]
	v_fma_f64 v[26:27], -v[18:19], v[20:21], 1.0
	v_fmac_f64_e32 v[20:21], v[20:21], v[26:27]
	v_fma_f64 v[26:27], -v[18:19], v[20:21], 1.0
	v_fmac_f64_e32 v[20:21], v[20:21], v[26:27]
	v_mul_f64 v[26:27], v[22:23], v[20:21]
	v_fma_f64 v[18:19], -v[18:19], v[26:27], v[22:23]
	v_div_scale_f64 v[22:23], s[40:41], v[10:11], v[10:11], v[8:9]
	v_rcp_f64_e32 v[28:29], v[22:23]
	v_div_fmas_f64 v[18:19], v[18:19], v[20:21], v[26:27]
	v_div_fixup_f64 v[18:19], v[18:19], v[10:11], v[6:7]
	v_fma_f64 v[20:21], -v[22:23], v[28:29], 1.0
	v_fmac_f64_e32 v[28:29], v[28:29], v[20:21]
	v_fma_f64 v[20:21], -v[22:23], v[28:29], 1.0
	v_fmac_f64_e32 v[28:29], v[28:29], v[20:21]
	v_div_scale_f64 v[20:21], vcc, v[8:9], v[10:11], v[8:9]
	v_mul_f64 v[26:27], v[20:21], v[28:29]
	v_fma_f64 v[20:21], -v[22:23], v[26:27], v[20:21]
	s_nop 1
	v_div_fmas_f64 v[20:21], v[20:21], v[28:29], v[26:27]
	v_div_fixup_f64 v[20:21], v[20:21], v[10:11], v[8:9]
	v_mul_f64 v[20:21], v[8:9], v[20:21]
	v_fma_f64 v[18:19], v[14:15], v[18:19], -v[20:21]
.LBB81_138:                             ;   in Loop: Header=BB81_97 Depth=2
	s_cbranch_execnz .LBB81_140
.LBB81_139:                             ;   in Loop: Header=BB81_97 Depth=2
	v_add_f64 v[10:11], v[16:17], -v[12:13]
	v_mul_f64 v[10:11], v[10:11], 0.5
	v_div_scale_f64 v[12:13], s[40:41], v[10:11], v[10:11], v[6:7]
	v_rcp_f64_e32 v[16:17], v[12:13]
	v_div_scale_f64 v[18:19], vcc, v[6:7], v[10:11], v[6:7]
	v_fma_f64 v[20:21], -v[12:13], v[16:17], 1.0
	v_fmac_f64_e32 v[16:17], v[16:17], v[20:21]
	v_fma_f64 v[20:21], -v[12:13], v[16:17], 1.0
	v_fmac_f64_e32 v[16:17], v[16:17], v[20:21]
	v_mul_f64 v[20:21], v[18:19], v[16:17]
	v_fma_f64 v[12:13], -v[12:13], v[20:21], v[18:19]
	v_div_scale_f64 v[18:19], s[40:41], v[10:11], v[10:11], v[8:9]
	v_rcp_f64_e32 v[22:23], v[18:19]
	v_div_fmas_f64 v[12:13], v[12:13], v[16:17], v[20:21]
	v_div_fixup_f64 v[6:7], v[12:13], v[10:11], v[6:7]
	v_fma_f64 v[12:13], -v[18:19], v[22:23], 1.0
	v_fmac_f64_e32 v[22:23], v[22:23], v[12:13]
	v_fma_f64 v[12:13], -v[18:19], v[22:23], 1.0
	v_fmac_f64_e32 v[22:23], v[22:23], v[12:13]
	v_div_scale_f64 v[12:13], vcc, v[8:9], v[10:11], v[8:9]
	v_mul_f64 v[16:17], v[12:13], v[22:23]
	v_fma_f64 v[12:13], -v[18:19], v[16:17], v[12:13]
	s_nop 1
	v_div_fmas_f64 v[12:13], v[12:13], v[22:23], v[16:17]
	v_div_fixup_f64 v[12:13], v[12:13], v[10:11], v[8:9]
	v_mul_f64 v[8:9], v[8:9], v[12:13]
	v_fma_f64 v[18:19], v[14:15], v[6:7], -v[8:9]
.LBB81_140:                             ;   in Loop: Header=BB81_97 Depth=2
	global_store_dwordx2 v2, v[10:11], s[36:37]
	global_store_dwordx2 v2, v[18:19], s[38:39]
	v_mov_b32_e32 v3, v2
	s_add_i32 s35, s34, -2
	s_mov_b64 s[42:43], -1
	s_mov_b32 s39, s75
	global_store_dwordx2 v2, v[2:3], s[2:3]
                                        ; implicit-def: $sgpr2
.LBB81_141:                             ;   in Loop: Header=BB81_97 Depth=2
	s_mov_b32 s75, s39
	s_and_b64 vcc, exec, s[42:43]
	s_cbranch_vccz .LBB81_96
.LBB81_142:                             ;   in Loop: Header=BB81_97 Depth=2
	s_cmp_lt_i32 s35, s77
	s_cselect_b64 s[2:3], -1, 0
	s_cmp_ge_i32 s75, s58
	s_cselect_b64 s[8:9], -1, 0
	s_or_b64 s[8:9], s[2:3], s[8:9]
	s_mov_b32 s2, s75
	s_branch .LBB81_96
.LBB81_143:                             ;   in Loop: Header=BB81_4 Depth=1
	s_mov_b32 s75, s2
.LBB81_144:                             ;   in Loop: Header=BB81_4 Depth=1
	s_mov_b32 s37, s75
	v_cmp_lt_f64_e32 vcc, s[18:19], v[4:5]
	s_andn2_b64 vcc, exec, vcc
	s_cbranch_vccnz .LBB81_148
.LBB81_145:                             ;   in Loop: Header=BB81_4 Depth=1
	global_load_dwordx2 v[8:9], v2, s[30:31]
	s_waitcnt vmcnt(1)
	v_div_scale_f64 v[6:7], s[2:3], v[4:5], v[4:5], s[18:19]
	v_rcp_f64_e32 v[10:11], v[6:7]
	v_div_scale_f64 v[12:13], vcc, s[18:19], v[4:5], s[18:19]
	v_fma_f64 v[14:15], -v[6:7], v[10:11], 1.0
	v_fmac_f64_e32 v[10:11], v[10:11], v[14:15]
	v_fma_f64 v[14:15], -v[6:7], v[10:11], 1.0
	v_fmac_f64_e32 v[10:11], v[10:11], v[14:15]
	v_mul_f64 v[14:15], v[12:13], v[10:11]
	v_fma_f64 v[6:7], -v[6:7], v[14:15], v[12:13]
	v_div_fmas_f64 v[6:7], v[6:7], v[10:11], v[14:15]
	v_div_fixup_f64 v[6:7], v[6:7], v[4:5], s[18:19]
	s_and_b64 vcc, exec, s[0:1]
	s_waitcnt vmcnt(0)
	v_mul_f64 v[8:9], v[6:7], v[8:9]
	global_store_dwordx2 v2, v[8:9], s[30:31]
	s_cbranch_vccnz .LBB81_148
; %bb.146:                              ;   in Loop: Header=BB81_4 Depth=1
	s_add_u32 s2, s68, s28
	s_addc_u32 s3, s69, s29
	s_add_u32 s8, s64, s28
	s_addc_u32 s9, s65, s29
	s_mov_b32 s34, s76
.LBB81_147:                             ;   Parent Loop BB81_4 Depth=1
                                        ; =>  This Inner Loop Header: Depth=2
	global_load_dwordx2 v[8:9], v2, s[2:3]
	s_add_i32 s34, s34, 1
	s_waitcnt vmcnt(0)
	v_mul_f64 v[8:9], v[6:7], v[8:9]
	global_store_dwordx2 v2, v[8:9], s[2:3]
	global_load_dwordx2 v[8:9], v2, s[8:9]
	s_add_u32 s2, s2, 8
	s_addc_u32 s3, s3, 0
	s_waitcnt vmcnt(0)
	v_mul_f64 v[8:9], v[6:7], v[8:9]
	global_store_dwordx2 v2, v[8:9], s[8:9]
	s_add_u32 s8, s8, 8
	s_addc_u32 s9, s9, 0
	s_cmp_lt_i32 s34, s16
	s_cbranch_scc1 .LBB81_147
.LBB81_148:                             ;   in Loop: Header=BB81_4 Depth=1
	v_cmp_ngt_f64_e32 vcc, s[22:23], v[4:5]
	s_cbranch_vccnz .LBB81_2
; %bb.149:                              ;   in Loop: Header=BB81_4 Depth=1
	global_load_dwordx2 v[6:7], v2, s[30:31]
	v_div_scale_f64 v[8:9], s[2:3], v[4:5], v[4:5], s[22:23]
	v_rcp_f64_e32 v[10:11], v[8:9]
	v_div_scale_f64 v[12:13], vcc, s[22:23], v[4:5], s[22:23]
	v_fma_f64 v[14:15], -v[8:9], v[10:11], 1.0
	v_fmac_f64_e32 v[10:11], v[10:11], v[14:15]
	v_fma_f64 v[14:15], -v[8:9], v[10:11], 1.0
	v_fmac_f64_e32 v[10:11], v[10:11], v[14:15]
	v_mul_f64 v[14:15], v[12:13], v[10:11]
	v_fma_f64 v[8:9], -v[8:9], v[14:15], v[12:13]
	v_div_fmas_f64 v[8:9], v[8:9], v[10:11], v[14:15]
	v_div_fixup_f64 v[4:5], v[8:9], v[4:5], s[22:23]
	s_and_b64 vcc, exec, s[0:1]
	s_waitcnt vmcnt(0)
	v_mul_f64 v[6:7], v[4:5], v[6:7]
	global_store_dwordx2 v2, v[6:7], s[30:31]
	s_cbranch_vccnz .LBB81_2
; %bb.150:                              ;   in Loop: Header=BB81_4 Depth=1
	s_add_u32 s0, s68, s28
	s_addc_u32 s1, s69, s29
	s_add_u32 s2, s64, s28
	s_addc_u32 s3, s65, s29
.LBB81_151:                             ;   Parent Loop BB81_4 Depth=1
                                        ; =>  This Inner Loop Header: Depth=2
	global_load_dwordx2 v[6:7], v2, s[0:1]
	s_add_i32 s76, s76, 1
	s_waitcnt vmcnt(0)
	v_mul_f64 v[6:7], v[4:5], v[6:7]
	global_store_dwordx2 v2, v[6:7], s[0:1]
	global_load_dwordx2 v[6:7], v2, s[2:3]
	s_add_u32 s0, s0, 8
	s_addc_u32 s1, s1, 0
	s_waitcnt vmcnt(0)
	v_mul_f64 v[6:7], v[4:5], v[6:7]
	global_store_dwordx2 v2, v[6:7], s[2:3]
	s_add_u32 s2, s2, 8
	s_addc_u32 s3, s3, 0
	s_cmp_lt_i32 s76, s16
	s_cbranch_scc1 .LBB81_151
	s_branch .LBB81_2
.LBB81_152:
	s_cmp_lt_i32 s33, 2
	s_cbranch_scc1 .LBB81_163
; %bb.153:
	s_load_dwordx2 s[0:1], s[4:5], 0x28
	s_lshl_b64 s[4:5], s[6:7], 2
	s_mov_b32 s2, 1
	v_mov_b32_e32 v0, 0
	s_waitcnt lgkmcnt(0)
	s_add_u32 s0, s0, s4
	s_addc_u32 s1, s1, s5
	s_branch .LBB81_155
.LBB81_154:                             ;   in Loop: Header=BB81_155 Depth=1
	s_add_i32 s2, s2, 1
	s_add_u32 s14, s14, 8
	s_addc_u32 s15, s15, 0
	s_cmp_lg_u32 s33, s2
	s_cbranch_scc0 .LBB81_157
.LBB81_155:                             ; =>This Inner Loop Header: Depth=1
	global_load_dwordx2 v[2:3], v0, s[14:15]
	s_waitcnt vmcnt(0)
	v_cmp_eq_f64_e32 vcc, 0, v[2:3]
	s_cbranch_vccnz .LBB81_154
; %bb.156:                              ;   in Loop: Header=BB81_155 Depth=1
	global_load_dword v1, v0, s[0:1]
	s_waitcnt vmcnt(0)
	v_add_u32_e32 v1, 1, v1
	global_store_dword v0, v1, s[0:1]
	s_branch .LBB81_154
.LBB81_157:
	s_add_u32 s14, s56, -8
	s_addc_u32 s15, s57, -1
	s_add_u32 s0, s10, s12
	s_addc_u32 s1, s11, s13
	s_add_u32 s0, s0, 8
	s_addc_u32 s1, s1, 0
	s_mov_b32 s2, 1
	v_mov_b32_e32 v4, 0
	s_branch .LBB81_159
.LBB81_158:                             ;   in Loop: Header=BB81_159 Depth=1
	s_add_i32 s2, s2, 1
	s_add_u32 s0, s0, 8
	s_addc_u32 s1, s1, 0
	s_cmp_lg_u32 s2, s33
	s_cbranch_scc0 .LBB81_163
.LBB81_159:                             ; =>This Loop Header: Depth=1
                                        ;     Child Loop BB81_160 Depth 2
	s_ashr_i32 s3, s2, 31
	s_add_i32 s7, s2, -1
	s_lshl_b64 s[4:5], s[2:3], 3
	s_add_u32 s4, s14, s4
	s_addc_u32 s5, s15, s5
	global_load_dwordx2 v[0:1], v4, s[4:5]
	s_mov_b64 s[8:9], s[0:1]
	s_mov_b32 s3, s2
	s_mov_b32 s6, s7
	s_waitcnt vmcnt(0)
	v_pk_mov_b32 v[2:3], v[0:1], v[0:1] op_sel:[0,1]
.LBB81_160:                             ;   Parent Loop BB81_159 Depth=1
                                        ; =>  This Inner Loop Header: Depth=2
	global_load_dwordx2 v[6:7], v4, s[8:9]
	s_waitcnt vmcnt(0)
	v_cmp_lt_f64_e32 vcc, v[6:7], v[2:3]
	s_and_b64 s[10:11], vcc, exec
	s_cselect_b32 s6, s3, s6
	s_add_i32 s3, s3, 1
	s_add_u32 s8, s8, 8
	s_addc_u32 s9, s9, 0
	v_cndmask_b32_e32 v3, v3, v7, vcc
	s_cmp_ge_i32 s3, s33
	v_cndmask_b32_e32 v2, v2, v6, vcc
	s_cbranch_scc0 .LBB81_160
; %bb.161:                              ;   in Loop: Header=BB81_159 Depth=1
	s_cmp_lg_u32 s6, s7
	s_cbranch_scc0 .LBB81_158
; %bb.162:                              ;   in Loop: Header=BB81_159 Depth=1
	s_ashr_i32 s7, s6, 31
	s_lshl_b64 s[6:7], s[6:7], 3
	s_add_u32 s6, s56, s6
	s_addc_u32 s7, s57, s7
	global_store_dwordx2 v4, v[0:1], s[6:7]
	global_store_dwordx2 v4, v[2:3], s[4:5]
	s_branch .LBB81_158
.LBB81_163:
	s_endpgm
	.section	.rodata,"a",@progbits
	.p2align	6, 0x0
	.amdhsa_kernel _ZN9rocsolver6v33100L12sterf_kernelIdEEviPT_lS3_lPiS4_iS2_S2_S2_
		.amdhsa_group_segment_fixed_size 0
		.amdhsa_private_segment_fixed_size 0
		.amdhsa_kernarg_size 88
		.amdhsa_user_sgpr_count 6
		.amdhsa_user_sgpr_private_segment_buffer 1
		.amdhsa_user_sgpr_dispatch_ptr 0
		.amdhsa_user_sgpr_queue_ptr 0
		.amdhsa_user_sgpr_kernarg_segment_ptr 1
		.amdhsa_user_sgpr_dispatch_id 0
		.amdhsa_user_sgpr_flat_scratch_init 0
		.amdhsa_user_sgpr_kernarg_preload_length 0
		.amdhsa_user_sgpr_kernarg_preload_offset 0
		.amdhsa_user_sgpr_private_segment_size 0
		.amdhsa_uses_dynamic_stack 0
		.amdhsa_system_sgpr_private_segment_wavefront_offset 0
		.amdhsa_system_sgpr_workgroup_id_x 1
		.amdhsa_system_sgpr_workgroup_id_y 0
		.amdhsa_system_sgpr_workgroup_id_z 0
		.amdhsa_system_sgpr_workgroup_info 0
		.amdhsa_system_vgpr_workitem_id 0
		.amdhsa_next_free_vgpr 40
		.amdhsa_next_free_sgpr 78
		.amdhsa_accum_offset 40
		.amdhsa_reserve_vcc 1
		.amdhsa_reserve_flat_scratch 0
		.amdhsa_float_round_mode_32 0
		.amdhsa_float_round_mode_16_64 0
		.amdhsa_float_denorm_mode_32 3
		.amdhsa_float_denorm_mode_16_64 3
		.amdhsa_dx10_clamp 1
		.amdhsa_ieee_mode 1
		.amdhsa_fp16_overflow 0
		.amdhsa_tg_split 0
		.amdhsa_exception_fp_ieee_invalid_op 0
		.amdhsa_exception_fp_denorm_src 0
		.amdhsa_exception_fp_ieee_div_zero 0
		.amdhsa_exception_fp_ieee_overflow 0
		.amdhsa_exception_fp_ieee_underflow 0
		.amdhsa_exception_fp_ieee_inexact 0
		.amdhsa_exception_int_div_zero 0
	.end_amdhsa_kernel
	.section	.text._ZN9rocsolver6v33100L12sterf_kernelIdEEviPT_lS3_lPiS4_iS2_S2_S2_,"axG",@progbits,_ZN9rocsolver6v33100L12sterf_kernelIdEEviPT_lS3_lPiS4_iS2_S2_S2_,comdat
.Lfunc_end81:
	.size	_ZN9rocsolver6v33100L12sterf_kernelIdEEviPT_lS3_lPiS4_iS2_S2_S2_, .Lfunc_end81-_ZN9rocsolver6v33100L12sterf_kernelIdEEviPT_lS3_lPiS4_iS2_S2_S2_
                                        ; -- End function
	.section	.AMDGPU.csdata,"",@progbits
; Kernel info:
; codeLenInByte = 8404
; NumSgprs: 82
; NumVgprs: 40
; NumAgprs: 0
; TotalNumVgprs: 40
; ScratchSize: 0
; MemoryBound: 0
; FloatMode: 240
; IeeeMode: 1
; LDSByteSize: 0 bytes/workgroup (compile time only)
; SGPRBlocks: 10
; VGPRBlocks: 4
; NumSGPRsForWavesPerEU: 82
; NumVGPRsForWavesPerEU: 40
; AccumOffset: 40
; Occupancy: 8
; WaveLimiterHint : 0
; COMPUTE_PGM_RSRC2:SCRATCH_EN: 0
; COMPUTE_PGM_RSRC2:USER_SGPR: 6
; COMPUTE_PGM_RSRC2:TRAP_HANDLER: 0
; COMPUTE_PGM_RSRC2:TGID_X_EN: 1
; COMPUTE_PGM_RSRC2:TGID_Y_EN: 0
; COMPUTE_PGM_RSRC2:TGID_Z_EN: 0
; COMPUTE_PGM_RSRC2:TIDIG_COMP_CNT: 0
; COMPUTE_PGM_RSRC3_GFX90A:ACCUM_OFFSET: 9
; COMPUTE_PGM_RSRC3_GFX90A:TG_SPLIT: 0
	.section	.text._ZN9rocsolver6v33100L11lasr_kernelIddPdiEEv13rocblas_side_14rocblas_pivot_15rocblas_direct_T2_S6_PT0_lS8_lT1_lS6_lS6_,"axG",@progbits,_ZN9rocsolver6v33100L11lasr_kernelIddPdiEEv13rocblas_side_14rocblas_pivot_15rocblas_direct_T2_S6_PT0_lS8_lT1_lS6_lS6_,comdat
	.globl	_ZN9rocsolver6v33100L11lasr_kernelIddPdiEEv13rocblas_side_14rocblas_pivot_15rocblas_direct_T2_S6_PT0_lS8_lT1_lS6_lS6_ ; -- Begin function _ZN9rocsolver6v33100L11lasr_kernelIddPdiEEv13rocblas_side_14rocblas_pivot_15rocblas_direct_T2_S6_PT0_lS8_lT1_lS6_lS6_
	.p2align	8
	.type	_ZN9rocsolver6v33100L11lasr_kernelIddPdiEEv13rocblas_side_14rocblas_pivot_15rocblas_direct_T2_S6_PT0_lS8_lT1_lS6_lS6_,@function
_ZN9rocsolver6v33100L11lasr_kernelIddPdiEEv13rocblas_side_14rocblas_pivot_15rocblas_direct_T2_S6_PT0_lS8_lT1_lS6_lS6_: ; @_ZN9rocsolver6v33100L11lasr_kernelIddPdiEEv13rocblas_side_14rocblas_pivot_15rocblas_direct_T2_S6_PT0_lS8_lT1_lS6_lS6_
; %bb.0:
	s_load_dword s33, s[4:5], 0x58
	s_waitcnt lgkmcnt(0)
	s_cmp_ge_u32 s7, s33
	s_cbranch_scc1 .LBB82_98
; %bb.1:
	s_load_dwordx4 s[0:3], s[4:5], 0x38
	s_load_dword s20, s[4:5], 0x48
	s_load_dwordx2 s[22:23], s[4:5], 0x50
	s_load_dword s26, s[4:5], 0x60
	s_load_dwordx2 s[24:25], s[4:5], 0x68
	s_load_dwordx4 s[16:19], s[4:5], 0x0
	s_load_dword s86, s[4:5], 0x10
	s_load_dwordx8 s[8:15], s[4:5], 0x18
	s_waitcnt lgkmcnt(0)
	s_ashr_i32 s21, s20, 31
	s_and_b32 s5, s25, 0xffff
	s_mul_i32 s6, s6, s5
	s_lshl_b64 s[2:3], s[2:3], 3
	v_add_u32_e32 v0, s6, v0
	s_add_u32 s6, s0, s2
	s_addc_u32 s25, s1, s3
	s_cmpk_lg_i32 s16, 0x8d
	s_cselect_b64 s[38:39], -1, 0
	s_cmpk_lg_i32 s16, 0x8e
	s_cselect_b64 s[44:45], -1, 0
	;; [unrolled: 2-line block ×6, first 2 shown]
	s_or_b64 s[28:29], s[38:39], s[42:43]
	s_or_b64 s[16:17], s[28:29], s[52:53]
	s_xor_b64 s[16:17], s[16:17], -1
	s_ashr_i32 s27, s19, 31
	s_add_i32 s62, s19, -2
	s_cmpk_lg_i32 s18, 0xac
	s_cselect_b64 s[54:55], -1, 0
	s_or_b64 s[28:29], s[28:29], s[54:55]
	s_xor_b64 s[28:29], s[28:29], -1
	s_cmp_gt_i32 s19, 1
	s_cselect_b64 s[30:31], -1, 0
	s_or_b64 s[36:37], s[38:39], s[50:51]
	s_or_b64 s[40:41], s[38:39], s[48:49]
	;; [unrolled: 1-line block ×9, first 2 shown]
	s_xor_b64 s[34:35], s[34:35], -1
	s_xor_b64 s[36:37], s[36:37], -1
	;; [unrolled: 1-line block ×5, first 2 shown]
	s_add_i32 s18, s86, -1
	s_xor_b64 s[46:47], s[46:47], -1
                                        ; implicit-def: $vgpr37 : SGPR spill to VGPR lane
	s_add_i32 s68, s86, -2
	v_writelane_b32 v37, s46, 0
	s_cmp_gt_i32 s86, 1
	v_writelane_b32 v37, s47, 1
	s_cselect_b64 s[46:47], -1, 0
	s_or_b64 s[50:51], s[44:45], s[50:51]
	s_or_b64 s[56:57], s[50:51], s[52:53]
	s_xor_b64 s[56:57], s[56:57], -1
	v_writelane_b32 v37, s56, 2
	s_or_b64 s[50:51], s[50:51], s[54:55]
	v_writelane_b32 v37, s57, 3
	s_xor_b64 s[50:51], s[50:51], -1
	s_or_b64 s[44:45], s[44:45], s[48:49]
	v_writelane_b32 v37, s50, 4
	s_or_b64 s[48:49], s[44:45], s[52:53]
	v_writelane_b32 v37, s51, 5
	s_xor_b64 s[48:49], s[48:49], -1
	v_writelane_b32 v37, s48, 6
	v_cmp_le_i32_e32 vcc, s19, v0
	v_writelane_b32 v37, s49, 7
	s_or_b64 s[48:49], s[54:55], vcc
	s_or_b64 s[44:45], s[44:45], s[48:49]
	s_xor_b64 s[44:45], s[44:45], -1
	v_writelane_b32 v37, s44, 8
	s_mul_i32 s4, s26, s5
	v_writelane_b32 v37, s45, 9
	v_mad_i64_i32 v[2:3], s[44:45], s20, v0, 0
	s_mul_hi_i32 s45, s20, s4
	s_mul_i32 s44, s20, s4
	s_mov_b32 s63, 0
	s_add_i32 s56, s19, -1
	s_lshl_b64 s[58:59], s[22:23], 3
	s_ashr_i32 s5, s4, 31
	s_lshl_b64 s[60:61], s[44:45], 3
	s_lshl_b64 s[10:11], s[10:11], 3
	;; [unrolled: 1-line block ×4, first 2 shown]
	s_add_u32 s87, s8, s44
	s_addc_u32 s88, s9, s45
	s_add_u32 s89, s12, s44
	s_addc_u32 s90, s13, s45
	s_mov_b32 s57, s63
	s_add_u32 s26, s0, s44
	s_addc_u32 s48, s1, s45
	s_add_i32 s91, s19, 1
	s_lshl_b64 s[44:45], s[56:57], 3
	s_add_u32 s49, s0, s44
	v_lshlrev_b64 v[2:3], 3, v[2:3]
	s_addc_u32 s50, s1, s45
	s_mul_i32 s44, s21, s18
	s_mul_hi_u32 s45, s20, s18
	s_mul_i32 s62, s20, s18
	v_mov_b32_e32 v1, s3
	v_add_co_u32_e32 v4, vcc, s2, v2
	s_add_i32 s45, s45, s44
	s_mov_b32 s44, s62
	v_addc_co_u32_e32 v1, vcc, v3, v1, vcc
	s_lshl_b64 s[44:45], s[44:45], 3
	s_lshl_b64 s[64:65], s[20:21], 3
	;; [unrolled: 1-line block ×3, first 2 shown]
	s_add_u32 s5, s44, s2
	v_mov_b32_e32 v2, s1
	v_add_co_u32_e32 v20, vcc, s0, v4
	s_addc_u32 s44, s45, s3
	v_addc_co_u32_e32 v21, vcc, v2, v1, vcc
	s_mov_b32 s69, s63
	s_add_u32 s51, s0, s5
	v_add_co_u32_e32 v2, vcc, 8, v20
	s_addc_u32 s52, s1, s44
	s_lshl_b64 s[44:45], s[68:69], 3
	v_addc_co_u32_e32 v3, vcc, 0, v21, vcc
	s_add_u32 s5, s8, s44
	v_mov_b32_e32 v5, s48
	v_add_co_u32_e32 v22, vcc, s26, v4
	s_addc_u32 s57, s9, s45
	v_addc_co_u32_e32 v23, vcc, v5, v1, vcc
	s_add_u32 s92, s12, s44
	s_mul_i32 s21, s21, s68
	s_mul_hi_u32 s44, s20, s68
	v_add_co_u32_e32 v24, vcc, 8, v22
	s_addc_u32 s93, s13, s45
	s_add_i32 s45, s44, s21
	s_mul_i32 s44, s20, s68
	v_addc_co_u32_e32 v25, vcc, 0, v23, vcc
	s_lshl_b64 s[44:45], s[44:45], 3
	v_mov_b32_e32 v5, s50
	v_add_co_u32_e32 v26, vcc, s49, v4
	s_add_u32 s21, s44, s2
	v_addc_co_u32_e32 v27, vcc, v5, v1, vcc
	v_ashrrev_i32_e32 v1, 31, v0
	s_addc_u32 s44, s45, s3
	v_lshlrev_b64 v[4:5], 3, v[0:1]
	s_add_u32 s21, s0, s21
	v_mov_b32_e32 v6, s25
	v_add_co_u32_e32 v1, vcc, s6, v4
	s_addc_u32 s44, s1, s44
	v_addc_co_u32_e32 v28, vcc, v6, v5, vcc
	s_add_u32 s2, s2, s64
	v_mov_b32_e32 v6, s52
	v_add_co_u32_e32 v29, vcc, s51, v4
	s_addc_u32 s3, s3, s65
	v_addc_co_u32_e32 v30, vcc, v6, v5, vcc
	;; [unrolled: 5-line block ×3, first 2 shown]
	s_add_i32 s21, s86, 1
	v_mov_b32_e32 v6, s1
	v_add_co_u32_e32 v33, vcc, s2, v4
	s_sub_u32 s94, 0, s64
	v_addc_co_u32_e32 v34, vcc, v6, v5, vcc
	s_mov_b32 s26, s19
	s_mul_hi_i32 s63, s20, s18
	v_mov_b32_e32 v35, 0
	v_mov_b32_e32 v36, s61
	s_subb_u32 s95, 0, s65
	v_cmp_gt_i32_e64 s[0:1], s86, v0
	v_cmp_gt_i32_e64 s[2:3], s19, v0
	s_branch .LBB82_4
.LBB82_2:                               ;   in Loop: Header=BB82_4 Depth=1
	s_or_b64 exec, exec, s[68:69]
.LBB82_3:                               ;   in Loop: Header=BB82_4 Depth=1
	s_add_i32 s7, s7, s24
	s_cmp_ge_u32 s7, s33
	s_cbranch_scc1 .LBB82_98
.LBB82_4:                               ; =>This Loop Header: Depth=1
                                        ;     Child Loop BB82_8 Depth 2
                                        ;       Child Loop BB82_9 Depth 3
                                        ;     Child Loop BB82_16 Depth 2
                                        ;       Child Loop BB82_17 Depth 3
                                        ;     Child Loop BB82_24 Depth 2
                                        ;       Child Loop BB82_25 Depth 3
                                        ;     Child Loop BB82_32 Depth 2
                                        ;       Child Loop BB82_33 Depth 3
                                        ;     Child Loop BB82_40 Depth 2
                                        ;       Child Loop BB82_41 Depth 3
                                        ;     Child Loop BB82_48 Depth 2
                                        ;       Child Loop BB82_49 Depth 3
                                        ;     Child Loop BB82_56 Depth 2
                                        ;       Child Loop BB82_57 Depth 3
                                        ;     Child Loop BB82_64 Depth 2
                                        ;       Child Loop BB82_66 Depth 3
                                        ;     Child Loop BB82_73 Depth 2
                                        ;       Child Loop BB82_74 Depth 3
                                        ;     Child Loop BB82_81 Depth 2
                                        ;       Child Loop BB82_82 Depth 3
                                        ;     Child Loop BB82_89 Depth 2
                                        ;       Child Loop BB82_90 Depth 3
                                        ;     Child Loop BB82_96 Depth 2
                                        ;       Child Loop BB82_97 Depth 3
	s_mul_i32 s44, s11, s7
	s_mul_hi_u32 s45, s10, s7
	s_add_i32 s84, s45, s44
	s_mul_i32 s44, s15, s7
	s_mul_hi_u32 s45, s14, s7
	s_mul_i32 s85, s10, s7
	s_add_i32 s50, s45, s44
	s_add_u32 s68, s8, s85
	v_mov_b32_e32 v4, s7
	s_mul_i32 s51, s14, s7
	s_addc_u32 s69, s9, s84
	v_mad_u64_u32 v[4:5], s[44:45], s58, v4, v[2:3]
	s_add_u32 s70, s12, s51
	s_mul_i32 s44, s7, s23
	s_mul_hi_u32 s45, s7, s22
	s_addc_u32 s71, s13, s50
	s_add_i32 s45, s45, s44
	s_mul_i32 s44, s7, s22
	s_lshl_b64 s[44:45], s[44:45], 3
	s_mul_i32 s52, s59, s7
	s_add_u32 s54, s6, s44
	v_add_u32_e32 v5, s52, v5
	s_addc_u32 s55, s25, s45
	s_andn2_b64 vcc, exec, s[16:17]
	s_mov_b64 s[72:73], -1
	s_cbranch_vccnz .LBB82_11
; %bb.5:                                ;   in Loop: Header=BB82_4 Depth=1
	s_and_saveexec_b64 s[72:73], s[0:1]
	s_cbranch_execz .LBB82_10
; %bb.6:                                ;   in Loop: Header=BB82_4 Depth=1
	s_lshl_b64 s[44:45], s[26:27], 3
	s_add_u32 s44, s54, s44
	s_addc_u32 s45, s55, s45
	s_add_u32 s48, s44, -8
	s_addc_u32 s44, s45, -1
	s_mov_b64 s[74:75], 0
	v_mov_b32_e32 v14, s55
	v_mov_b32_e32 v15, s44
	v_pk_mov_b32 v[6:7], v[4:5], v[4:5] op_sel:[0,1]
	v_mov_b32_e32 v16, v0
	s_branch .LBB82_8
.LBB82_7:                               ;   in Loop: Header=BB82_8 Depth=2
	v_add_co_u32_e32 v8, vcc, s48, v8
	v_addc_co_u32_e32 v9, vcc, v15, v9, vcc
	v_add_u32_e32 v16, s4, v16
	v_cmp_le_i32_e32 vcc, s86, v16
	s_or_b64 s[74:75], vcc, s[74:75]
	v_add_co_u32_e32 v6, vcc, s60, v6
	v_addc_co_u32_e32 v7, vcc, v7, v36, vcc
	s_waitcnt vmcnt(0)
	global_store_dwordx2 v[8:9], v[10:11], off
	s_andn2_b64 exec, exec, s[74:75]
	s_cbranch_execz .LBB82_10
.LBB82_8:                               ;   Parent Loop BB82_4 Depth=1
                                        ; =>  This Loop Header: Depth=2
                                        ;       Child Loop BB82_9 Depth 3
	v_mad_i64_i32 v[8:9], s[44:45], v16, s20, 0
	v_lshlrev_b64 v[8:9], 3, v[8:9]
	v_add_co_u32_e32 v10, vcc, s54, v8
	v_addc_co_u32_e32 v11, vcc, v14, v9, vcc
	global_load_dwordx2 v[10:11], v[10:11], off
	s_andn2_b64 vcc, exec, s[30:31]
	s_mov_b64 s[76:77], s[70:71]
	s_mov_b64 s[78:79], s[68:69]
	v_pk_mov_b32 v[12:13], v[6:7], v[6:7] op_sel:[0,1]
	s_mov_b32 s44, s56
	s_cbranch_vccnz .LBB82_7
.LBB82_9:                               ;   Parent Loop BB82_4 Depth=1
                                        ;     Parent Loop BB82_8 Depth=2
                                        ; =>    This Inner Loop Header: Depth=3
	global_load_dwordx2 v[18:19], v35, s[76:77]
	global_load_dwordx2 v[38:39], v[12:13], off
	global_load_dwordx2 v[40:41], v35, s[78:79]
	s_add_i32 s44, s44, -1
	s_add_u32 s78, s78, 8
	s_addc_u32 s79, s79, 0
	s_add_u32 s76, s76, 8
	s_addc_u32 s77, s77, 0
	s_cmp_eq_u32 s44, 0
	s_waitcnt vmcnt(1)
	v_mul_f64 v[42:43], v[18:19], v[38:39]
	s_waitcnt vmcnt(0)
	v_fmac_f64_e32 v[42:43], v[10:11], v[40:41]
	v_mul_f64 v[18:19], v[10:11], v[18:19]
	global_store_dwordx2 v[12:13], v[42:43], off offset:-8
	v_add_co_u32_e32 v12, vcc, 8, v12
	v_fma_f64 v[10:11], v[40:41], v[38:39], -v[18:19]
	v_addc_co_u32_e32 v13, vcc, 0, v13, vcc
	s_cbranch_scc0 .LBB82_9
	s_branch .LBB82_7
.LBB82_10:                              ;   in Loop: Header=BB82_4 Depth=1
	s_or_b64 exec, exec, s[72:73]
	s_mov_b64 s[72:73], 0
.LBB82_11:                              ;   in Loop: Header=BB82_4 Depth=1
	s_andn2_b64 vcc, exec, s[72:73]
	s_cbranch_vccnz .LBB82_3
; %bb.12:                               ;   in Loop: Header=BB82_4 Depth=1
	s_mul_hi_u32 s44, s58, s7
	s_add_i32 s52, s44, s52
	s_add_u32 s72, s87, s85
	s_addc_u32 s73, s88, s84
	s_add_u32 s74, s89, s51
	s_mul_i32 s53, s58, s7
	s_addc_u32 s75, s90, s50
	s_andn2_b64 vcc, exec, s[28:29]
	s_mov_b64 s[76:77], -1
	s_cbranch_vccnz .LBB82_19
; %bb.13:                               ;   in Loop: Header=BB82_4 Depth=1
	s_and_saveexec_b64 s[76:77], s[0:1]
	s_cbranch_execz .LBB82_18
; %bb.14:                               ;   in Loop: Header=BB82_4 Depth=1
	s_lshl_b64 s[44:45], s[26:27], 3
	s_add_u32 s44, s54, s44
	s_addc_u32 s45, s55, s45
	v_mov_b32_e32 v7, s52
	v_add_co_u32_e32 v6, vcc, s53, v24
	s_add_u32 s48, s44, -8
	v_addc_co_u32_e32 v7, vcc, v25, v7, vcc
	s_addc_u32 s49, s45, -1
	s_mov_b64 s[78:79], 0
	v_mov_b32_e32 v14, v0
	s_branch .LBB82_16
.LBB82_15:                              ;   in Loop: Header=BB82_16 Depth=2
	v_mov_b32_e32 v10, s55
	v_add_co_u32_e32 v8, vcc, s54, v8
	v_addc_co_u32_e32 v9, vcc, v10, v9, vcc
	v_add_u32_e32 v14, s4, v14
	v_cmp_le_i32_e32 vcc, s86, v14
	s_waitcnt vmcnt(0)
	global_store_dwordx2 v[8:9], v[12:13], off
	v_mov_b32_e32 v8, s61
	s_or_b64 s[78:79], vcc, s[78:79]
	v_add_co_u32_e32 v6, vcc, s60, v6
	v_addc_co_u32_e32 v7, vcc, v7, v8, vcc
	s_andn2_b64 exec, exec, s[78:79]
	s_cbranch_execz .LBB82_18
.LBB82_16:                              ;   Parent Loop BB82_4 Depth=1
                                        ; =>  This Loop Header: Depth=2
                                        ;       Child Loop BB82_17 Depth 3
	v_mad_i64_i32 v[8:9], s[44:45], v14, s20, 0
	v_lshlrev_b64 v[8:9], 3, v[8:9]
	v_mov_b32_e32 v11, s49
	v_add_co_u32_e32 v10, vcc, s48, v8
	v_addc_co_u32_e32 v11, vcc, v11, v9, vcc
	global_load_dwordx2 v[12:13], v[10:11], off
	s_andn2_b64 vcc, exec, s[30:31]
	v_pk_mov_b32 v[10:11], v[6:7], v[6:7] op_sel:[0,1]
	s_mov_b64 s[80:81], s[74:75]
	s_mov_b64 s[82:83], s[72:73]
	s_mov_b32 s44, s56
	s_cbranch_vccnz .LBB82_15
.LBB82_17:                              ;   Parent Loop BB82_4 Depth=1
                                        ;     Parent Loop BB82_16 Depth=2
                                        ; =>    This Inner Loop Header: Depth=3
	global_load_dwordx2 v[16:17], v[10:11], off offset:-8
	global_load_dwordx2 v[18:19], v35, s[80:81]
	global_load_dwordx2 v[38:39], v35, s[82:83]
	s_add_i32 s44, s44, -1
	s_add_u32 s82, s82, -8
	s_addc_u32 s83, s83, -1
	s_waitcnt vmcnt(3)
	v_pk_mov_b32 v[40:41], v[12:13], v[12:13] op_sel:[0,1]
	v_add_co_u32_e32 v42, vcc, -8, v10
	s_add_u32 s80, s80, -8
	v_addc_co_u32_e32 v43, vcc, -1, v11, vcc
	s_addc_u32 s81, s81, -1
	s_cmp_eq_u32 s44, 0
	s_waitcnt vmcnt(1)
	v_mul_f64 v[44:45], v[18:19], v[16:17]
	s_waitcnt vmcnt(0)
	v_mul_f64 v[12:13], v[38:39], v[16:17]
	v_fma_f64 v[16:17], v[40:41], v[38:39], -v[44:45]
	v_fmac_f64_e32 v[12:13], v[40:41], v[18:19]
	global_store_dwordx2 v[10:11], v[16:17], off
	v_pk_mov_b32 v[10:11], v[42:43], v[42:43] op_sel:[0,1]
	s_cbranch_scc0 .LBB82_17
	s_branch .LBB82_15
.LBB82_18:                              ;   in Loop: Header=BB82_4 Depth=1
	s_or_b64 exec, exec, s[76:77]
	s_mov_b64 s[76:77], 0
.LBB82_19:                              ;   in Loop: Header=BB82_4 Depth=1
	s_andn2_b64 vcc, exec, s[76:77]
	s_cbranch_vccnz .LBB82_3
; %bb.20:                               ;   in Loop: Header=BB82_4 Depth=1
	s_andn2_b64 vcc, exec, s[34:35]
	s_mov_b64 s[76:77], -1
	s_cbranch_vccnz .LBB82_27
; %bb.21:                               ;   in Loop: Header=BB82_4 Depth=1
	s_and_saveexec_b64 s[76:77], s[0:1]
	s_cbranch_execz .LBB82_26
; %bb.22:                               ;   in Loop: Header=BB82_4 Depth=1
	s_mov_b64 s[78:79], 0
	v_mov_b32_e32 v12, v0
	s_branch .LBB82_24
.LBB82_23:                              ;   in Loop: Header=BB82_24 Depth=2
	v_add_u32_e32 v12, s4, v12
	v_cmp_le_i32_e32 vcc, s86, v12
	s_waitcnt vmcnt(0)
	global_store_dwordx2 v[6:7], v[10:11], off
	v_mov_b32_e32 v6, s61
	s_or_b64 s[78:79], vcc, s[78:79]
	v_add_co_u32_e32 v4, vcc, s60, v4
	v_addc_co_u32_e32 v5, vcc, v5, v6, vcc
	s_andn2_b64 exec, exec, s[78:79]
	s_cbranch_execz .LBB82_26
.LBB82_24:                              ;   Parent Loop BB82_4 Depth=1
                                        ; =>  This Loop Header: Depth=2
                                        ;       Child Loop BB82_25 Depth 3
	v_mad_i64_i32 v[6:7], s[44:45], v12, s20, 0
	v_lshlrev_b64 v[6:7], 3, v[6:7]
	v_mov_b32_e32 v8, s55
	v_add_co_u32_e32 v6, vcc, s54, v6
	v_addc_co_u32_e32 v7, vcc, v8, v7, vcc
	global_load_dwordx2 v[10:11], v[6:7], off
	s_andn2_b64 vcc, exec, s[30:31]
	v_pk_mov_b32 v[8:9], v[4:5], v[4:5] op_sel:[0,1]
	s_mov_b32 s44, s56
	s_mov_b64 s[80:81], s[68:69]
	s_mov_b64 s[82:83], s[70:71]
	s_cbranch_vccnz .LBB82_23
.LBB82_25:                              ;   Parent Loop BB82_4 Depth=1
                                        ;     Parent Loop BB82_24 Depth=2
                                        ; =>    This Inner Loop Header: Depth=3
	global_load_dwordx2 v[14:15], v35, s[82:83]
	global_load_dwordx2 v[16:17], v[8:9], off
	global_load_dwordx2 v[18:19], v35, s[80:81]
	s_waitcnt vmcnt(3)
	v_pk_mov_b32 v[38:39], v[10:11], v[10:11] op_sel:[0,1]
	s_add_u32 s82, s82, 8
	s_addc_u32 s83, s83, 0
	s_add_u32 s80, s80, 8
	s_addc_u32 s81, s81, 0
	s_add_i32 s44, s44, -1
	s_cmp_eq_u32 s44, 0
	s_waitcnt vmcnt(2)
	v_mul_f64 v[40:41], v[38:39], v[14:15]
	s_waitcnt vmcnt(1)
	v_mul_f64 v[10:11], v[14:15], v[16:17]
	s_waitcnt vmcnt(0)
	v_fma_f64 v[14:15], v[18:19], v[16:17], -v[40:41]
	global_store_dwordx2 v[8:9], v[14:15], off
	v_add_co_u32_e32 v8, vcc, 8, v8
	v_fmac_f64_e32 v[10:11], v[38:39], v[18:19]
	v_addc_co_u32_e32 v9, vcc, 0, v9, vcc
	s_cbranch_scc0 .LBB82_25
	s_branch .LBB82_23
.LBB82_26:                              ;   in Loop: Header=BB82_4 Depth=1
	s_or_b64 exec, exec, s[76:77]
	s_mov_b64 s[76:77], 0
.LBB82_27:                              ;   in Loop: Header=BB82_4 Depth=1
	s_andn2_b64 vcc, exec, s[76:77]
	s_cbranch_vccnz .LBB82_3
; %bb.28:                               ;   in Loop: Header=BB82_4 Depth=1
	s_andn2_b64 vcc, exec, s[36:37]
	s_mov_b64 s[76:77], -1
	s_cbranch_vccnz .LBB82_35
; %bb.29:                               ;   in Loop: Header=BB82_4 Depth=1
	s_and_saveexec_b64 s[76:77], s[0:1]
	s_cbranch_execz .LBB82_34
; %bb.30:                               ;   in Loop: Header=BB82_4 Depth=1
	v_mov_b32_e32 v5, s52
	v_add_co_u32_e32 v4, vcc, s53, v26
	v_addc_co_u32_e32 v5, vcc, v27, v5, vcc
	s_mov_b64 s[78:79], 0
	v_mov_b32_e32 v12, v0
	s_branch .LBB82_32
.LBB82_31:                              ;   in Loop: Header=BB82_32 Depth=2
	v_add_u32_e32 v12, s4, v12
	v_cmp_le_i32_e32 vcc, s86, v12
	s_waitcnt vmcnt(0)
	global_store_dwordx2 v[6:7], v[10:11], off
	v_mov_b32_e32 v6, s61
	s_or_b64 s[78:79], vcc, s[78:79]
	v_add_co_u32_e32 v4, vcc, s60, v4
	v_addc_co_u32_e32 v5, vcc, v5, v6, vcc
	s_andn2_b64 exec, exec, s[78:79]
	s_cbranch_execz .LBB82_34
.LBB82_32:                              ;   Parent Loop BB82_4 Depth=1
                                        ; =>  This Loop Header: Depth=2
                                        ;       Child Loop BB82_33 Depth 3
	v_mad_i64_i32 v[6:7], s[44:45], v12, s20, 0
	v_lshlrev_b64 v[6:7], 3, v[6:7]
	v_mov_b32_e32 v8, s55
	v_add_co_u32_e32 v6, vcc, s54, v6
	v_addc_co_u32_e32 v7, vcc, v8, v7, vcc
	global_load_dwordx2 v[10:11], v[6:7], off
	s_andn2_b64 vcc, exec, s[30:31]
	v_pk_mov_b32 v[8:9], v[4:5], v[4:5] op_sel:[0,1]
	s_mov_b64 s[80:81], s[74:75]
	s_mov_b64 s[82:83], s[72:73]
	s_mov_b32 s44, s91
	s_cbranch_vccnz .LBB82_31
.LBB82_33:                              ;   Parent Loop BB82_4 Depth=1
                                        ;     Parent Loop BB82_32 Depth=2
                                        ; =>    This Inner Loop Header: Depth=3
	global_load_dwordx2 v[14:15], v35, s[80:81]
	global_load_dwordx2 v[16:17], v[8:9], off
	global_load_dwordx2 v[18:19], v35, s[82:83]
	s_add_i32 s44, s44, -1
	s_waitcnt vmcnt(3)
	v_pk_mov_b32 v[38:39], v[10:11], v[10:11] op_sel:[0,1]
	s_add_u32 s82, s82, -8
	s_addc_u32 s83, s83, -1
	s_add_u32 s80, s80, -8
	s_addc_u32 s81, s81, -1
	s_cmp_lt_u32 s44, 3
	s_waitcnt vmcnt(2)
	v_mul_f64 v[40:41], v[38:39], v[14:15]
	s_waitcnt vmcnt(1)
	v_mul_f64 v[10:11], v[14:15], v[16:17]
	s_waitcnt vmcnt(0)
	v_fma_f64 v[14:15], v[18:19], v[16:17], -v[40:41]
	global_store_dwordx2 v[8:9], v[14:15], off
	v_add_co_u32_e32 v8, vcc, -8, v8
	v_fmac_f64_e32 v[10:11], v[38:39], v[18:19]
	v_addc_co_u32_e32 v9, vcc, -1, v9, vcc
	s_cbranch_scc0 .LBB82_33
	s_branch .LBB82_31
.LBB82_34:                              ;   in Loop: Header=BB82_4 Depth=1
	s_or_b64 exec, exec, s[76:77]
	s_mov_b64 s[76:77], 0
.LBB82_35:                              ;   in Loop: Header=BB82_4 Depth=1
	s_andn2_b64 vcc, exec, s[76:77]
	s_cbranch_vccnz .LBB82_3
; %bb.36:                               ;   in Loop: Header=BB82_4 Depth=1
	s_andn2_b64 vcc, exec, s[38:39]
	s_mov_b64 s[76:77], -1
	s_cbranch_vccnz .LBB82_43
; %bb.37:                               ;   in Loop: Header=BB82_4 Depth=1
	s_and_saveexec_b64 s[76:77], s[0:1]
	s_cbranch_execz .LBB82_42
; %bb.38:                               ;   in Loop: Header=BB82_4 Depth=1
	s_lshl_b64 s[44:45], s[26:27], 3
	s_add_u32 s44, s54, s44
	s_addc_u32 s45, s55, s45
	v_mov_b32_e32 v5, s52
	v_add_co_u32_e32 v4, vcc, s53, v20
	s_add_u32 s48, s44, -8
	v_addc_co_u32_e32 v5, vcc, v21, v5, vcc
	s_addc_u32 s49, s45, -1
	s_mov_b64 s[78:79], 0
	v_mov_b32_e32 v12, v0
	s_branch .LBB82_40
.LBB82_39:                              ;   in Loop: Header=BB82_40 Depth=2
	v_add_u32_e32 v12, s4, v12
	v_cmp_le_i32_e32 vcc, s86, v12
	s_waitcnt vmcnt(0)
	global_store_dwordx2 v[6:7], v[8:9], off
	v_mov_b32_e32 v6, s61
	s_or_b64 s[78:79], vcc, s[78:79]
	v_add_co_u32_e32 v4, vcc, s60, v4
	v_addc_co_u32_e32 v5, vcc, v5, v6, vcc
	s_andn2_b64 exec, exec, s[78:79]
	s_cbranch_execz .LBB82_42
.LBB82_40:                              ;   Parent Loop BB82_4 Depth=1
                                        ; =>  This Loop Header: Depth=2
                                        ;       Child Loop BB82_41 Depth 3
	v_mad_i64_i32 v[6:7], s[44:45], v12, s20, 0
	v_lshlrev_b64 v[6:7], 3, v[6:7]
	v_mov_b32_e32 v8, s49
	v_add_co_u32_e32 v6, vcc, s48, v6
	v_addc_co_u32_e32 v7, vcc, v8, v7, vcc
	global_load_dwordx2 v[8:9], v[6:7], off
	s_andn2_b64 vcc, exec, s[30:31]
	v_pk_mov_b32 v[10:11], v[4:5], v[4:5] op_sel:[0,1]
	s_mov_b64 s[80:81], s[70:71]
	s_mov_b64 s[82:83], s[68:69]
	s_mov_b32 s44, s56
	s_cbranch_vccnz .LBB82_39
.LBB82_41:                              ;   Parent Loop BB82_4 Depth=1
                                        ;     Parent Loop BB82_40 Depth=2
                                        ; =>    This Inner Loop Header: Depth=3
	global_load_dwordx2 v[14:15], v[10:11], off
	global_load_dwordx2 v[16:17], v35, s[82:83]
	global_load_dwordx2 v[18:19], v35, s[80:81]
	s_add_i32 s44, s44, -1
	s_add_u32 s82, s82, 8
	s_addc_u32 s83, s83, 0
	s_add_u32 s80, s80, 8
	s_addc_u32 s81, s81, 0
	s_cmp_eq_u32 s44, 0
	s_waitcnt vmcnt(1)
	v_mul_f64 v[38:39], v[16:17], v[14:15]
	s_waitcnt vmcnt(0)
	v_fmac_f64_e32 v[38:39], v[8:9], v[18:19]
	v_mul_f64 v[14:15], v[18:19], v[14:15]
	global_store_dwordx2 v[10:11], v[38:39], off
	v_add_co_u32_e32 v10, vcc, 8, v10
	v_fma_f64 v[8:9], v[8:9], v[16:17], -v[14:15]
	v_addc_co_u32_e32 v11, vcc, 0, v11, vcc
	s_cbranch_scc0 .LBB82_41
	s_branch .LBB82_39
.LBB82_42:                              ;   in Loop: Header=BB82_4 Depth=1
	s_or_b64 exec, exec, s[76:77]
	s_mov_b64 s[76:77], 0
.LBB82_43:                              ;   in Loop: Header=BB82_4 Depth=1
	s_andn2_b64 vcc, exec, s[76:77]
	s_cbranch_vccnz .LBB82_3
; %bb.44:                               ;   in Loop: Header=BB82_4 Depth=1
	s_andn2_b64 vcc, exec, s[40:41]
	s_mov_b64 s[76:77], -1
	s_cbranch_vccnz .LBB82_51
; %bb.45:                               ;   in Loop: Header=BB82_4 Depth=1
	s_and_saveexec_b64 s[76:77], s[0:1]
	s_cbranch_execz .LBB82_50
; %bb.46:                               ;   in Loop: Header=BB82_4 Depth=1
	s_lshl_b64 s[44:45], s[26:27], 3
	s_add_u32 s44, s54, s44
	s_addc_u32 s45, s55, s45
	v_mov_b32_e32 v5, s52
	v_add_co_u32_e32 v4, vcc, s53, v22
	s_add_u32 s48, s44, -8
	v_addc_co_u32_e32 v5, vcc, v23, v5, vcc
	s_addc_u32 s49, s45, -1
	s_mov_b64 s[78:79], 0
	v_mov_b32_e32 v12, v0
	s_branch .LBB82_48
.LBB82_47:                              ;   in Loop: Header=BB82_48 Depth=2
	v_add_u32_e32 v12, s4, v12
	v_cmp_le_i32_e32 vcc, s86, v12
	s_waitcnt vmcnt(0)
	global_store_dwordx2 v[6:7], v[8:9], off
	v_mov_b32_e32 v6, s61
	s_or_b64 s[78:79], vcc, s[78:79]
	v_add_co_u32_e32 v4, vcc, s60, v4
	v_addc_co_u32_e32 v5, vcc, v5, v6, vcc
	s_andn2_b64 exec, exec, s[78:79]
	s_cbranch_execz .LBB82_50
.LBB82_48:                              ;   Parent Loop BB82_4 Depth=1
                                        ; =>  This Loop Header: Depth=2
                                        ;       Child Loop BB82_49 Depth 3
	v_mad_i64_i32 v[6:7], s[44:45], v12, s20, 0
	v_lshlrev_b64 v[6:7], 3, v[6:7]
	v_mov_b32_e32 v8, s49
	v_add_co_u32_e32 v6, vcc, s48, v6
	v_addc_co_u32_e32 v7, vcc, v8, v7, vcc
	global_load_dwordx2 v[8:9], v[6:7], off
	s_andn2_b64 vcc, exec, s[30:31]
	v_pk_mov_b32 v[10:11], v[4:5], v[4:5] op_sel:[0,1]
	s_mov_b64 s[80:81], s[74:75]
	s_mov_b64 s[82:83], s[72:73]
	s_mov_b32 s44, s56
	s_cbranch_vccnz .LBB82_47
.LBB82_49:                              ;   Parent Loop BB82_4 Depth=1
                                        ;     Parent Loop BB82_48 Depth=2
                                        ; =>    This Inner Loop Header: Depth=3
	global_load_dwordx2 v[14:15], v[10:11], off
	global_load_dwordx2 v[16:17], v35, s[82:83]
	global_load_dwordx2 v[18:19], v35, s[80:81]
	s_add_i32 s44, s44, -1
	s_add_u32 s82, s82, -8
	s_addc_u32 s83, s83, -1
	s_add_u32 s80, s80, -8
	s_addc_u32 s81, s81, -1
	s_cmp_eq_u32 s44, 0
	s_waitcnt vmcnt(1)
	v_mul_f64 v[38:39], v[16:17], v[14:15]
	s_waitcnt vmcnt(0)
	v_fmac_f64_e32 v[38:39], v[8:9], v[18:19]
	v_mul_f64 v[14:15], v[18:19], v[14:15]
	global_store_dwordx2 v[10:11], v[38:39], off
	v_add_co_u32_e32 v10, vcc, -8, v10
	v_fma_f64 v[8:9], v[8:9], v[16:17], -v[14:15]
	v_addc_co_u32_e32 v11, vcc, -1, v11, vcc
	s_cbranch_scc0 .LBB82_49
	s_branch .LBB82_47
.LBB82_50:                              ;   in Loop: Header=BB82_4 Depth=1
	s_or_b64 exec, exec, s[76:77]
	s_mov_b64 s[76:77], 0
.LBB82_51:                              ;   in Loop: Header=BB82_4 Depth=1
	s_andn2_b64 vcc, exec, s[76:77]
	s_cbranch_vccnz .LBB82_3
; %bb.52:                               ;   in Loop: Header=BB82_4 Depth=1
	v_mov_b32_e32 v5, s52
	v_add_co_u32_e32 v4, vcc, s53, v1
	v_addc_co_u32_e32 v5, vcc, v28, v5, vcc
	s_andn2_b64 vcc, exec, s[42:43]
	s_mov_b64 s[72:73], -1
	s_cbranch_vccnz .LBB82_59
; %bb.53:                               ;   in Loop: Header=BB82_4 Depth=1
	s_and_saveexec_b64 s[72:73], s[2:3]
	s_cbranch_execz .LBB82_58
; %bb.54:                               ;   in Loop: Header=BB82_4 Depth=1
	s_lshl_b64 s[44:45], s[62:63], 3
	s_add_u32 s48, s54, s44
	s_addc_u32 s49, s55, s45
	s_mov_b64 s[74:75], 0
	v_pk_mov_b32 v[6:7], v[4:5], v[4:5] op_sel:[0,1]
	v_mov_b32_e32 v8, v0
	s_branch .LBB82_56
.LBB82_55:                              ;   in Loop: Header=BB82_56 Depth=2
	v_mov_b32_e32 v9, s49
	v_add_co_u32_e32 v10, vcc, s48, v10
	v_addc_co_u32_e32 v11, vcc, v9, v11, vcc
	v_add_u32_e32 v8, s4, v8
	v_cmp_le_i32_e32 vcc, s19, v8
	v_mov_b32_e32 v9, s67
	s_or_b64 s[74:75], vcc, s[74:75]
	v_add_co_u32_e32 v6, vcc, s66, v6
	v_addc_co_u32_e32 v7, vcc, v7, v9, vcc
	s_waitcnt vmcnt(0)
	global_store_dwordx2 v[10:11], v[12:13], off
	s_andn2_b64 exec, exec, s[74:75]
	s_cbranch_execz .LBB82_58
.LBB82_56:                              ;   Parent Loop BB82_4 Depth=1
                                        ; =>  This Loop Header: Depth=2
                                        ;       Child Loop BB82_57 Depth 3
	v_ashrrev_i32_e32 v9, 31, v8
	v_lshlrev_b64 v[10:11], 3, v[8:9]
	v_mov_b32_e32 v9, s55
	v_add_co_u32_e32 v12, vcc, s54, v10
	v_addc_co_u32_e32 v13, vcc, v9, v11, vcc
	global_load_dwordx2 v[12:13], v[12:13], off
	s_andn2_b64 vcc, exec, s[46:47]
	s_mov_b64 s[76:77], s[70:71]
	s_mov_b64 s[78:79], s[68:69]
	v_pk_mov_b32 v[14:15], v[6:7], v[6:7] op_sel:[0,1]
	s_mov_b32 s44, s18
	s_cbranch_vccnz .LBB82_55
.LBB82_57:                              ;   Parent Loop BB82_4 Depth=1
                                        ;     Parent Loop BB82_56 Depth=2
                                        ; =>    This Inner Loop Header: Depth=3
	v_mov_b32_e32 v9, s65
	v_add_co_u32_e32 v18, vcc, s64, v14
	global_load_dwordx2 v[16:17], v35, s[76:77]
	v_addc_co_u32_e32 v19, vcc, v15, v9, vcc
	global_load_dwordx2 v[38:39], v[18:19], off
	global_load_dwordx2 v[40:41], v35, s[78:79]
	s_add_i32 s44, s44, -1
	s_add_u32 s78, s78, 8
	s_addc_u32 s79, s79, 0
	s_add_u32 s76, s76, 8
	s_addc_u32 s77, s77, 0
	s_cmp_eq_u32 s44, 0
	s_waitcnt vmcnt(2)
	v_mul_f64 v[42:43], v[12:13], v[16:17]
	s_waitcnt vmcnt(1)
	v_mul_f64 v[16:17], v[16:17], v[38:39]
	s_waitcnt vmcnt(0)
	v_fmac_f64_e32 v[16:17], v[12:13], v[40:41]
	v_fma_f64 v[12:13], v[40:41], v[38:39], -v[42:43]
	global_store_dwordx2 v[14:15], v[16:17], off
	v_pk_mov_b32 v[14:15], v[18:19], v[18:19] op_sel:[0,1]
	s_cbranch_scc0 .LBB82_57
	s_branch .LBB82_55
.LBB82_58:                              ;   in Loop: Header=BB82_4 Depth=1
	s_or_b64 exec, exec, s[72:73]
	s_mov_b64 s[72:73], 0
.LBB82_59:                              ;   in Loop: Header=BB82_4 Depth=1
	s_andn2_b64 vcc, exec, s[72:73]
	s_cbranch_vccnz .LBB82_3
; %bb.60:                               ;   in Loop: Header=BB82_4 Depth=1
	v_mov_b32_e32 v7, s52
	v_add_co_u32_e32 v6, vcc, s53, v31
	s_add_u32 s72, s5, s85
	v_addc_co_u32_e32 v7, vcc, v32, v7, vcc
	s_addc_u32 s73, s57, s84
	v_mov_b32_e32 v9, s52
	v_add_co_u32_e32 v8, vcc, s53, v29
	v_readlane_b32 s44, v37, 0
	s_add_u32 s74, s92, s51
	v_addc_co_u32_e32 v9, vcc, v30, v9, vcc
	v_readlane_b32 s45, v37, 1
	s_addc_u32 s75, s93, s50
	s_andn2_b64 vcc, exec, s[44:45]
	s_mov_b64 s[76:77], -1
	s_cbranch_vccnz .LBB82_68
; %bb.61:                               ;   in Loop: Header=BB82_4 Depth=1
	s_and_saveexec_b64 s[76:77], s[2:3]
	s_cbranch_execz .LBB82_67
; %bb.62:                               ;   in Loop: Header=BB82_4 Depth=1
	s_lshl_b64 s[44:45], s[62:63], 3
	s_add_u32 s50, s54, s44
	s_addc_u32 s51, s55, s45
	s_mov_b64 s[78:79], 0
	v_pk_mov_b32 v[10:11], v[6:7], v[6:7] op_sel:[0,1]
	v_pk_mov_b32 v[12:13], v[8:9], v[8:9] op_sel:[0,1]
	v_mov_b32_e32 v14, v0
	s_branch .LBB82_64
.LBB82_63:                              ;   in Loop: Header=BB82_64 Depth=2
	v_mov_b32_e32 v15, s55
	v_add_co_u32_e32 v16, vcc, s54, v16
	v_addc_co_u32_e32 v17, vcc, v15, v17, vcc
	v_mov_b32_e32 v15, s67
	v_add_co_u32_e32 v12, vcc, s66, v12
	v_add_u32_e32 v14, s4, v14
	v_addc_co_u32_e32 v13, vcc, v13, v15, vcc
	v_cmp_le_i32_e32 vcc, s19, v14
	s_or_b64 s[78:79], vcc, s[78:79]
	v_add_co_u32_e32 v10, vcc, s66, v10
	v_addc_co_u32_e32 v11, vcc, v11, v15, vcc
	s_waitcnt vmcnt(0)
	global_store_dwordx2 v[16:17], v[18:19], off
	s_andn2_b64 exec, exec, s[78:79]
	s_cbranch_execz .LBB82_67
.LBB82_64:                              ;   Parent Loop BB82_4 Depth=1
                                        ; =>  This Loop Header: Depth=2
                                        ;       Child Loop BB82_66 Depth 3
	v_ashrrev_i32_e32 v15, 31, v14
	v_lshlrev_b64 v[16:17], 3, v[14:15]
	v_mov_b32_e32 v15, s51
	v_add_co_u32_e32 v18, vcc, s50, v16
	v_addc_co_u32_e32 v19, vcc, v15, v17, vcc
	global_load_dwordx2 v[18:19], v[18:19], off
	s_andn2_b64 vcc, exec, s[46:47]
	s_cbranch_vccnz .LBB82_63
; %bb.65:                               ;   in Loop: Header=BB82_64 Depth=2
	s_mov_b64 s[80:81], 0
	s_mov_b64 s[82:83], s[74:75]
	;; [unrolled: 1-line block ×3, first 2 shown]
	s_mov_b32 s48, s18
.LBB82_66:                              ;   Parent Loop BB82_4 Depth=1
                                        ;     Parent Loop BB82_64 Depth=2
                                        ; =>    This Inner Loop Header: Depth=3
	v_mov_b32_e32 v15, s81
	v_add_co_u32_e32 v42, vcc, s80, v10
	v_addc_co_u32_e32 v43, vcc, v11, v15, vcc
	global_load_dwordx2 v[38:39], v35, s[84:85]
	global_load_dwordx2 v[40:41], v35, s[82:83]
	s_add_i32 s48, s48, -1
	global_load_dwordx2 v[42:43], v[42:43], off
	v_add_co_u32_e32 v46, vcc, s80, v12
	s_sub_u32 s80, s80, s64
	s_subb_u32 s81, s81, s65
	s_add_u32 s84, s84, -8
	s_addc_u32 s85, s85, -1
	s_add_u32 s82, s82, -8
	s_waitcnt vmcnt(3)
	v_pk_mov_b32 v[44:45], v[18:19], v[18:19] op_sel:[0,1]
	s_addc_u32 s83, s83, -1
	v_addc_co_u32_e32 v47, vcc, v13, v15, vcc
	s_cmp_eq_u32 s48, 0
	s_waitcnt vmcnt(0)
	v_mul_f64 v[48:49], v[40:41], v[42:43]
	v_mul_f64 v[18:19], v[38:39], v[42:43]
	v_fma_f64 v[38:39], v[44:45], v[38:39], -v[48:49]
	v_fmac_f64_e32 v[18:19], v[44:45], v[40:41]
	global_store_dwordx2 v[46:47], v[38:39], off
	s_cbranch_scc0 .LBB82_66
	s_branch .LBB82_63
.LBB82_67:                              ;   in Loop: Header=BB82_4 Depth=1
	s_or_b64 exec, exec, s[76:77]
	s_mov_b64 s[76:77], 0
.LBB82_68:                              ;   in Loop: Header=BB82_4 Depth=1
	s_andn2_b64 vcc, exec, s[76:77]
	s_cbranch_vccnz .LBB82_3
; %bb.69:                               ;   in Loop: Header=BB82_4 Depth=1
	v_readlane_b32 s44, v37, 2
	v_readlane_b32 s45, v37, 3
	s_andn2_b64 vcc, exec, s[44:45]
	s_mov_b64 s[76:77], -1
	s_cbranch_vccnz .LBB82_76
; %bb.70:                               ;   in Loop: Header=BB82_4 Depth=1
	s_and_saveexec_b64 s[76:77], s[2:3]
	s_cbranch_execz .LBB82_75
; %bb.71:                               ;   in Loop: Header=BB82_4 Depth=1
	v_mov_b32_e32 v11, s52
	v_add_co_u32_e32 v10, vcc, s53, v33
	v_addc_co_u32_e32 v11, vcc, v34, v11, vcc
	s_mov_b64 s[78:79], 0
	v_mov_b32_e32 v12, v0
	s_branch .LBB82_73
.LBB82_72:                              ;   in Loop: Header=BB82_73 Depth=2
	v_add_u32_e32 v12, s4, v12
	v_cmp_le_i32_e32 vcc, s19, v12
	v_mov_b32_e32 v13, s67
	s_or_b64 s[78:79], vcc, s[78:79]
	v_add_co_u32_e32 v10, vcc, s66, v10
	v_addc_co_u32_e32 v11, vcc, v11, v13, vcc
	s_waitcnt vmcnt(0)
	global_store_dwordx2 v[14:15], v[18:19], off
	s_andn2_b64 exec, exec, s[78:79]
	s_cbranch_execz .LBB82_75
.LBB82_73:                              ;   Parent Loop BB82_4 Depth=1
                                        ; =>  This Loop Header: Depth=2
                                        ;       Child Loop BB82_74 Depth 3
	v_ashrrev_i32_e32 v13, 31, v12
	v_lshlrev_b64 v[14:15], 3, v[12:13]
	v_mov_b32_e32 v13, s55
	v_add_co_u32_e32 v14, vcc, s54, v14
	v_addc_co_u32_e32 v15, vcc, v13, v15, vcc
	global_load_dwordx2 v[18:19], v[14:15], off
	s_andn2_b64 vcc, exec, s[46:47]
	v_pk_mov_b32 v[16:17], v[10:11], v[10:11] op_sel:[0,1]
	s_mov_b32 s48, s18
	s_mov_b64 s[80:81], s[68:69]
	s_mov_b64 s[82:83], s[70:71]
	s_cbranch_vccnz .LBB82_72
.LBB82_74:                              ;   Parent Loop BB82_4 Depth=1
                                        ;     Parent Loop BB82_73 Depth=2
                                        ; =>    This Inner Loop Header: Depth=3
	global_load_dwordx2 v[38:39], v35, s[82:83]
	global_load_dwordx2 v[40:41], v[16:17], off
	global_load_dwordx2 v[42:43], v35, s[80:81]
	s_waitcnt vmcnt(3)
	v_pk_mov_b32 v[44:45], v[18:19], v[18:19] op_sel:[0,1]
	s_add_u32 s82, s82, 8
	s_addc_u32 s83, s83, 0
	s_add_u32 s80, s80, 8
	v_mov_b32_e32 v13, s65
	s_addc_u32 s81, s81, 0
	s_add_i32 s48, s48, -1
	s_cmp_eq_u32 s48, 0
	s_waitcnt vmcnt(2)
	v_mul_f64 v[46:47], v[44:45], v[38:39]
	s_waitcnt vmcnt(1)
	v_mul_f64 v[18:19], v[38:39], v[40:41]
	s_waitcnt vmcnt(0)
	v_fma_f64 v[38:39], v[42:43], v[40:41], -v[46:47]
	global_store_dwordx2 v[16:17], v[38:39], off
	v_add_co_u32_e32 v16, vcc, s64, v16
	v_fmac_f64_e32 v[18:19], v[44:45], v[42:43]
	v_addc_co_u32_e32 v17, vcc, v17, v13, vcc
	s_cbranch_scc0 .LBB82_74
	s_branch .LBB82_72
.LBB82_75:                              ;   in Loop: Header=BB82_4 Depth=1
	s_or_b64 exec, exec, s[76:77]
	s_mov_b64 s[76:77], 0
.LBB82_76:                              ;   in Loop: Header=BB82_4 Depth=1
	s_andn2_b64 vcc, exec, s[76:77]
	s_cbranch_vccnz .LBB82_3
; %bb.77:                               ;   in Loop: Header=BB82_4 Depth=1
	v_readlane_b32 s44, v37, 4
	v_readlane_b32 s45, v37, 5
	s_andn2_b64 vcc, exec, s[44:45]
	s_mov_b64 s[76:77], -1
	s_cbranch_vccnz .LBB82_84
; %bb.78:                               ;   in Loop: Header=BB82_4 Depth=1
	s_and_saveexec_b64 s[76:77], s[2:3]
	s_cbranch_execz .LBB82_83
; %bb.79:                               ;   in Loop: Header=BB82_4 Depth=1
	s_mov_b64 s[78:79], 0
	v_mov_b32_e32 v10, v0
	s_branch .LBB82_81
.LBB82_80:                              ;   in Loop: Header=BB82_81 Depth=2
	v_add_u32_e32 v10, s4, v10
	v_cmp_le_i32_e32 vcc, s19, v10
	v_mov_b32_e32 v11, s67
	s_or_b64 s[78:79], vcc, s[78:79]
	v_add_co_u32_e32 v8, vcc, s66, v8
	v_addc_co_u32_e32 v9, vcc, v9, v11, vcc
	s_waitcnt vmcnt(0)
	global_store_dwordx2 v[12:13], v[16:17], off
	s_andn2_b64 exec, exec, s[78:79]
	s_cbranch_execz .LBB82_83
.LBB82_81:                              ;   Parent Loop BB82_4 Depth=1
                                        ; =>  This Loop Header: Depth=2
                                        ;       Child Loop BB82_82 Depth 3
	v_ashrrev_i32_e32 v11, 31, v10
	v_lshlrev_b64 v[12:13], 3, v[10:11]
	v_mov_b32_e32 v11, s55
	v_add_co_u32_e32 v12, vcc, s54, v12
	v_addc_co_u32_e32 v13, vcc, v11, v13, vcc
	global_load_dwordx2 v[16:17], v[12:13], off
	s_andn2_b64 vcc, exec, s[46:47]
	v_pk_mov_b32 v[14:15], v[8:9], v[8:9] op_sel:[0,1]
	s_mov_b64 s[80:81], s[74:75]
	s_mov_b64 s[82:83], s[72:73]
	s_mov_b32 s48, s21
	s_cbranch_vccnz .LBB82_80
.LBB82_82:                              ;   Parent Loop BB82_4 Depth=1
                                        ;     Parent Loop BB82_81 Depth=2
                                        ; =>    This Inner Loop Header: Depth=3
	global_load_dwordx2 v[18:19], v35, s[80:81]
	global_load_dwordx2 v[38:39], v[14:15], off
	global_load_dwordx2 v[40:41], v35, s[82:83]
	s_add_i32 s48, s48, -1
	s_waitcnt vmcnt(3)
	v_pk_mov_b32 v[42:43], v[16:17], v[16:17] op_sel:[0,1]
	s_add_u32 s82, s82, -8
	s_addc_u32 s83, s83, -1
	s_add_u32 s80, s80, -8
	v_mov_b32_e32 v11, s95
	s_addc_u32 s81, s81, -1
	s_cmp_lt_u32 s48, 3
	s_waitcnt vmcnt(2)
	v_mul_f64 v[44:45], v[42:43], v[18:19]
	s_waitcnt vmcnt(1)
	v_mul_f64 v[16:17], v[18:19], v[38:39]
	s_waitcnt vmcnt(0)
	v_fma_f64 v[18:19], v[40:41], v[38:39], -v[44:45]
	global_store_dwordx2 v[14:15], v[18:19], off
	v_add_co_u32_e32 v14, vcc, s94, v14
	v_fmac_f64_e32 v[16:17], v[42:43], v[40:41]
	v_addc_co_u32_e32 v15, vcc, v15, v11, vcc
	s_cbranch_scc0 .LBB82_82
	s_branch .LBB82_80
.LBB82_83:                              ;   in Loop: Header=BB82_4 Depth=1
	s_or_b64 exec, exec, s[76:77]
	s_mov_b64 s[76:77], 0
.LBB82_84:                              ;   in Loop: Header=BB82_4 Depth=1
	s_andn2_b64 vcc, exec, s[76:77]
	s_cbranch_vccnz .LBB82_3
; %bb.85:                               ;   in Loop: Header=BB82_4 Depth=1
	v_readlane_b32 s44, v37, 6
	v_readlane_b32 s45, v37, 7
	s_andn2_b64 vcc, exec, s[44:45]
	s_mov_b64 s[76:77], -1
	s_cbranch_vccnz .LBB82_92
; %bb.86:                               ;   in Loop: Header=BB82_4 Depth=1
	s_and_saveexec_b64 s[76:77], s[2:3]
	s_cbranch_execz .LBB82_91
; %bb.87:                               ;   in Loop: Header=BB82_4 Depth=1
	s_lshl_b64 s[44:45], s[62:63], 3
	s_add_u32 s48, s54, s44
	s_addc_u32 s49, s55, s45
	s_mov_b64 s[78:79], 0
	v_mov_b32_e32 v8, v0
	s_branch .LBB82_89
.LBB82_88:                              ;   in Loop: Header=BB82_89 Depth=2
	v_add_u32_e32 v8, s4, v8
	v_cmp_le_i32_e32 vcc, s19, v8
	v_mov_b32_e32 v9, s67
	s_or_b64 s[78:79], vcc, s[78:79]
	v_add_co_u32_e32 v4, vcc, s66, v4
	v_addc_co_u32_e32 v5, vcc, v5, v9, vcc
	s_waitcnt vmcnt(0)
	global_store_dwordx2 v[10:11], v[12:13], off
	s_andn2_b64 exec, exec, s[78:79]
	s_cbranch_execz .LBB82_91
.LBB82_89:                              ;   Parent Loop BB82_4 Depth=1
                                        ; =>  This Loop Header: Depth=2
                                        ;       Child Loop BB82_90 Depth 3
	v_ashrrev_i32_e32 v9, 31, v8
	v_lshlrev_b64 v[10:11], 3, v[8:9]
	v_mov_b32_e32 v9, s49
	v_add_co_u32_e32 v10, vcc, s48, v10
	v_addc_co_u32_e32 v11, vcc, v9, v11, vcc
	global_load_dwordx2 v[12:13], v[10:11], off
	s_andn2_b64 vcc, exec, s[46:47]
	v_pk_mov_b32 v[14:15], v[4:5], v[4:5] op_sel:[0,1]
	s_mov_b64 s[80:81], s[70:71]
	s_mov_b64 s[82:83], s[68:69]
	s_mov_b32 s50, s18
	s_cbranch_vccnz .LBB82_88
.LBB82_90:                              ;   Parent Loop BB82_4 Depth=1
                                        ;     Parent Loop BB82_89 Depth=2
                                        ; =>    This Inner Loop Header: Depth=3
	global_load_dwordx2 v[16:17], v[14:15], off
	global_load_dwordx2 v[18:19], v35, s[82:83]
	global_load_dwordx2 v[38:39], v35, s[80:81]
	s_add_i32 s50, s50, -1
	s_add_u32 s82, s82, 8
	s_addc_u32 s83, s83, 0
	s_add_u32 s80, s80, 8
	v_mov_b32_e32 v9, s65
	s_addc_u32 s81, s81, 0
	s_cmp_eq_u32 s50, 0
	s_waitcnt vmcnt(1)
	v_mul_f64 v[40:41], v[18:19], v[16:17]
	s_waitcnt vmcnt(0)
	v_fmac_f64_e32 v[40:41], v[12:13], v[38:39]
	v_mul_f64 v[16:17], v[38:39], v[16:17]
	global_store_dwordx2 v[14:15], v[40:41], off
	v_add_co_u32_e32 v14, vcc, s64, v14
	v_fma_f64 v[12:13], v[12:13], v[18:19], -v[16:17]
	v_addc_co_u32_e32 v15, vcc, v15, v9, vcc
	s_cbranch_scc0 .LBB82_90
	s_branch .LBB82_88
.LBB82_91:                              ;   in Loop: Header=BB82_4 Depth=1
	s_or_b64 exec, exec, s[76:77]
	s_mov_b64 s[76:77], 0
.LBB82_92:                              ;   in Loop: Header=BB82_4 Depth=1
	s_andn2_b64 vcc, exec, s[76:77]
	s_cbranch_vccnz .LBB82_3
; %bb.93:                               ;   in Loop: Header=BB82_4 Depth=1
	s_mov_b64 s[68:69], exec
	v_readlane_b32 s44, v37, 8
	v_readlane_b32 s45, v37, 9
	s_and_b64 s[44:45], s[68:69], s[44:45]
	s_mov_b64 exec, s[44:45]
	s_cbranch_execz .LBB82_2
; %bb.94:                               ;   in Loop: Header=BB82_4 Depth=1
	s_lshl_b64 s[44:45], s[62:63], 3
	s_add_u32 s48, s54, s44
	s_addc_u32 s49, s55, s45
	s_mov_b64 s[70:71], 0
	v_mov_b32_e32 v4, v0
	s_branch .LBB82_96
.LBB82_95:                              ;   in Loop: Header=BB82_96 Depth=2
	v_add_u32_e32 v4, s4, v4
	v_cmp_le_i32_e32 vcc, s19, v4
	v_mov_b32_e32 v5, s67
	s_or_b64 s[70:71], vcc, s[70:71]
	v_add_co_u32_e32 v6, vcc, s66, v6
	v_addc_co_u32_e32 v7, vcc, v7, v5, vcc
	s_waitcnt vmcnt(0)
	global_store_dwordx2 v[8:9], v[10:11], off
	s_andn2_b64 exec, exec, s[70:71]
	s_cbranch_execz .LBB82_2
.LBB82_96:                              ;   Parent Loop BB82_4 Depth=1
                                        ; =>  This Loop Header: Depth=2
                                        ;       Child Loop BB82_97 Depth 3
	v_ashrrev_i32_e32 v5, 31, v4
	v_lshlrev_b64 v[8:9], 3, v[4:5]
	v_mov_b32_e32 v5, s49
	v_add_co_u32_e32 v8, vcc, s48, v8
	v_addc_co_u32_e32 v9, vcc, v5, v9, vcc
	global_load_dwordx2 v[10:11], v[8:9], off
	s_andn2_b64 vcc, exec, s[46:47]
	v_pk_mov_b32 v[12:13], v[6:7], v[6:7] op_sel:[0,1]
	s_mov_b64 s[76:77], s[74:75]
	s_mov_b64 s[78:79], s[72:73]
	s_mov_b32 s50, s18
	s_cbranch_vccnz .LBB82_95
.LBB82_97:                              ;   Parent Loop BB82_4 Depth=1
                                        ;     Parent Loop BB82_96 Depth=2
                                        ; =>    This Inner Loop Header: Depth=3
	global_load_dwordx2 v[14:15], v[12:13], off
	global_load_dwordx2 v[16:17], v35, s[78:79]
	global_load_dwordx2 v[18:19], v35, s[76:77]
	s_add_i32 s50, s50, -1
	s_add_u32 s78, s78, -8
	s_addc_u32 s79, s79, -1
	s_add_u32 s76, s76, -8
	v_mov_b32_e32 v5, s95
	s_addc_u32 s77, s77, -1
	s_cmp_eq_u32 s50, 0
	s_waitcnt vmcnt(1)
	v_mul_f64 v[38:39], v[16:17], v[14:15]
	s_waitcnt vmcnt(0)
	v_fmac_f64_e32 v[38:39], v[10:11], v[18:19]
	v_mul_f64 v[14:15], v[18:19], v[14:15]
	global_store_dwordx2 v[12:13], v[38:39], off
	v_add_co_u32_e32 v12, vcc, s94, v12
	v_fma_f64 v[10:11], v[10:11], v[16:17], -v[14:15]
	v_addc_co_u32_e32 v13, vcc, v13, v5, vcc
	s_cbranch_scc0 .LBB82_97
	s_branch .LBB82_95
.LBB82_98:
	s_endpgm
	.section	.rodata,"a",@progbits
	.p2align	6, 0x0
	.amdhsa_kernel _ZN9rocsolver6v33100L11lasr_kernelIddPdiEEv13rocblas_side_14rocblas_pivot_15rocblas_direct_T2_S6_PT0_lS8_lT1_lS6_lS6_
		.amdhsa_group_segment_fixed_size 0
		.amdhsa_private_segment_fixed_size 0
		.amdhsa_kernarg_size 352
		.amdhsa_user_sgpr_count 6
		.amdhsa_user_sgpr_private_segment_buffer 1
		.amdhsa_user_sgpr_dispatch_ptr 0
		.amdhsa_user_sgpr_queue_ptr 0
		.amdhsa_user_sgpr_kernarg_segment_ptr 1
		.amdhsa_user_sgpr_dispatch_id 0
		.amdhsa_user_sgpr_flat_scratch_init 0
		.amdhsa_user_sgpr_kernarg_preload_length 0
		.amdhsa_user_sgpr_kernarg_preload_offset 0
		.amdhsa_user_sgpr_private_segment_size 0
		.amdhsa_uses_dynamic_stack 0
		.amdhsa_system_sgpr_private_segment_wavefront_offset 0
		.amdhsa_system_sgpr_workgroup_id_x 1
		.amdhsa_system_sgpr_workgroup_id_y 0
		.amdhsa_system_sgpr_workgroup_id_z 1
		.amdhsa_system_sgpr_workgroup_info 0
		.amdhsa_system_vgpr_workitem_id 0
		.amdhsa_next_free_vgpr 50
		.amdhsa_next_free_sgpr 96
		.amdhsa_accum_offset 52
		.amdhsa_reserve_vcc 1
		.amdhsa_reserve_flat_scratch 0
		.amdhsa_float_round_mode_32 0
		.amdhsa_float_round_mode_16_64 0
		.amdhsa_float_denorm_mode_32 3
		.amdhsa_float_denorm_mode_16_64 3
		.amdhsa_dx10_clamp 1
		.amdhsa_ieee_mode 1
		.amdhsa_fp16_overflow 0
		.amdhsa_tg_split 0
		.amdhsa_exception_fp_ieee_invalid_op 0
		.amdhsa_exception_fp_denorm_src 0
		.amdhsa_exception_fp_ieee_div_zero 0
		.amdhsa_exception_fp_ieee_overflow 0
		.amdhsa_exception_fp_ieee_underflow 0
		.amdhsa_exception_fp_ieee_inexact 0
		.amdhsa_exception_int_div_zero 0
	.end_amdhsa_kernel
	.section	.text._ZN9rocsolver6v33100L11lasr_kernelIddPdiEEv13rocblas_side_14rocblas_pivot_15rocblas_direct_T2_S6_PT0_lS8_lT1_lS6_lS6_,"axG",@progbits,_ZN9rocsolver6v33100L11lasr_kernelIddPdiEEv13rocblas_side_14rocblas_pivot_15rocblas_direct_T2_S6_PT0_lS8_lT1_lS6_lS6_,comdat
.Lfunc_end82:
	.size	_ZN9rocsolver6v33100L11lasr_kernelIddPdiEEv13rocblas_side_14rocblas_pivot_15rocblas_direct_T2_S6_PT0_lS8_lT1_lS6_lS6_, .Lfunc_end82-_ZN9rocsolver6v33100L11lasr_kernelIddPdiEEv13rocblas_side_14rocblas_pivot_15rocblas_direct_T2_S6_PT0_lS8_lT1_lS6_lS6_
                                        ; -- End function
	.section	.AMDGPU.csdata,"",@progbits
; Kernel info:
; codeLenInByte = 4628
; NumSgprs: 100
; NumVgprs: 50
; NumAgprs: 0
; TotalNumVgprs: 50
; ScratchSize: 0
; MemoryBound: 0
; FloatMode: 240
; IeeeMode: 1
; LDSByteSize: 0 bytes/workgroup (compile time only)
; SGPRBlocks: 12
; VGPRBlocks: 6
; NumSGPRsForWavesPerEU: 100
; NumVGPRsForWavesPerEU: 50
; AccumOffset: 52
; Occupancy: 8
; WaveLimiterHint : 0
; COMPUTE_PGM_RSRC2:SCRATCH_EN: 0
; COMPUTE_PGM_RSRC2:USER_SGPR: 6
; COMPUTE_PGM_RSRC2:TRAP_HANDLER: 0
; COMPUTE_PGM_RSRC2:TGID_X_EN: 1
; COMPUTE_PGM_RSRC2:TGID_Y_EN: 0
; COMPUTE_PGM_RSRC2:TGID_Z_EN: 1
; COMPUTE_PGM_RSRC2:TIDIG_COMP_CNT: 0
; COMPUTE_PGM_RSRC3_GFX90A:ACCUM_OFFSET: 12
; COMPUTE_PGM_RSRC3_GFX90A:TG_SPLIT: 0
	.section	.text._ZN9rocsolver6v33100L11swap_kernelIdiEEvT0_PT_S2_S4_S2_,"axG",@progbits,_ZN9rocsolver6v33100L11swap_kernelIdiEEvT0_PT_S2_S4_S2_,comdat
	.globl	_ZN9rocsolver6v33100L11swap_kernelIdiEEvT0_PT_S2_S4_S2_ ; -- Begin function _ZN9rocsolver6v33100L11swap_kernelIdiEEvT0_PT_S2_S4_S2_
	.p2align	8
	.type	_ZN9rocsolver6v33100L11swap_kernelIdiEEvT0_PT_S2_S4_S2_,@function
_ZN9rocsolver6v33100L11swap_kernelIdiEEvT0_PT_S2_S4_S2_: ; @_ZN9rocsolver6v33100L11swap_kernelIdiEEvT0_PT_S2_S4_S2_
; %bb.0:
	s_load_dword s16, s[4:5], 0x0
	s_waitcnt lgkmcnt(0)
	s_cmp_lt_i32 s16, 1
	s_cbranch_scc1 .LBB83_10
; %bb.1:
	s_load_dword s0, s[4:5], 0x28
	s_load_dword s1, s[4:5], 0x34
	s_load_dwordx2 s[2:3], s[4:5], 0x8
	s_load_dword s12, s[4:5], 0x10
	s_load_dwordx2 s[8:9], s[4:5], 0x18
	s_load_dword s10, s[4:5], 0x20
	s_waitcnt lgkmcnt(0)
	s_and_b32 s1, s1, 0xffff
	s_mul_i32 s6, s6, s1
	s_cmp_eq_u32 s12, 1
	s_mul_i32 s4, s0, s1
	s_cselect_b64 s[0:1], -1, 0
	s_cmp_eq_u32 s10, 1
	v_add_u32_e32 v0, s6, v0
	s_cselect_b64 s[6:7], -1, 0
	s_and_b64 s[14:15], s[0:1], s[6:7]
	v_cmp_gt_i32_e64 s[0:1], s16, v0
	s_mov_b64 s[6:7], -1
	s_and_b64 vcc, exec, s[14:15]
	s_cbranch_vccnz .LBB83_6
; %bb.2:
	s_and_saveexec_b64 s[6:7], s[0:1]
	s_cbranch_execz .LBB83_5
; %bb.3:
	v_mad_i64_i32 v[2:3], s[14:15], s10, v0, 0
	v_lshlrev_b64 v[2:3], 3, v[2:3]
	v_mov_b32_e32 v1, s9
	v_add_co_u32_e32 v2, vcc, s8, v2
	v_mad_i64_i32 v[4:5], s[14:15], s12, v0, 0
	v_addc_co_u32_e32 v3, vcc, v1, v3, vcc
	s_mul_hi_i32 s11, s10, s4
	s_mul_i32 s10, s10, s4
	v_lshlrev_b64 v[4:5], 3, v[4:5]
	s_mul_hi_i32 s13, s12, s4
	s_mul_i32 s12, s12, s4
	s_lshl_b64 s[10:11], s[10:11], 3
	v_mov_b32_e32 v1, s3
	v_add_co_u32_e32 v4, vcc, s2, v4
	s_lshl_b64 s[12:13], s[12:13], 3
	v_addc_co_u32_e32 v5, vcc, v1, v5, vcc
	s_mov_b64 s[14:15], 0
	v_mov_b32_e32 v1, s11
	v_mov_b32_e32 v6, s13
	;; [unrolled: 1-line block ×3, first 2 shown]
.LBB83_4:                               ; =>This Inner Loop Header: Depth=1
	global_load_dwordx2 v[8:9], v[4:5], off
	global_load_dwordx2 v[10:11], v[2:3], off
	v_add_u32_e32 v7, s4, v7
	v_cmp_le_i32_e32 vcc, s16, v7
	s_or_b64 s[14:15], vcc, s[14:15]
	s_waitcnt vmcnt(1)
	global_store_dwordx2 v[2:3], v[8:9], off
	s_waitcnt vmcnt(1)
	global_store_dwordx2 v[4:5], v[10:11], off
	v_add_co_u32_e32 v2, vcc, s10, v2
	v_addc_co_u32_e32 v3, vcc, v3, v1, vcc
	v_add_co_u32_e32 v4, vcc, s12, v4
	v_addc_co_u32_e32 v5, vcc, v5, v6, vcc
	s_andn2_b64 exec, exec, s[14:15]
	s_cbranch_execnz .LBB83_4
.LBB83_5:
	s_or_b64 exec, exec, s[6:7]
	s_mov_b64 s[6:7], 0
.LBB83_6:
	s_andn2_b64 vcc, exec, s[6:7]
	s_cbranch_vccnz .LBB83_10
; %bb.7:
	s_and_saveexec_b64 s[6:7], s[0:1]
	s_cbranch_execz .LBB83_10
; %bb.8:
	s_ashr_i32 s5, s4, 31
	v_ashrrev_i32_e32 v1, 31, v0
	s_lshl_b64 s[0:1], s[4:5], 3
	v_lshlrev_b64 v[2:3], 3, v[0:1]
	s_mov_b64 s[6:7], 0
	v_mov_b32_e32 v1, s9
	v_mov_b32_e32 v4, s3
	v_mov_b32_e32 v5, s1
.LBB83_9:                               ; =>This Inner Loop Header: Depth=1
	v_add_co_u32_e32 v6, vcc, s8, v2
	v_addc_co_u32_e32 v7, vcc, v1, v3, vcc
	v_add_co_u32_e32 v8, vcc, s2, v2
	v_addc_co_u32_e32 v9, vcc, v4, v3, vcc
	global_load_dwordx2 v[10:11], v[8:9], off
	global_load_dwordx2 v[12:13], v[6:7], off
	v_add_co_u32_e32 v2, vcc, s0, v2
	v_add_u32_e32 v0, s4, v0
	v_addc_co_u32_e32 v3, vcc, v3, v5, vcc
	v_cmp_le_i32_e32 vcc, s16, v0
	s_or_b64 s[6:7], vcc, s[6:7]
	s_waitcnt vmcnt(1)
	global_store_dwordx2 v[6:7], v[10:11], off
	s_waitcnt vmcnt(1)
	global_store_dwordx2 v[8:9], v[12:13], off
	s_andn2_b64 exec, exec, s[6:7]
	s_cbranch_execnz .LBB83_9
.LBB83_10:
	s_endpgm
	.section	.rodata,"a",@progbits
	.p2align	6, 0x0
	.amdhsa_kernel _ZN9rocsolver6v33100L11swap_kernelIdiEEvT0_PT_S2_S4_S2_
		.amdhsa_group_segment_fixed_size 0
		.amdhsa_private_segment_fixed_size 0
		.amdhsa_kernarg_size 296
		.amdhsa_user_sgpr_count 6
		.amdhsa_user_sgpr_private_segment_buffer 1
		.amdhsa_user_sgpr_dispatch_ptr 0
		.amdhsa_user_sgpr_queue_ptr 0
		.amdhsa_user_sgpr_kernarg_segment_ptr 1
		.amdhsa_user_sgpr_dispatch_id 0
		.amdhsa_user_sgpr_flat_scratch_init 0
		.amdhsa_user_sgpr_kernarg_preload_length 0
		.amdhsa_user_sgpr_kernarg_preload_offset 0
		.amdhsa_user_sgpr_private_segment_size 0
		.amdhsa_uses_dynamic_stack 0
		.amdhsa_system_sgpr_private_segment_wavefront_offset 0
		.amdhsa_system_sgpr_workgroup_id_x 1
		.amdhsa_system_sgpr_workgroup_id_y 0
		.amdhsa_system_sgpr_workgroup_id_z 0
		.amdhsa_system_sgpr_workgroup_info 0
		.amdhsa_system_vgpr_workitem_id 0
		.amdhsa_next_free_vgpr 14
		.amdhsa_next_free_sgpr 17
		.amdhsa_accum_offset 16
		.amdhsa_reserve_vcc 1
		.amdhsa_reserve_flat_scratch 0
		.amdhsa_float_round_mode_32 0
		.amdhsa_float_round_mode_16_64 0
		.amdhsa_float_denorm_mode_32 3
		.amdhsa_float_denorm_mode_16_64 3
		.amdhsa_dx10_clamp 1
		.amdhsa_ieee_mode 1
		.amdhsa_fp16_overflow 0
		.amdhsa_tg_split 0
		.amdhsa_exception_fp_ieee_invalid_op 0
		.amdhsa_exception_fp_denorm_src 0
		.amdhsa_exception_fp_ieee_div_zero 0
		.amdhsa_exception_fp_ieee_overflow 0
		.amdhsa_exception_fp_ieee_underflow 0
		.amdhsa_exception_fp_ieee_inexact 0
		.amdhsa_exception_int_div_zero 0
	.end_amdhsa_kernel
	.section	.text._ZN9rocsolver6v33100L11swap_kernelIdiEEvT0_PT_S2_S4_S2_,"axG",@progbits,_ZN9rocsolver6v33100L11swap_kernelIdiEEvT0_PT_S2_S4_S2_,comdat
.Lfunc_end83:
	.size	_ZN9rocsolver6v33100L11swap_kernelIdiEEvT0_PT_S2_S4_S2_, .Lfunc_end83-_ZN9rocsolver6v33100L11swap_kernelIdiEEvT0_PT_S2_S4_S2_
                                        ; -- End function
	.section	.AMDGPU.csdata,"",@progbits
; Kernel info:
; codeLenInByte = 460
; NumSgprs: 21
; NumVgprs: 14
; NumAgprs: 0
; TotalNumVgprs: 14
; ScratchSize: 0
; MemoryBound: 0
; FloatMode: 240
; IeeeMode: 1
; LDSByteSize: 0 bytes/workgroup (compile time only)
; SGPRBlocks: 2
; VGPRBlocks: 1
; NumSGPRsForWavesPerEU: 21
; NumVGPRsForWavesPerEU: 14
; AccumOffset: 16
; Occupancy: 8
; WaveLimiterHint : 0
; COMPUTE_PGM_RSRC2:SCRATCH_EN: 0
; COMPUTE_PGM_RSRC2:USER_SGPR: 6
; COMPUTE_PGM_RSRC2:TRAP_HANDLER: 0
; COMPUTE_PGM_RSRC2:TGID_X_EN: 1
; COMPUTE_PGM_RSRC2:TGID_Y_EN: 0
; COMPUTE_PGM_RSRC2:TGID_Z_EN: 0
; COMPUTE_PGM_RSRC2:TIDIG_COMP_CNT: 0
; COMPUTE_PGM_RSRC3_GFX90A:ACCUM_OFFSET: 3
; COMPUTE_PGM_RSRC3_GFX90A:TG_SPLIT: 0
	.text
	.p2align	2                               ; -- Begin function _ZN9rocsolver6v331009run_steqrIddEEviiiPT0_S3_PT_iPiS3_iS2_S2_S2_b
	.type	_ZN9rocsolver6v331009run_steqrIddEEviiiPT0_S3_PT_iPiS3_iS2_S2_S2_b,@function
_ZN9rocsolver6v331009run_steqrIddEEviiiPT0_S3_PT_iPiS3_iS2_S2_S2_b: ; @_ZN9rocsolver6v331009run_steqrIddEEviiiPT0_S3_PT_iPiS3_iS2_S2_S2_b
; %bb.0:
	s_waitcnt vmcnt(0) expcnt(0) lgkmcnt(0)
	s_or_saveexec_b64 s[4:5], -1
	buffer_store_dword v63, off, s[0:3], s32 offset:120 ; 4-byte Folded Spill
	s_mov_b64 exec, s[4:5]
	buffer_store_dword v40, off, s[0:3], s32 offset:108 ; 4-byte Folded Spill
	buffer_store_dword v41, off, s[0:3], s32 offset:104 ; 4-byte Folded Spill
	;; [unrolled: 1-line block ×27, first 2 shown]
	buffer_store_dword a45, off, s[0:3], s32 ; 4-byte Folded Spill
	v_writelane_b32 v63, s34, 0
	v_writelane_b32 v63, s35, 1
	;; [unrolled: 1-line block ×19, first 2 shown]
	v_mov_b32_e32 v24, v1
	v_and_b32_e32 v1, 1, v21
	v_accvgpr_write_b32 a17, v20
	v_accvgpr_write_b32 a16, v19
	;; [unrolled: 1-line block ×9, first 2 shown]
	v_mov_b32_e32 v20, v9
	v_accvgpr_write_b32 a6, v8
	v_accvgpr_write_b32 a7, v7
	v_mov_b32_e32 v7, v3
	s_mov_b32 s10, s15
	v_cmp_eq_u32_e64 s[6:7], 1, v1
	v_cmp_eq_u32_e64 s[8:9], 0, v0
	v_mov_b32_e32 v8, v0
	v_cmp_ne_u32_e64 s[4:5], 0, v0
	s_mul_hi_i32 s14, s15, 36
	s_mul_i32 s15, s15, 36
                                        ; implicit-def: $sgpr17
                                        ; implicit-def: $sgpr16
	s_and_saveexec_b64 s[12:13], s[4:5]
	s_xor_b64 s[12:13], exec, s[12:13]
	s_cbranch_execz .LBB84_2
; %bb.1:
	s_ashr_i32 s11, s10, 31
	s_getpc_b64 s[16:17]
	s_add_u32 s16, s16, llvm.amdgcn.lds.offset.table@rel32@lo+16
	s_addc_u32 s17, s17, llvm.amdgcn.lds.offset.table@rel32@hi+24
	s_add_u32 s18, s15, s16
	s_addc_u32 s19, s14, s17
	s_getpc_b64 s[16:17]
	s_add_u32 s16, s16, llvm.amdgcn.lds.offset.table@rel32@lo+32
	s_addc_u32 s17, s17, llvm.amdgcn.lds.offset.table@rel32@hi+40
	s_add_u32 s20, s15, s16
	s_addc_u32 s21, s14, s17
	s_load_dword s16, s[18:19], 0x0
	s_load_dword s17, s[20:21], 0x0
.LBB84_2:
	s_or_saveexec_b64 s[12:13], s[12:13]
	v_accvgpr_write_b32 a13, v11
	v_accvgpr_write_b32 a12, v10
	s_waitcnt lgkmcnt(0)
	v_mov_b32_e32 v1, s17
	v_mov_b32_e32 v3, s16
	v_pk_mov_b32 v[10:11], s[10:11], s[10:11] op_sel:[0,1]
	s_xor_b64 exec, exec, s[12:13]
	s_cbranch_execz .LBB84_4
; %bb.3:
	s_ashr_i32 s11, s10, 31
	s_getpc_b64 s[16:17]
	s_add_u32 s16, s16, llvm.amdgcn.lds.offset.table@rel32@lo+16
	s_addc_u32 s17, s17, llvm.amdgcn.lds.offset.table@rel32@hi+24
	s_add_u32 s16, s15, s16
	s_addc_u32 s17, s14, s17
	s_getpc_b64 s[18:19]
	s_add_u32 s18, s18, llvm.amdgcn.lds.offset.table@rel32@lo+32
	s_addc_u32 s19, s19, llvm.amdgcn.lds.offset.table@rel32@hi+40
	s_add_u32 s18, s15, s18
	s_load_dword s15, s[16:17], 0x0
	s_addc_u32 s19, s14, s19
	s_load_dword s14, s[18:19], 0x0
	v_mov_b32_e32 v0, 0
	v_pk_mov_b32 v[10:11], s[10:11], s[10:11] op_sel:[0,1]
	s_waitcnt lgkmcnt(0)
	v_mov_b32_e32 v1, s15
	ds_write_b32 v1, v0
	v_mov_b32_e32 v1, s14
	v_mov_b32_e32 v3, s15
	ds_write_b32 v1, v0
.LBB84_4:
	s_or_b64 exec, exec, s[12:13]
	s_waitcnt lgkmcnt(0)
	s_barrier
	s_getpc_b64 s[10:11]
	s_add_u32 s10, s10, llvm.amdgcn.lds.offset.table@rel32@lo+4
	s_addc_u32 s11, s11, llvm.amdgcn.lds.offset.table@rel32@hi+12
	v_accvgpr_write_b32 a27, v3
	ds_read_b32 v16, v3
	ds_read_b32 v3, v1
	v_mad_u64_u32 v[32:33], s[10:11], v10, 36, s[10:11]
	v_mov_b32_e32 v0, v33
	v_accvgpr_write_b32 a26, v1
	v_mad_u64_u32 v[0:1], s[10:11], v11, 36, v[0:1]
	v_mov_b32_e32 v33, v0
	v_accvgpr_read_b32 v0, a9
	v_ashrrev_i32_e32 v9, 31, v8
	s_waitcnt lgkmcnt(1)
	v_cmp_lt_i32_e32 vcc, v16, v2
	s_waitcnt lgkmcnt(0)
	v_cmp_lt_i32_e64 s[10:11], v3, v0
	v_add_u32_e32 v0, -1, v2
	v_accvgpr_write_b32 a15, v9
	s_and_b64 s[10:11], vcc, s[10:11]
	v_accvgpr_write_b32 a24, v0
	v_ashrrev_i32_e32 v25, 31, v24
	v_accvgpr_write_b32 a14, v8
	s_and_saveexec_b64 s[16:17], s[10:11]
	s_cbranch_execz .LBB84_234
; %bb.5:
	v_add_co_u32_e32 v0, vcc, -8, v5
	v_accvgpr_write_b32 a28, v0
	v_addc_co_u32_e32 v0, vcc, -1, v6, vcc
	v_accvgpr_write_b32 a29, v0
	v_accvgpr_read_b32 v0, a23
	v_add_co_u32_e32 v0, vcc, -8, v0
	v_accvgpr_read_b32 v8, a24
	v_accvgpr_write_b32 a30, v0
	v_accvgpr_read_b32 v0, a22
	v_ashrrev_i32_e32 v9, 31, v8
	v_addc_co_u32_e32 v0, vcc, -1, v0, vcc
	v_accvgpr_write_b32 a25, v9
	v_accvgpr_write_b32 a31, v0
	v_accvgpr_read_b32 v0, a20
	v_accvgpr_write_b32 a24, v8
	v_lshlrev_b64 v[8:9], 3, v[8:9]
	v_accvgpr_read_b32 v1, a21
	v_accvgpr_write_b32 a33, v9
	v_mul_f64 v[34:35], v[0:1], v[0:1]
	v_accvgpr_read_b32 v0, a14
	v_accvgpr_write_b32 a32, v8
	v_add_co_u32_e32 v8, vcc, -8, v7
	v_accvgpr_read_b32 v1, a15
	v_accvgpr_write_b32 a34, v8
	v_addc_co_u32_e32 v8, vcc, -1, v4, vcc
	v_cmp_lt_i32_e64 s[10:11], v0, v2
	v_accvgpr_write_b32 a35, v8
	v_lshlrev_b64 v[0:1], 3, v[0:1]
	v_accvgpr_read_b32 v8, a7
	v_add_co_u32_e32 v0, vcc, v8, v0
	v_ashrrev_i32_e32 v21, 31, v20
	v_accvgpr_write_b32 a36, v0
	v_accvgpr_read_b32 v0, a6
	v_addc_co_u32_e32 v0, vcc, v0, v1, vcc
	v_lshlrev_b64 v[48:49], 3, v[20:21]
	v_ashrrev_i32_e32 v3, 31, v2
	v_sub_co_u32_e32 v62, vcc, 0, v48
	v_accvgpr_write_b32 a37, v0
	v_subb_co_u32_e32 v50, vcc, 0, v49, vcc
	v_lshlrev_b64 v[0:1], 3, v[2:3]
	v_add_co_u32_e32 v3, vcc, -8, v0
	s_mov_b32 s20, 0
	s_mov_b32 s22, 0x667f3bcd
	v_accvgpr_write_b32 a10, v32
	v_lshlrev_b64 v[36:37], 3, v[24:25]
	s_mov_b64 s[18:19], 0
	v_addc_co_u32_e32 v51, vcc, -1, v1, vcc
	v_mov_b32_e32 v0, 0
	s_brev_b32 s21, 8
	s_mov_b32 s23, 0x3ff6a09e
	v_accvgpr_mov_b32 a38, a26
	v_accvgpr_write_b32 a8, v4
	v_accvgpr_write_b32 a11, v33
	buffer_store_dword v0, off, s[0:3], s32 offset:112 ; 4-byte Folded Spill
	s_nop 0
	buffer_store_dword v1, off, s[0:3], s32 offset:116 ; 4-byte Folded Spill
                                        ; implicit-def: $agpr40_agpr41
                                        ; implicit-def: $vgpr56_vgpr57
                                        ; implicit-def: $agpr0_agpr1
                                        ; implicit-def: $vgpr8
                                        ; implicit-def: $vgpr40_vgpr41
                                        ; implicit-def: $agpr2_agpr3
                                        ; implicit-def: $vgpr9
                                        ; implicit-def: $vgpr42_vgpr43
                                        ; implicit-def: $agpr4_agpr5
	s_branch .LBB84_8
.LBB84_6:                               ;   in Loop: Header=BB84_8 Depth=1
	s_or_b64 exec, exec, s[12:13]
	v_accvgpr_read_b32 v12, a38
	v_accvgpr_read_b32 v1, a38
	s_waitcnt lgkmcnt(0)
	s_barrier
.LBB84_7:                               ;   in Loop: Header=BB84_8 Depth=1
	s_or_b64 exec, exec, s[24:25]
	v_accvgpr_read_b32 v0, a27
	ds_read_b32 v16, v0
	ds_read_b32 v0, v12
	v_accvgpr_read_b32 v10, a9
	v_accvgpr_write_b32 a38, v1
	s_waitcnt lgkmcnt(0)
	v_cmp_ge_i32_e32 vcc, v16, v2
	v_cmp_ge_i32_e64 s[12:13], v0, v10
	s_or_b64 s[12:13], vcc, s[12:13]
	s_and_b64 s[12:13], exec, s[12:13]
	s_or_b64 s[18:19], s[12:13], s[18:19]
	s_andn2_b64 exec, exec, s[18:19]
	s_cbranch_execz .LBB84_234
.LBB84_8:                               ; =>This Loop Header: Depth=1
                                        ;     Child Loop BB84_129 Depth 2
                                        ;     Child Loop BB84_23 Depth 2
	;; [unrolled: 1-line block ×5, first 2 shown]
                                        ;       Child Loop BB84_84 Depth 3
                                        ;       Child Loop BB84_69 Depth 3
                                        ;       Child Loop BB84_122 Depth 3
                                        ;         Child Loop BB84_124 Depth 4
                                        ;     Child Loop BB84_140 Depth 2
                                        ;       Child Loop BB84_177 Depth 3
                                        ;       Child Loop BB84_162 Depth 3
                                        ;       Child Loop BB84_215 Depth 3
                                        ;         Child Loop BB84_217 Depth 4
                                        ;     Child Loop BB84_227 Depth 2
                                        ;     Child Loop BB84_233 Depth 2
                                        ; implicit-def: $vgpr0
                                        ; implicit-def: $agpr42
	s_and_saveexec_b64 s[12:13], s[4:5]
	s_xor_b64 s[12:13], exec, s[12:13]
	s_cbranch_execz .LBB84_10
; %bb.9:                                ;   in Loop: Header=BB84_8 Depth=1
	global_load_dwordx2 a[42:43], v[32:33], off offset:20
	global_load_dword v0, v[32:33], off
                                        ; implicit-def: $vgpr16
.LBB84_10:                              ;   in Loop: Header=BB84_8 Depth=1
	s_andn2_saveexec_b64 s[14:15], s[12:13]
	s_cbranch_execz .LBB84_26
; %bb.11:                               ;   in Loop: Header=BB84_8 Depth=1
	v_cmp_lt_i32_e32 vcc, 0, v16
	s_and_saveexec_b64 s[12:13], vcc
	s_cbranch_execz .LBB84_13
; %bb.12:                               ;   in Loop: Header=BB84_8 Depth=1
	buffer_load_dword v0, off, s[0:3], s32 offset:112 ; 4-byte Folded Reload
	buffer_load_dword v1, off, s[0:3], s32 offset:116 ; 4-byte Folded Reload
	v_accvgpr_read_b32 v10, a28
	s_waitcnt vmcnt(0)
	v_mov_b32_e32 v17, v0
	v_mov_b32_e32 v12, v0
	s_waitcnt vmcnt(0)
	v_lshlrev_b64 v[0:1], 3, v[16:17]
	v_add_co_u32_e32 v0, vcc, v10, v0
	v_accvgpr_read_b32 v10, a29
	v_addc_co_u32_e32 v1, vcc, v10, v1, vcc
	v_mov_b32_e32 v13, v12
	v_mov_b32_e32 v10, v12
	buffer_store_dword v10, off, s[0:3], s32 offset:112 ; 4-byte Folded Spill
	s_nop 0
	buffer_store_dword v11, off, s[0:3], s32 offset:116 ; 4-byte Folded Spill
	flat_store_dwordx2 v[0:1], v[12:13]
.LBB84_13:                              ;   in Loop: Header=BB84_8 Depth=1
	s_or_b64 exec, exec, s[12:13]
	s_waitcnt vmcnt(0)
	v_accvgpr_read_b32 v0, a24
	v_cmp_ge_i32_e32 vcc, v16, v0
	s_mov_b64 s[12:13], 0
	v_ashrrev_i32_e32 v17, 31, v16
	s_mov_b64 s[24:25], 0
	v_accvgpr_read_b32 v1, a25
                                        ; implicit-def: $vgpr12_vgpr13
	s_and_saveexec_b64 s[26:27], vcc
	s_xor_b64 s[26:27], exec, s[26:27]
; %bb.14:                               ;   in Loop: Header=BB84_8 Depth=1
	s_mov_b64 s[24:25], exec
	v_pk_mov_b32 v[12:13], v[16:17], v[16:17] op_sel:[0,1]
; %bb.15:                               ;   in Loop: Header=BB84_8 Depth=1
	s_or_saveexec_b64 s[26:27], s[26:27]
	v_mov_b32_e32 v1, v16
	v_pk_mov_b32 v[18:19], v[12:13], v[12:13] op_sel:[0,1]
	s_xor_b64 exec, exec, s[26:27]
	s_cbranch_execnz .LBB84_127
; %bb.16:                               ;   in Loop: Header=BB84_8 Depth=1
	s_or_b64 exec, exec, s[26:27]
	s_and_saveexec_b64 s[26:27], s[24:25]
	s_cbranch_execnz .LBB84_132
.LBB84_17:                              ;   in Loop: Header=BB84_8 Depth=1
	s_or_b64 exec, exec, s[26:27]
	s_and_saveexec_b64 s[24:25], s[12:13]
	s_cbranch_execz .LBB84_19
.LBB84_18:                              ;   in Loop: Header=BB84_8 Depth=1
	global_load_dword v0, v[32:33], off offset:4
	buffer_load_dword v10, off, s[0:3], s32 offset:112 ; 4-byte Folded Reload
	buffer_load_dword v11, off, s[0:3], s32 offset:116 ; 4-byte Folded Reload
	v_accvgpr_read_b32 v19, a1
	v_accvgpr_read_b32 v22, a40
	;; [unrolled: 1-line block ×5, first 2 shown]
	v_mov_b32_e32 v1, v22
	v_accvgpr_read_b32 v23, a41
	s_waitcnt vmcnt(0)
	v_mov_b32_e32 v14, v10
	v_mov_b32_e32 v15, v10
	buffer_store_dword v10, off, s[0:3], s32 offset:112 ; 4-byte Folded Spill
	s_nop 0
	buffer_store_dword v11, off, s[0:3], s32 offset:116 ; 4-byte Folded Spill
	flat_store_dwordx2 v[56:57], v[14:15]
	ds_write_b32 v0, v22
.LBB84_19:                              ;   in Loop: Header=BB84_8 Depth=1
	s_or_b64 exec, exec, s[24:25]
	v_lshlrev_b64 v[12:13], 3, v[12:13]
	v_add_co_u32_e32 v12, vcc, v7, v12
	v_addc_co_u32_e32 v13, vcc, v4, v13, vcc
	v_lshlrev_b64 v[18:19], 3, v[18:19]
	global_load_dword v0, v[32:33], off
	global_load_dwordx2 v[10:11], v[32:33], off offset:16
	global_load_dword v17, v[32:33], off offset:32
	flat_load_dwordx2 v[14:15], v[12:13]
	v_add_co_u32_e32 v12, vcc, v7, v18
	v_addc_co_u32_e32 v13, vcc, v4, v19, vcc
	flat_load_dwordx2 v[26:27], v[12:13]
	s_waitcnt vmcnt(0)
	ds_write_b32 v0, v16
	ds_write_b32 v10, v16
	;; [unrolled: 1-line block ×4, first 2 shown]
	v_add_u32_e32 v10, 1, v1
	v_accvgpr_read_b32 v17, a27
	ds_write_b32 v17, v10
	s_waitcnt lgkmcnt(0)
	v_cmp_lt_f64_e64 s[24:25], |v[14:15]|, |v[26:27]|
	s_and_saveexec_b64 s[12:13], s[24:25]
	s_cbranch_execz .LBB84_21
; %bb.20:                               ;   in Loop: Header=BB84_8 Depth=1
	ds_write_b32 v11, v16
	ds_write_b32 v0, v1
.LBB84_21:                              ;   in Loop: Header=BB84_8 Depth=1
	s_or_b64 exec, exec, s[12:13]
	v_and_b32_e32 v15, 0x7fffffff, v15
	v_cmp_lt_i32_e32 vcc, v16, v1
	s_and_saveexec_b64 s[12:13], vcc
	s_cbranch_execz .LBB84_25
; %bb.22:                               ;   in Loop: Header=BB84_8 Depth=1
	v_add_co_u32_e32 v18, vcc, v5, v18
	v_addc_co_u32_e32 v19, vcc, v6, v19, vcc
	s_mov_b64 s[24:25], 0
.LBB84_23:                              ;   Parent Loop BB84_8 Depth=1
                                        ; =>  This Inner Loop Header: Depth=2
	flat_load_dwordx2 v[26:27], v[18:19]
	flat_load_dwordx2 v[28:29], v[12:13]
	v_add_co_u32_e32 v18, vcc, 8, v18
	v_addc_co_u32_e32 v19, vcc, 0, v19, vcc
	v_add_co_u32_e32 v12, vcc, 8, v12
	v_add_u32_e32 v16, 1, v16
	v_addc_co_u32_e32 v13, vcc, 0, v13, vcc
	v_max_f64 v[14:15], v[14:15], v[14:15]
	v_cmp_ge_i32_e32 vcc, v16, v1
	s_or_b64 s[24:25], vcc, s[24:25]
	s_waitcnt vmcnt(0) lgkmcnt(0)
	v_max_f64 v[26:27], |v[26:27]|, |v[26:27]|
	v_max_f64 v[28:29], |v[28:29]|, |v[28:29]|
	v_max_f64 v[26:27], v[28:29], v[26:27]
	v_max_f64 v[14:15], v[14:15], v[26:27]
	s_andn2_b64 exec, exec, s[24:25]
	s_cbranch_execnz .LBB84_23
; %bb.24:                               ;   in Loop: Header=BB84_8 Depth=1
	s_or_b64 exec, exec, s[24:25]
.LBB84_25:                              ;   in Loop: Header=BB84_8 Depth=1
	s_or_b64 exec, exec, s[12:13]
	global_load_dword v13, v[32:33], off offset:24
	v_mov_b32_e32 v12, v11
	s_waitcnt vmcnt(0)
	v_accvgpr_write_b32 a43, v13
	v_accvgpr_write_b32 a42, v12
	ds_write_b64 v13, v[14:15]
.LBB84_26:                              ;   in Loop: Header=BB84_8 Depth=1
	s_or_b64 exec, exec, s[14:15]
	s_waitcnt vmcnt(0)
	v_accvgpr_read_b32 v10, a42
	v_accvgpr_read_b32 v11, a43
	s_waitcnt lgkmcnt(0)
	s_barrier
	ds_read_b32 v1, v10
	s_waitcnt vmcnt(0)
	ds_read_b32 v12, v0
	ds_read_b64 v[10:11], v11
	s_waitcnt lgkmcnt(1)
	v_cmp_ne_u32_e32 vcc, v1, v12
	s_waitcnt lgkmcnt(0)
	v_cmp_neq_f64_e64 s[12:13], 0, v[10:11]
	s_and_b64 s[12:13], vcc, s[12:13]
	v_accvgpr_read_b32 v12, a26
	v_accvgpr_read_b32 v1, a26
	s_and_saveexec_b64 s[24:25], s[12:13]
	s_cbranch_execz .LBB84_7
; %bb.27:                               ;   in Loop: Header=BB84_8 Depth=1
	v_accvgpr_read_b32 v12, a16
	v_accvgpr_read_b32 v13, a17
	v_cmp_ngt_f64_e32 vcc, v[10:11], v[12:13]
	s_and_saveexec_b64 s[12:13], vcc
	s_xor_b64 s[12:13], exec, s[12:13]
	s_cbranch_execz .LBB84_35
; %bb.28:                               ;   in Loop: Header=BB84_8 Depth=1
	v_accvgpr_read_b32 v12, a18
	v_accvgpr_read_b32 v13, a19
	v_cmp_lt_f64_e32 vcc, v[10:11], v[12:13]
	s_and_saveexec_b64 s[14:15], vcc
	s_cbranch_execz .LBB84_34
; %bb.29:                               ;   in Loop: Header=BB84_8 Depth=1
	global_load_dword v1, v[32:33], off offset:16
	global_load_dword v22, v[32:33], off offset:32
	v_accvgpr_read_b32 v29, a19
	v_accvgpr_read_b32 v28, a18
	v_div_scale_f64 v[14:15], s[26:27], v[28:29], v[28:29], v[10:11]
	v_rcp_f64_e32 v[16:17], v[14:15]
	v_div_scale_f64 v[18:19], vcc, v[10:11], v[28:29], v[10:11]
	v_fma_f64 v[12:13], -v[14:15], v[16:17], 1.0
	v_fmac_f64_e32 v[16:17], v[16:17], v[12:13]
	v_fma_f64 v[12:13], -v[14:15], v[16:17], 1.0
	v_fmac_f64_e32 v[16:17], v[16:17], v[12:13]
	v_mul_f64 v[26:27], v[18:19], v[16:17]
	v_fma_f64 v[14:15], -v[14:15], v[26:27], v[18:19]
	v_div_fmas_f64 v[14:15], v[14:15], v[16:17], v[26:27]
	v_div_fixup_f64 v[10:11], v[14:15], v[28:29], v[10:11]
	s_waitcnt vmcnt(1)
	ds_read_b32 v1, v1
	s_waitcnt vmcnt(0)
	ds_read_b32 v12, v22
	s_and_saveexec_b64 s[26:27], s[8:9]
	s_cbranch_execz .LBB84_31
; %bb.30:                               ;   in Loop: Header=BB84_8 Depth=1
	s_waitcnt lgkmcnt(0)
	v_ashrrev_i32_e32 v13, 31, v12
	v_lshlrev_b64 v[14:15], 3, v[12:13]
	v_add_co_u32_e32 v14, vcc, v7, v14
	v_addc_co_u32_e32 v15, vcc, v4, v15, vcc
	flat_load_dwordx2 v[16:17], v[14:15]
	s_waitcnt vmcnt(0) lgkmcnt(0)
	v_mul_f64 v[16:17], v[10:11], v[16:17]
	flat_store_dwordx2 v[14:15], v[16:17]
.LBB84_31:                              ;   in Loop: Header=BB84_8 Depth=1
	s_or_b64 exec, exec, s[26:27]
	v_accvgpr_read_b32 v14, a14
	s_waitcnt lgkmcnt(0)
	v_add_u32_e32 v14, v1, v14
	v_cmp_lt_i32_e32 vcc, v14, v12
	v_accvgpr_read_b32 v15, a15
	s_and_b64 exec, exec, vcc
	s_cbranch_execz .LBB84_34
; %bb.32:                               ;   in Loop: Header=BB84_8 Depth=1
	v_ashrrev_i32_e32 v15, 31, v14
	v_lshlrev_b64 v[16:17], 3, v[14:15]
	s_mov_b64 s[26:27], 0
.LBB84_33:                              ;   Parent Loop BB84_8 Depth=1
                                        ; =>  This Inner Loop Header: Depth=2
	v_add_co_u32_e32 v18, vcc, v7, v16
	v_addc_co_u32_e32 v19, vcc, v4, v17, vcc
	flat_load_dwordx2 v[26:27], v[18:19]
	v_add_co_u32_e32 v28, vcc, v5, v16
	v_addc_co_u32_e32 v29, vcc, v6, v17, vcc
	v_add_co_u32_e32 v16, vcc, v16, v36
	v_add_u32_e32 v14, v14, v24
	v_addc_co_u32_e32 v17, vcc, v17, v37, vcc
	v_cmp_ge_i32_e32 vcc, v14, v12
	s_or_b64 s[26:27], vcc, s[26:27]
	s_waitcnt vmcnt(0) lgkmcnt(0)
	v_mul_f64 v[26:27], v[10:11], v[26:27]
	flat_store_dwordx2 v[18:19], v[26:27]
	flat_load_dwordx2 v[18:19], v[28:29]
	s_waitcnt vmcnt(0) lgkmcnt(0)
	v_mul_f64 v[18:19], v[10:11], v[18:19]
	flat_store_dwordx2 v[28:29], v[18:19]
	s_andn2_b64 exec, exec, s[26:27]
	s_cbranch_execnz .LBB84_33
.LBB84_34:                              ;   in Loop: Header=BB84_8 Depth=1
	s_or_b64 exec, exec, s[14:15]
                                        ; implicit-def: $vgpr10_vgpr11
.LBB84_35:                              ;   in Loop: Header=BB84_8 Depth=1
	s_andn2_saveexec_b64 s[12:13], s[12:13]
	s_cbranch_execz .LBB84_42
; %bb.36:                               ;   in Loop: Header=BB84_8 Depth=1
	global_load_dword v1, v[32:33], off offset:16
	global_load_dword v22, v[32:33], off offset:32
	v_accvgpr_read_b32 v29, a17
	v_accvgpr_read_b32 v28, a16
	v_div_scale_f64 v[14:15], s[14:15], v[28:29], v[28:29], v[10:11]
	v_rcp_f64_e32 v[16:17], v[14:15]
	v_div_scale_f64 v[18:19], vcc, v[10:11], v[28:29], v[10:11]
	v_fma_f64 v[12:13], -v[14:15], v[16:17], 1.0
	v_fmac_f64_e32 v[16:17], v[16:17], v[12:13]
	v_fma_f64 v[12:13], -v[14:15], v[16:17], 1.0
	v_fmac_f64_e32 v[16:17], v[16:17], v[12:13]
	v_mul_f64 v[26:27], v[18:19], v[16:17]
	v_fma_f64 v[14:15], -v[14:15], v[26:27], v[18:19]
	v_div_fmas_f64 v[14:15], v[14:15], v[16:17], v[26:27]
	v_div_fixup_f64 v[10:11], v[14:15], v[28:29], v[10:11]
	s_waitcnt vmcnt(0)
	ds_read_b32 v1, v1
	ds_read_b32 v12, v22
	s_and_saveexec_b64 s[14:15], s[8:9]
	s_cbranch_execz .LBB84_38
; %bb.37:                               ;   in Loop: Header=BB84_8 Depth=1
	s_waitcnt lgkmcnt(0)
	v_ashrrev_i32_e32 v13, 31, v12
	v_lshlrev_b64 v[14:15], 3, v[12:13]
	v_add_co_u32_e32 v14, vcc, v7, v14
	v_addc_co_u32_e32 v15, vcc, v4, v15, vcc
	flat_load_dwordx2 v[16:17], v[14:15]
	s_waitcnt vmcnt(0) lgkmcnt(0)
	v_mul_f64 v[16:17], v[10:11], v[16:17]
	flat_store_dwordx2 v[14:15], v[16:17]
.LBB84_38:                              ;   in Loop: Header=BB84_8 Depth=1
	s_or_b64 exec, exec, s[14:15]
	v_accvgpr_read_b32 v14, a14
	s_waitcnt lgkmcnt(0)
	v_add_u32_e32 v14, v1, v14
	v_cmp_lt_i32_e32 vcc, v14, v12
	v_accvgpr_read_b32 v15, a15
	s_and_saveexec_b64 s[14:15], vcc
	s_cbranch_execz .LBB84_41
; %bb.39:                               ;   in Loop: Header=BB84_8 Depth=1
	v_ashrrev_i32_e32 v15, 31, v14
	v_lshlrev_b64 v[16:17], 3, v[14:15]
	s_mov_b64 s[26:27], 0
.LBB84_40:                              ;   Parent Loop BB84_8 Depth=1
                                        ; =>  This Inner Loop Header: Depth=2
	v_add_co_u32_e32 v18, vcc, v7, v16
	v_addc_co_u32_e32 v19, vcc, v4, v17, vcc
	flat_load_dwordx2 v[26:27], v[18:19]
	v_add_co_u32_e32 v28, vcc, v5, v16
	v_addc_co_u32_e32 v29, vcc, v6, v17, vcc
	v_add_co_u32_e32 v16, vcc, v16, v36
	v_add_u32_e32 v14, v14, v24
	v_addc_co_u32_e32 v17, vcc, v17, v37, vcc
	v_cmp_ge_i32_e32 vcc, v14, v12
	s_or_b64 s[26:27], vcc, s[26:27]
	s_waitcnt vmcnt(0) lgkmcnt(0)
	v_mul_f64 v[26:27], v[10:11], v[26:27]
	flat_store_dwordx2 v[18:19], v[26:27]
	flat_load_dwordx2 v[18:19], v[28:29]
	s_waitcnt vmcnt(0) lgkmcnt(0)
	v_mul_f64 v[18:19], v[10:11], v[18:19]
	flat_store_dwordx2 v[28:29], v[18:19]
	s_andn2_b64 exec, exec, s[26:27]
	s_cbranch_execnz .LBB84_40
.LBB84_41:                              ;   in Loop: Header=BB84_8 Depth=1
	s_or_b64 exec, exec, s[14:15]
.LBB84_42:                              ;   in Loop: Header=BB84_8 Depth=1
	s_or_b64 exec, exec, s[12:13]
	v_accvgpr_read_b32 v10, a42
	v_accvgpr_read_b32 v1, a38
	s_waitcnt lgkmcnt(0)
	s_barrier
	ds_read_b32 v14, v10
	ds_read_b32 v58, v0
	;; [unrolled: 1-line block ×3, first 2 shown]
	v_accvgpr_read_b32 v1, a9
	v_accvgpr_read_b32 v11, a43
	s_waitcnt lgkmcnt(0)
	v_cmp_ge_i32_e32 vcc, v14, v58
	v_cmp_lt_i32_e64 s[12:13], v26, v1
	s_and_saveexec_b64 s[14:15], vcc
	s_xor_b64 s[26:27], exec, s[14:15]
	s_cbranch_execz .LBB84_135
; %bb.43:                               ;   in Loop: Header=BB84_8 Depth=1
	s_and_saveexec_b64 s[28:29], s[12:13]
	s_cbranch_execz .LBB84_134
; %bb.44:                               ;   in Loop: Header=BB84_8 Depth=1
	s_mov_b64 s[30:31], 0
	s_branch .LBB84_47
.LBB84_45:                              ;   in Loop: Header=BB84_47 Depth=2
	s_or_b64 exec, exec, s[36:37]
	s_waitcnt lgkmcnt(0)
	s_barrier
	ds_read_b32 v58, v0
	v_accvgpr_read_b32 v33, a11
	v_accvgpr_read_b32 v4, a8
	;; [unrolled: 1-line block ×3, first 2 shown]
.LBB84_46:                              ;   in Loop: Header=BB84_47 Depth=2
	s_or_b64 exec, exec, s[34:35]
	v_accvgpr_read_b32 v10, a42
	v_accvgpr_read_b32 v1, a38
	ds_read_b32 v14, v10
	ds_read_b32 v26, v1
	v_accvgpr_read_b32 v1, a9
	v_accvgpr_read_b32 v11, a43
	s_waitcnt lgkmcnt(0)
	v_cmp_gt_i32_e32 vcc, v58, v14
	v_cmp_ge_i32_e64 s[14:15], v26, v1
	s_or_b64 s[14:15], vcc, s[14:15]
	s_and_b64 s[14:15], exec, s[14:15]
	s_or_b64 s[30:31], s[14:15], s[30:31]
	s_andn2_b64 exec, exec, s[30:31]
	s_cbranch_execz .LBB84_133
.LBB84_47:                              ;   Parent Loop BB84_8 Depth=1
                                        ; =>  This Loop Header: Depth=2
                                        ;       Child Loop BB84_84 Depth 3
                                        ;       Child Loop BB84_69 Depth 3
	;; [unrolled: 1-line block ×3, first 2 shown]
                                        ;         Child Loop BB84_124 Depth 4
                                        ; implicit-def: $vgpr1
	s_and_saveexec_b64 s[14:15], s[4:5]
	s_xor_b64 s[14:15], exec, s[14:15]
	s_cbranch_execz .LBB84_49
; %bb.48:                               ;   in Loop: Header=BB84_47 Depth=2
	global_load_dword v1, v[32:33], off offset:4
                                        ; implicit-def: $vgpr58
                                        ; implicit-def: $vgpr14
                                        ; implicit-def: $vgpr26
.LBB84_49:                              ;   in Loop: Header=BB84_47 Depth=2
	s_andn2_saveexec_b64 s[34:35], s[14:15]
	s_cbranch_execz .LBB84_118
; %bb.50:                               ;   in Loop: Header=BB84_47 Depth=2
	v_cmp_ge_i32_e32 vcc, v58, v14
	s_mov_b64 s[40:41], 0
	v_ashrrev_i32_e32 v59, 31, v58
	s_mov_b64 s[14:15], 0
                                        ; implicit-def: $vgpr10_vgpr11
	s_and_saveexec_b64 s[36:37], vcc
	s_xor_b64 vcc, exec, s[36:37]
	s_cbranch_execnz .LBB84_81
; %bb.51:                               ;   in Loop: Header=BB84_47 Depth=2
	s_or_saveexec_b64 s[36:37], vcc
	v_mov_b32_e32 v16, v58
	s_xor_b64 exec, exec, s[36:37]
	s_cbranch_execnz .LBB84_82
.LBB84_52:                              ;   in Loop: Header=BB84_47 Depth=2
	s_or_b64 exec, exec, s[36:37]
                                        ; implicit-def: $vgpr1
	s_and_saveexec_b64 vcc, s[14:15]
	s_cbranch_execnz .LBB84_87
.LBB84_53:                              ;   in Loop: Header=BB84_47 Depth=2
	s_or_b64 exec, exec, vcc
	s_and_saveexec_b64 s[14:15], s[40:41]
	s_cbranch_execz .LBB84_55
.LBB84_54:                              ;   in Loop: Header=BB84_47 Depth=2
	global_load_dword v1, v[32:33], off offset:4
	global_load_dword v12, v[32:33], off offset:16
	buffer_load_dword v10, off, s[0:3], s32 offset:112 ; 4-byte Folded Reload
	buffer_load_dword v11, off, s[0:3], s32 offset:116 ; 4-byte Folded Reload
	s_waitcnt vmcnt(0)
	v_mov_b32_e32 v16, v10
	v_mov_b32_e32 v17, v10
	v_accvgpr_read_b32 v11, a5
	v_mov_b32_e32 v14, v16
	v_accvgpr_read_b32 v10, a4
	buffer_store_dword v14, off, s[0:3], s32 offset:112 ; 4-byte Folded Spill
	s_nop 0
	buffer_store_dword v15, off, s[0:3], s32 offset:116 ; 4-byte Folded Spill
	flat_store_dwordx2 v[42:43], v[16:17]
	v_mov_b32_e32 v16, v9
	ds_write_b32 v1, v9
	ds_write_b32 v12, v58
.LBB84_55:                              ;   in Loop: Header=BB84_47 Depth=2
	s_or_b64 exec, exec, s[14:15]
	v_lshlrev_b64 v[28:29], 3, v[10:11]
	v_add_co_u32_e32 v60, vcc, v7, v28
	v_addc_co_u32_e32 v61, vcc, v4, v29, vcc
	global_load_dword v59, v[32:33], off offset:8
	flat_load_dwordx2 v[54:55], v[60:61]
	v_cmp_ne_u32_e32 vcc, v16, v58
	v_add_u32_e32 v10, 1, v58
	s_waitcnt vmcnt(0) lgkmcnt(0)
	ds_write_b64 v59, v[54:55]
	s_and_saveexec_b64 s[14:15], vcc
	s_xor_b64 s[36:37], exec, s[14:15]
	s_cbranch_execz .LBB84_115
; %bb.56:                               ;   in Loop: Header=BB84_47 Depth=2
	v_cmp_ne_u32_e32 vcc, v16, v10
	s_and_saveexec_b64 s[14:15], vcc
	s_xor_b64 s[38:39], exec, s[14:15]
	s_cbranch_execz .LBB84_91
; %bb.57:                               ;   in Loop: Header=BB84_47 Depth=2
	v_add_co_u32_e32 v10, vcc, v5, v28
	v_addc_co_u32_e32 v11, vcc, v6, v29, vcc
	v_accvgpr_write_b32 a45, v11
	flat_load_dwordx2 v[12:13], v[60:61] offset:8
	v_accvgpr_write_b32 a44, v10
	flat_load_dwordx2 v[10:11], v[10:11]
	v_ashrrev_i32_e32 v17, 31, v16
	v_lshlrev_b64 v[52:53], 3, v[16:17]
	v_add_co_u32_e32 v32, vcc, v7, v52
	v_addc_co_u32_e32 v33, vcc, v4, v53, vcc
	flat_load_dwordx2 v[14:15], v[32:33]
	buffer_load_dword v18, off, s[0:3], s32 offset:112 ; 4-byte Folded Reload
	buffer_load_dword v19, off, s[0:3], s32 offset:116 ; 4-byte Folded Reload
	v_add_u32_e32 v17, 1, v26
	v_accvgpr_read_b32 v4, a38
	ds_write_b32 v4, v17
	v_mov_b32_e32 v30, 0
	v_mov_b32_e32 v31, 0x3ff00000
	s_waitcnt vmcnt(0) lgkmcnt(0)
	v_add_f64 v[12:13], v[12:13], -v[54:55]
	v_add_f64 v[26:27], v[10:11], v[10:11]
	v_div_scale_f64 v[28:29], s[14:15], v[26:27], v[26:27], v[12:13]
	v_rcp_f64_e32 v[38:39], v[28:29]
	v_div_scale_f64 v[44:45], vcc, v[12:13], v[26:27], v[12:13]
	v_cmp_gt_i32_e64 s[14:15], v16, v58
	v_fma_f64 v[46:47], -v[28:29], v[38:39], 1.0
	v_fmac_f64_e32 v[38:39], v[38:39], v[46:47]
	v_fma_f64 v[46:47], -v[28:29], v[38:39], 1.0
	v_fmac_f64_e32 v[38:39], v[38:39], v[46:47]
	v_mul_f64 v[46:47], v[44:45], v[38:39]
	v_fma_f64 v[28:29], -v[28:29], v[46:47], v[44:45]
	v_div_fmas_f64 v[28:29], v[28:29], v[38:39], v[46:47]
	v_div_fixup_f64 v[12:13], v[28:29], v[26:27], v[12:13]
	v_fma_f64 v[26:27], v[12:13], v[12:13], 1.0
	v_cmp_gt_f64_e32 vcc, s[20:21], v[26:27]
	v_mov_b32_e32 v22, v18
	v_mov_b32_e32 v23, v18
	v_cndmask_b32_e64 v18, 0, 1, vcc
	v_lshlrev_b32_e32 v18, 8, v18
	v_ldexp_f64 v[26:27], v[26:27], v18
	v_rsq_f64_e32 v[28:29], v[26:27]
	v_mov_b32_e32 v4, v22
	buffer_store_dword v4, off, s[0:3], s32 offset:112 ; 4-byte Folded Spill
	s_nop 0
	buffer_store_dword v5, off, s[0:3], s32 offset:116 ; 4-byte Folded Spill
	v_mov_b32_e32 v4, 0xffffff80
	v_mul_f64 v[38:39], v[26:27], v[28:29]
	v_mul_f64 v[28:29], v[28:29], 0.5
	v_fma_f64 v[44:45], -v[28:29], v[38:39], 0.5
	v_fmac_f64_e32 v[38:39], v[38:39], v[44:45]
	v_fmac_f64_e32 v[28:29], v[28:29], v[44:45]
	v_fma_f64 v[44:45], -v[38:39], v[38:39], v[26:27]
	v_fmac_f64_e32 v[38:39], v[44:45], v[28:29]
	v_fma_f64 v[44:45], -v[38:39], v[38:39], v[26:27]
	v_cndmask_b32_e32 v17, 0, v4, vcc
	v_fmac_f64_e32 v[38:39], v[44:45], v[28:29]
	v_mov_b32_e32 v4, 0x260
	v_ldexp_f64 v[28:29], v[38:39], v17
	v_cmp_class_f64_e32 vcc, v[26:27], v4
	v_cndmask_b32_e32 v17, v29, v27, vcc
	v_cndmask_b32_e32 v26, v28, v26, vcc
	v_and_b32_e32 v18, 0x7fffffff, v17
	v_or_b32_e32 v17, 0x80000000, v17
	v_cmp_nle_f64_e32 vcc, 0, v[12:13]
	v_cndmask_b32_e32 v27, v18, v17, vcc
	v_add_f64 v[12:13], v[12:13], v[26:27]
	v_div_scale_f64 v[26:27], vcc, v[12:13], v[12:13], v[10:11]
	v_rcp_f64_e32 v[28:29], v[26:27]
	v_add_f64 v[14:15], v[14:15], -v[54:55]
	v_div_scale_f64 v[38:39], vcc, v[10:11], v[12:13], v[10:11]
	v_fma_f64 v[54:55], -v[26:27], v[28:29], 1.0
	v_fmac_f64_e32 v[28:29], v[28:29], v[54:55]
	v_fma_f64 v[54:55], -v[26:27], v[28:29], 1.0
	v_fmac_f64_e32 v[28:29], v[28:29], v[54:55]
	v_mul_f64 v[54:55], v[38:39], v[28:29]
	v_fma_f64 v[26:27], -v[26:27], v[54:55], v[38:39]
	v_div_fmas_f64 v[26:27], v[26:27], v[28:29], v[54:55]
	v_div_fixup_f64 v[10:11], v[26:27], v[12:13], v[10:11]
	v_add_f64 v[28:29], v[14:15], v[10:11]
	v_pk_mov_b32 v[10:11], 0, 0
	ds_write_b64 v59, v[22:23]
	s_and_saveexec_b64 s[40:41], s[14:15]
	s_cbranch_execz .LBB84_90
; %bb.58:                               ;   in Loop: Header=BB84_47 Depth=2
	v_accvgpr_read_b32 v4, a28
	v_add_co_u32_e32 v10, vcc, v4, v52
	v_accvgpr_read_b32 v4, a29
	v_addc_co_u32_e32 v11, vcc, v4, v53, vcc
	flat_load_dwordx2 v[10:11], v[10:11]
	v_pk_mov_b32 v[38:39], 0, 0
	s_waitcnt vmcnt(0) lgkmcnt(0)
	v_cmp_neq_f64_e32 vcc, 0, v[10:11]
	s_and_saveexec_b64 s[14:15], vcc
	s_cbranch_execz .LBB84_66
; %bb.59:                               ;   in Loop: Header=BB84_47 Depth=2
	v_mov_b32_e32 v38, 0
	v_cmp_neq_f64_e32 vcc, 0, v[28:29]
	v_mov_b32_e32 v39, 0x3ff00000
	v_pk_mov_b32 v[30:31], 0, 0
	s_and_saveexec_b64 s[42:43], vcc
	s_cbranch_execz .LBB84_65
; %bb.60:                               ;   in Loop: Header=BB84_47 Depth=2
	v_cmp_ngt_f64_e64 vcc, |v[10:11]|, |v[28:29]|
                                        ; implicit-def: $vgpr38_vgpr39
                                        ; implicit-def: $vgpr30_vgpr31
	s_and_saveexec_b64 s[44:45], vcc
	s_xor_b64 s[44:45], exec, s[44:45]
	s_cbranch_execz .LBB84_62
; %bb.61:                               ;   in Loop: Header=BB84_47 Depth=2
	v_div_scale_f64 v[12:13], vcc, v[28:29], v[28:29], -v[10:11]
	v_rcp_f64_e32 v[14:15], v[12:13]
	v_div_scale_f64 v[26:27], vcc, -v[10:11], v[28:29], -v[10:11]
	v_mov_b32_e32 v4, 0xffffff80
	v_fma_f64 v[30:31], -v[12:13], v[14:15], 1.0
	v_fmac_f64_e32 v[14:15], v[14:15], v[30:31]
	v_fma_f64 v[30:31], -v[12:13], v[14:15], 1.0
	v_fmac_f64_e32 v[14:15], v[14:15], v[30:31]
	v_mul_f64 v[30:31], v[26:27], v[14:15]
	v_fma_f64 v[12:13], -v[12:13], v[30:31], v[26:27]
	v_div_fmas_f64 v[12:13], v[12:13], v[14:15], v[30:31]
	v_div_fixup_f64 v[12:13], v[12:13], v[28:29], -v[10:11]
	v_fma_f64 v[14:15], v[12:13], v[12:13], 1.0
	v_cmp_gt_f64_e32 vcc, s[20:21], v[14:15]
	v_cndmask_b32_e64 v17, 0, 1, vcc
	v_lshlrev_b32_e32 v17, 8, v17
	v_ldexp_f64 v[14:15], v[14:15], v17
	v_rsq_f64_e32 v[26:27], v[14:15]
	v_cndmask_b32_e32 v17, 0, v4, vcc
	v_mov_b32_e32 v4, 0x260
	v_cmp_class_f64_e32 vcc, v[14:15], v4
	v_mul_f64 v[28:29], v[14:15], v[26:27]
	v_mul_f64 v[26:27], v[26:27], 0.5
	v_fma_f64 v[30:31], -v[26:27], v[28:29], 0.5
	v_fmac_f64_e32 v[28:29], v[28:29], v[30:31]
	v_fma_f64 v[38:39], -v[28:29], v[28:29], v[14:15]
	v_fmac_f64_e32 v[26:27], v[26:27], v[30:31]
	v_fmac_f64_e32 v[28:29], v[38:39], v[26:27]
	v_fma_f64 v[30:31], -v[28:29], v[28:29], v[14:15]
	v_fmac_f64_e32 v[28:29], v[30:31], v[26:27]
	v_ldexp_f64 v[26:27], v[28:29], v17
	v_cndmask_b32_e32 v15, v27, v15, vcc
	v_cndmask_b32_e32 v14, v26, v14, vcc
	v_div_scale_f64 v[26:27], vcc, v[14:15], v[14:15], 1.0
	v_rcp_f64_e32 v[28:29], v[26:27]
	v_fma_f64 v[30:31], -v[26:27], v[28:29], 1.0
	v_fmac_f64_e32 v[28:29], v[28:29], v[30:31]
	v_fma_f64 v[30:31], -v[26:27], v[28:29], 1.0
	v_fmac_f64_e32 v[28:29], v[28:29], v[30:31]
	v_div_scale_f64 v[30:31], vcc, 1.0, v[14:15], 1.0
	v_mul_f64 v[38:39], v[30:31], v[28:29]
	v_fma_f64 v[26:27], -v[26:27], v[38:39], v[30:31]
	s_nop 1
	v_div_fmas_f64 v[26:27], v[26:27], v[28:29], v[38:39]
	v_div_fixup_f64 v[30:31], v[26:27], v[14:15], 1.0
	v_mul_f64 v[38:39], v[12:13], v[30:31]
                                        ; implicit-def: $vgpr28_vgpr29
.LBB84_62:                              ;   in Loop: Header=BB84_47 Depth=2
	s_andn2_saveexec_b64 s[44:45], s[44:45]
	s_cbranch_execz .LBB84_64
; %bb.63:                               ;   in Loop: Header=BB84_47 Depth=2
	v_div_scale_f64 v[12:13], vcc, v[10:11], v[10:11], -v[28:29]
	v_rcp_f64_e32 v[14:15], v[12:13]
	v_div_scale_f64 v[26:27], vcc, -v[28:29], v[10:11], -v[28:29]
	v_mov_b32_e32 v4, 0xffffff80
	v_fma_f64 v[30:31], -v[12:13], v[14:15], 1.0
	v_fmac_f64_e32 v[14:15], v[14:15], v[30:31]
	v_fma_f64 v[30:31], -v[12:13], v[14:15], 1.0
	v_fmac_f64_e32 v[14:15], v[14:15], v[30:31]
	v_mul_f64 v[30:31], v[26:27], v[14:15]
	v_fma_f64 v[12:13], -v[12:13], v[30:31], v[26:27]
	v_div_fmas_f64 v[12:13], v[12:13], v[14:15], v[30:31]
	v_div_fixup_f64 v[12:13], v[12:13], v[10:11], -v[28:29]
	v_fma_f64 v[14:15], v[12:13], v[12:13], 1.0
	v_cmp_gt_f64_e32 vcc, s[20:21], v[14:15]
	v_cndmask_b32_e64 v17, 0, 1, vcc
	v_lshlrev_b32_e32 v17, 8, v17
	v_ldexp_f64 v[14:15], v[14:15], v17
	v_rsq_f64_e32 v[26:27], v[14:15]
	v_cndmask_b32_e32 v17, 0, v4, vcc
	v_mov_b32_e32 v4, 0x260
	v_cmp_class_f64_e32 vcc, v[14:15], v4
	v_mul_f64 v[28:29], v[14:15], v[26:27]
	v_mul_f64 v[26:27], v[26:27], 0.5
	v_fma_f64 v[30:31], -v[26:27], v[28:29], 0.5
	v_fmac_f64_e32 v[28:29], v[28:29], v[30:31]
	v_fma_f64 v[38:39], -v[28:29], v[28:29], v[14:15]
	v_fmac_f64_e32 v[26:27], v[26:27], v[30:31]
	v_fmac_f64_e32 v[28:29], v[38:39], v[26:27]
	v_fma_f64 v[30:31], -v[28:29], v[28:29], v[14:15]
	v_fmac_f64_e32 v[28:29], v[30:31], v[26:27]
	v_ldexp_f64 v[26:27], v[28:29], v17
	v_cndmask_b32_e32 v15, v27, v15, vcc
	v_cndmask_b32_e32 v14, v26, v14, vcc
	v_div_scale_f64 v[26:27], vcc, v[14:15], v[14:15], 1.0
	v_rcp_f64_e32 v[28:29], v[26:27]
	v_fma_f64 v[30:31], -v[26:27], v[28:29], 1.0
	v_fmac_f64_e32 v[28:29], v[28:29], v[30:31]
	v_fma_f64 v[30:31], -v[26:27], v[28:29], 1.0
	v_fmac_f64_e32 v[28:29], v[28:29], v[30:31]
	v_div_scale_f64 v[30:31], vcc, 1.0, v[14:15], 1.0
	v_mul_f64 v[38:39], v[30:31], v[28:29]
	v_fma_f64 v[26:27], -v[26:27], v[38:39], v[30:31]
	s_nop 1
	v_div_fmas_f64 v[26:27], v[26:27], v[28:29], v[38:39]
	v_div_fixup_f64 v[38:39], v[26:27], v[14:15], 1.0
	v_mul_f64 v[30:31], v[12:13], v[38:39]
.LBB84_64:                              ;   in Loop: Header=BB84_47 Depth=2
	s_or_b64 exec, exec, s[44:45]
.LBB84_65:                              ;   in Loop: Header=BB84_47 Depth=2
	s_or_b64 exec, exec, s[42:43]
.LBB84_66:                              ;   in Loop: Header=BB84_47 Depth=2
	s_or_b64 exec, exec, s[14:15]
	v_add_co_u32_e32 v12, vcc, -8, v32
	v_addc_co_u32_e32 v13, vcc, -1, v33, vcc
	flat_load_dwordx4 v[26:29], v[12:13]
	v_accvgpr_read_b32 v4, a30
	v_add_co_u32_e32 v52, vcc, v4, v52
	v_accvgpr_read_b32 v4, a31
	v_addc_co_u32_e32 v53, vcc, v4, v53, vcc
	v_accvgpr_read_b32 v18, a32
	v_add_f64 v[14:15], v[30:31], v[30:31]
	v_accvgpr_read_b32 v19, a33
	v_add_co_u32_e32 v54, vcc, v52, v18
	v_add_u32_e32 v12, -1, v16
	v_addc_co_u32_e32 v55, vcc, v53, v19, vcc
	v_cmp_gt_i32_e32 vcc, v12, v58
	s_waitcnt vmcnt(0) lgkmcnt(0)
	v_add_f64 v[26:27], v[26:27], -v[28:29]
	v_mul_f64 v[26:27], v[38:39], v[26:27]
	v_fma_f64 v[14:15], v[10:11], v[14:15], -v[26:27]
	v_mul_f64 v[26:27], v[14:15], -v[38:39]
	v_fma_f64 v[44:45], v[14:15], -v[38:39], v[28:29]
	v_fma_f64 v[28:29], v[30:31], v[14:15], -v[10:11]
	ds_write_b64 v59, v[26:27]
	flat_store_dwordx2 v[32:33], v[44:45]
	flat_store_dwordx2 v[52:53], v[30:31]
	;; [unrolled: 1-line block ×3, first 2 shown]
	s_and_saveexec_b64 s[14:15], vcc
	s_cbranch_execz .LBB84_89
; %bb.67:                               ;   in Loop: Header=BB84_47 Depth=2
	v_ashrrev_i32_e32 v13, 31, v12
	v_lshlrev_b64 v[10:11], 3, v[12:13]
	v_accvgpr_read_b32 v4, a30
	v_add_co_u32_e32 v32, vcc, v4, v10
	v_accvgpr_read_b32 v4, a31
	v_addc_co_u32_e32 v33, vcc, v4, v11, vcc
	v_accvgpr_read_b32 v4, a34
	v_add_co_u32_e32 v52, vcc, v4, v10
	v_accvgpr_read_b32 v4, a35
	v_addc_co_u32_e32 v53, vcc, v4, v11, vcc
	v_accvgpr_read_b32 v4, a28
	v_add_co_u32_e32 v54, vcc, v4, v10
	v_accvgpr_read_b32 v4, a29
	v_xor_b32_e32 v39, 0x80000000, v39
	v_addc_co_u32_e32 v55, vcc, v4, v11, vcc
	s_mov_b32 s50, -1
	s_mov_b64 s[42:43], 0
	s_branch .LBB84_69
.LBB84_68:                              ;   in Loop: Header=BB84_69 Depth=3
	flat_load_dwordx4 v[44:47], v[52:53]
	ds_read_b64 v[14:15], v59
	v_accvgpr_read_b32 v22, a32
	v_mul_f64 v[10:11], v[30:31], v[10:11]
	v_accvgpr_read_b32 v23, a33
	v_add_co_u32_e32 v30, vcc, v32, v22
	v_addc_co_u32_e32 v31, vcc, v33, v23, vcc
	v_add_f64 v[18:19], v[26:27], v[26:27]
	s_add_i32 s50, s50, -1
	v_add_co_u32_e32 v54, vcc, -8, v54
	v_addc_co_u32_e32 v55, vcc, -1, v55, vcc
	v_add_u32_e32 v17, s50, v16
	v_cmp_le_i32_e32 vcc, v17, v58
	s_or_b64 s[42:43], vcc, s[42:43]
	v_xor_b32_e32 v39, 0x80000000, v13
	v_mov_b32_e32 v38, v12
	s_waitcnt vmcnt(0) lgkmcnt(0)
	v_add_f64 v[14:15], v[46:47], -v[14:15]
	v_add_f64 v[28:29], v[44:45], -v[14:15]
	v_mul_f64 v[28:29], v[12:13], v[28:29]
	v_fma_f64 v[18:19], v[10:11], v[18:19], -v[28:29]
	v_mul_f64 v[44:45], v[18:19], -v[12:13]
	v_fma_f64 v[14:15], v[18:19], -v[12:13], v[14:15]
	ds_write_b64 v59, v[44:45]
	flat_store_dwordx2 v[52:53], v[14:15] offset:8
	flat_store_dwordx2 v[32:33], v[26:27]
	flat_store_dwordx2 v[30:31], v[12:13]
	v_add_co_u32_e32 v32, vcc, -8, v32
	v_addc_co_u32_e32 v33, vcc, -1, v33, vcc
	v_add_co_u32_e32 v52, vcc, -8, v52
	v_fma_f64 v[28:29], v[26:27], v[18:19], -v[10:11]
	v_addc_co_u32_e32 v53, vcc, -1, v53, vcc
	v_pk_mov_b32 v[30:31], v[26:27], v[26:27] op_sel:[0,1]
	s_andn2_b64 exec, exec, s[42:43]
	s_cbranch_execz .LBB84_88
.LBB84_69:                              ;   Parent Loop BB84_8 Depth=1
                                        ;     Parent Loop BB84_47 Depth=2
                                        ; =>    This Inner Loop Header: Depth=3
	flat_load_dwordx2 v[10:11], v[54:55]
	v_mov_b32_e32 v26, 0
	v_mov_b32_e32 v27, 0x3ff00000
	v_pk_mov_b32 v[12:13], 0, 0
	s_waitcnt vmcnt(0) lgkmcnt(0)
	v_mul_f64 v[38:39], v[38:39], v[10:11]
	v_cmp_neq_f64_e32 vcc, 0, v[38:39]
	s_and_saveexec_b64 s[44:45], vcc
	s_cbranch_execz .LBB84_79
; %bb.70:                               ;   in Loop: Header=BB84_69 Depth=3
	v_cmp_neq_f64_e32 vcc, 0, v[28:29]
                                        ; implicit-def: $vgpr12_vgpr13
                                        ; implicit-def: $vgpr26_vgpr27
	s_and_saveexec_b64 s[46:47], vcc
	s_xor_b64 s[46:47], exec, s[46:47]
	s_cbranch_execz .LBB84_76
; %bb.71:                               ;   in Loop: Header=BB84_69 Depth=3
	v_cmp_ngt_f64_e64 vcc, |v[38:39]|, |v[28:29]|
                                        ; implicit-def: $vgpr12_vgpr13
                                        ; implicit-def: $vgpr26_vgpr27
	s_and_saveexec_b64 s[48:49], vcc
	s_xor_b64 s[48:49], exec, s[48:49]
	s_cbranch_execz .LBB84_73
; %bb.72:                               ;   in Loop: Header=BB84_69 Depth=3
	v_div_scale_f64 v[12:13], vcc, v[28:29], v[28:29], -v[38:39]
	v_rcp_f64_e32 v[14:15], v[12:13]
	v_div_scale_f64 v[18:19], vcc, -v[38:39], v[28:29], -v[38:39]
	v_mov_b32_e32 v4, 0xffffff80
	v_fma_f64 v[26:27], -v[12:13], v[14:15], 1.0
	v_fmac_f64_e32 v[14:15], v[14:15], v[26:27]
	v_fma_f64 v[26:27], -v[12:13], v[14:15], 1.0
	v_fmac_f64_e32 v[14:15], v[14:15], v[26:27]
	v_mul_f64 v[26:27], v[18:19], v[14:15]
	v_fma_f64 v[12:13], -v[12:13], v[26:27], v[18:19]
	v_div_fmas_f64 v[12:13], v[12:13], v[14:15], v[26:27]
	v_div_fixup_f64 v[12:13], v[12:13], v[28:29], -v[38:39]
	v_fma_f64 v[14:15], v[12:13], v[12:13], 1.0
	v_cmp_gt_f64_e32 vcc, s[20:21], v[14:15]
	v_cndmask_b32_e64 v17, 0, 1, vcc
	v_lshlrev_b32_e32 v17, 8, v17
	v_ldexp_f64 v[14:15], v[14:15], v17
	v_rsq_f64_e32 v[18:19], v[14:15]
	v_cndmask_b32_e32 v17, 0, v4, vcc
	v_mov_b32_e32 v4, 0x260
	v_cmp_class_f64_e32 vcc, v[14:15], v4
	v_mul_f64 v[26:27], v[14:15], v[18:19]
	v_mul_f64 v[18:19], v[18:19], 0.5
	v_fma_f64 v[44:45], -v[18:19], v[26:27], 0.5
	v_fmac_f64_e32 v[26:27], v[26:27], v[44:45]
	v_fma_f64 v[46:47], -v[26:27], v[26:27], v[14:15]
	v_fmac_f64_e32 v[18:19], v[18:19], v[44:45]
	v_fmac_f64_e32 v[26:27], v[46:47], v[18:19]
	v_fma_f64 v[44:45], -v[26:27], v[26:27], v[14:15]
	v_fmac_f64_e32 v[26:27], v[44:45], v[18:19]
	v_ldexp_f64 v[18:19], v[26:27], v17
	v_cndmask_b32_e32 v15, v19, v15, vcc
	v_cndmask_b32_e32 v14, v18, v14, vcc
	v_div_scale_f64 v[18:19], vcc, v[14:15], v[14:15], 1.0
	v_rcp_f64_e32 v[26:27], v[18:19]
	v_fma_f64 v[44:45], -v[18:19], v[26:27], 1.0
	v_fmac_f64_e32 v[26:27], v[26:27], v[44:45]
	v_fma_f64 v[44:45], -v[18:19], v[26:27], 1.0
	v_fmac_f64_e32 v[26:27], v[26:27], v[44:45]
	v_div_scale_f64 v[44:45], vcc, 1.0, v[14:15], 1.0
	v_mul_f64 v[46:47], v[44:45], v[26:27]
	v_fma_f64 v[18:19], -v[18:19], v[46:47], v[44:45]
	s_nop 1
	v_div_fmas_f64 v[18:19], v[18:19], v[26:27], v[46:47]
	v_div_fixup_f64 v[26:27], v[18:19], v[14:15], 1.0
	v_mul_f64 v[12:13], v[12:13], v[26:27]
.LBB84_73:                              ;   in Loop: Header=BB84_69 Depth=3
	s_andn2_saveexec_b64 s[48:49], s[48:49]
	s_cbranch_execz .LBB84_75
; %bb.74:                               ;   in Loop: Header=BB84_69 Depth=3
	v_div_scale_f64 v[12:13], vcc, v[38:39], v[38:39], -v[28:29]
	v_rcp_f64_e32 v[14:15], v[12:13]
	v_div_scale_f64 v[26:27], vcc, -v[28:29], v[38:39], -v[28:29]
	v_mov_b32_e32 v4, 0xffffff80
	v_fma_f64 v[44:45], -v[12:13], v[14:15], 1.0
	v_fmac_f64_e32 v[14:15], v[14:15], v[44:45]
	v_fma_f64 v[44:45], -v[12:13], v[14:15], 1.0
	v_fmac_f64_e32 v[14:15], v[14:15], v[44:45]
	v_mul_f64 v[44:45], v[26:27], v[14:15]
	v_fma_f64 v[12:13], -v[12:13], v[44:45], v[26:27]
	v_div_fmas_f64 v[12:13], v[12:13], v[14:15], v[44:45]
	v_div_fixup_f64 v[14:15], v[12:13], v[38:39], -v[28:29]
	v_fma_f64 v[12:13], v[14:15], v[14:15], 1.0
	v_cmp_gt_f64_e32 vcc, s[20:21], v[12:13]
	v_cndmask_b32_e64 v17, 0, 1, vcc
	v_lshlrev_b32_e32 v17, 8, v17
	v_ldexp_f64 v[12:13], v[12:13], v17
	v_rsq_f64_e32 v[26:27], v[12:13]
	v_cndmask_b32_e32 v17, 0, v4, vcc
	v_mov_b32_e32 v4, 0x260
	v_cmp_class_f64_e32 vcc, v[12:13], v4
	v_mul_f64 v[44:45], v[12:13], v[26:27]
	v_mul_f64 v[26:27], v[26:27], 0.5
	v_fma_f64 v[46:47], -v[26:27], v[44:45], 0.5
	v_fmac_f64_e32 v[44:45], v[44:45], v[46:47]
	v_fma_f64 v[18:19], -v[44:45], v[44:45], v[12:13]
	v_fmac_f64_e32 v[26:27], v[26:27], v[46:47]
	v_fmac_f64_e32 v[44:45], v[18:19], v[26:27]
	v_fma_f64 v[18:19], -v[44:45], v[44:45], v[12:13]
	v_fmac_f64_e32 v[44:45], v[18:19], v[26:27]
	v_ldexp_f64 v[18:19], v[44:45], v17
	v_cndmask_b32_e32 v13, v19, v13, vcc
	v_cndmask_b32_e32 v12, v18, v12, vcc
	v_div_scale_f64 v[18:19], vcc, v[12:13], v[12:13], 1.0
	v_rcp_f64_e32 v[26:27], v[18:19]
	v_fma_f64 v[44:45], -v[18:19], v[26:27], 1.0
	v_fmac_f64_e32 v[26:27], v[26:27], v[44:45]
	v_fma_f64 v[44:45], -v[18:19], v[26:27], 1.0
	v_fmac_f64_e32 v[26:27], v[26:27], v[44:45]
	v_div_scale_f64 v[44:45], vcc, 1.0, v[12:13], 1.0
	v_mul_f64 v[46:47], v[44:45], v[26:27]
	v_fma_f64 v[18:19], -v[18:19], v[46:47], v[44:45]
	s_nop 1
	v_div_fmas_f64 v[18:19], v[18:19], v[26:27], v[46:47]
	v_div_fixup_f64 v[12:13], v[18:19], v[12:13], 1.0
	v_mul_f64 v[26:27], v[14:15], v[12:13]
.LBB84_75:                              ;   in Loop: Header=BB84_69 Depth=3
	s_or_b64 exec, exec, s[48:49]
	v_mul_f64 v[14:15], v[38:39], v[12:13]
	v_fma_f64 v[28:29], v[28:29], v[26:27], -v[14:15]
                                        ; implicit-def: $vgpr38_vgpr39
.LBB84_76:                              ;   in Loop: Header=BB84_69 Depth=3
	s_andn2_saveexec_b64 vcc, s[46:47]
; %bb.77:                               ;   in Loop: Header=BB84_69 Depth=3
	v_xor_b32_e32 v39, 0x80000000, v39
	v_mov_b32_e32 v12, 0
	v_mov_b32_e32 v13, 0x3ff00000
	v_pk_mov_b32 v[26:27], 0, 0
	v_pk_mov_b32 v[28:29], v[38:39], v[38:39] op_sel:[0,1]
; %bb.78:                               ;   in Loop: Header=BB84_69 Depth=3
	s_or_b64 exec, exec, vcc
.LBB84_79:                              ;   in Loop: Header=BB84_69 Depth=3
	s_or_b64 exec, exec, s[44:45]
	s_cmp_eq_u32 s50, 0
	s_cbranch_scc1 .LBB84_68
; %bb.80:                               ;   in Loop: Header=BB84_69 Depth=3
	flat_store_dwordx2 v[54:55], v[28:29] offset:8
	s_branch .LBB84_68
.LBB84_81:                              ;   in Loop: Header=BB84_47 Depth=2
	s_mov_b64 s[14:15], exec
	v_pk_mov_b32 v[10:11], v[58:59], v[58:59] op_sel:[0,1]
                                        ; implicit-def: $vgpr14
	s_or_saveexec_b64 s[36:37], vcc
	v_mov_b32_e32 v16, v58
	s_xor_b64 exec, exec, s[36:37]
	s_cbranch_execz .LBB84_52
.LBB84_82:                              ;   in Loop: Header=BB84_47 Depth=2
	v_lshlrev_b64 v[12:13], 3, v[58:59]
	v_add_co_u32_e32 v10, vcc, v7, v12
	v_addc_co_u32_e32 v11, vcc, v4, v13, vcc
	v_accvgpr_write_b32 a4, v58
	v_add_co_u32_e32 v12, vcc, v5, v12
	v_accvgpr_write_b32 a5, v59
	v_addc_co_u32_e32 v13, vcc, v6, v13, vcc
	s_waitcnt vmcnt(0)
	v_mov_b32_e32 v1, v58
                                        ; implicit-def: $sgpr38_sgpr39
                                        ; implicit-def: $sgpr44_sgpr45
                                        ; implicit-def: $sgpr42_sgpr43
	s_branch .LBB84_84
.LBB84_83:                              ;   in Loop: Header=BB84_84 Depth=3
	s_or_b64 exec, exec, s[46:47]
	s_xor_b64 vcc, s[42:43], -1
	s_and_b64 s[46:47], exec, s[44:45]
	s_or_b64 s[40:41], s[46:47], s[40:41]
	s_andn2_b64 s[38:39], s[38:39], exec
	s_and_b64 vcc, vcc, exec
	s_or_b64 s[38:39], s[38:39], vcc
	s_andn2_b64 exec, exec, s[40:41]
	s_cbranch_execz .LBB84_86
.LBB84_84:                              ;   Parent Loop BB84_8 Depth=1
                                        ;     Parent Loop BB84_47 Depth=2
                                        ; =>    This Inner Loop Header: Depth=3
	v_pk_mov_b32 v[42:43], v[12:13], v[12:13] op_sel:[0,1]
	flat_load_dwordx4 v[16:19], v[10:11]
	s_nop 0
	flat_load_dwordx2 v[12:13], v[12:13]
	v_mov_b32_e32 v9, v1
	s_or_b64 s[42:43], s[42:43], exec
	s_or_b64 s[44:45], s[44:45], exec
                                        ; implicit-def: $vgpr1
	s_waitcnt vmcnt(0) lgkmcnt(0)
	v_mul_f64 v[16:17], v[16:17], v[18:19]
	v_mul_f64 v[12:13], v[12:13], v[12:13]
	v_mul_f64 v[16:17], v[34:35], |v[16:17]|
	v_cmp_nle_f64_e64 vcc, |v[12:13]|, v[16:17]
                                        ; implicit-def: $vgpr12_vgpr13
	s_and_saveexec_b64 s[46:47], vcc
	s_cbranch_execz .LBB84_83
; %bb.85:                               ;   in Loop: Header=BB84_84 Depth=3
	v_add_co_u32_e32 v10, vcc, 8, v10
	v_addc_co_u32_e32 v11, vcc, 0, v11, vcc
	v_add_co_u32_e32 v12, vcc, 8, v42
	v_add_u32_e32 v1, 1, v9
	v_addc_co_u32_e32 v13, vcc, 0, v43, vcc
	v_cmp_ge_i32_e32 vcc, v1, v14
	s_andn2_b64 s[44:45], s[44:45], exec
	s_and_b64 vcc, vcc, exec
	s_andn2_b64 s[42:43], s[42:43], exec
	s_or_b64 s[44:45], s[44:45], vcc
	s_branch .LBB84_83
.LBB84_86:                              ;   in Loop: Header=BB84_47 Depth=2
	s_or_b64 exec, exec, s[40:41]
	s_andn2_b64 s[14:15], s[14:15], exec
	s_and_b64 vcc, s[38:39], exec
	v_accvgpr_read_b32 v11, a5
	s_mov_b64 s[40:41], exec
	s_or_b64 s[14:15], s[14:15], vcc
	v_mov_b32_e32 v16, v14
	v_accvgpr_read_b32 v10, a4
	s_or_b64 exec, exec, s[36:37]
                                        ; implicit-def: $vgpr1
	s_and_saveexec_b64 vcc, s[14:15]
	s_cbranch_execz .LBB84_53
.LBB84_87:                              ;   in Loop: Header=BB84_47 Depth=2
	global_load_dword v1, v[32:33], off offset:4
	global_load_dword v12, v[32:33], off offset:16
	s_andn2_b64 s[40:41], s[40:41], exec
	s_waitcnt vmcnt(0)
	ds_write_b32 v1, v16
	ds_write_b32 v12, v58
	s_or_b64 exec, exec, vcc
	s_and_saveexec_b64 s[14:15], s[40:41]
	s_cbranch_execnz .LBB84_54
	s_branch .LBB84_55
.LBB84_88:                              ;   in Loop: Header=BB84_47 Depth=2
	s_or_b64 exec, exec, s[42:43]
.LBB84_89:                              ;   in Loop: Header=BB84_47 Depth=2
	s_or_b64 exec, exec, s[14:15]
	ds_read_b64 v[10:11], v59
.LBB84_90:                              ;   in Loop: Header=BB84_47 Depth=2
	s_or_b64 exec, exec, s[40:41]
	flat_load_dwordx2 v[12:13], v[60:61]
	v_accvgpr_read_b32 v33, a11
                                        ; implicit-def: $vgpr58
                                        ; implicit-def: $vgpr54_vgpr55
	v_accvgpr_read_b32 v4, a8
	v_accvgpr_read_b32 v32, a10
	s_waitcnt vmcnt(0) lgkmcnt(0)
	v_add_f64 v[10:11], v[12:13], -v[10:11]
	flat_store_dwordx2 v[60:61], v[10:11]
	v_accvgpr_read_b32 v10, a44
	v_accvgpr_read_b32 v11, a45
	flat_store_dwordx2 v[10:11], v[28:29]
                                        ; implicit-def: $vgpr28_vgpr29
                                        ; implicit-def: $vgpr60_vgpr61
.LBB84_91:                              ;   in Loop: Header=BB84_47 Depth=2
	s_andn2_saveexec_b64 s[38:39], s[38:39]
	s_cbranch_execz .LBB84_126
; %bb.92:                               ;   in Loop: Header=BB84_47 Depth=2
	v_add_co_u32_e32 v26, vcc, v5, v28
	v_addc_co_u32_e32 v27, vcc, v6, v29, vcc
	flat_load_dwordx2 v[16:17], v[60:61] offset:8
	flat_load_dwordx2 v[10:11], v[26:27]
                                        ; implicit-def: $vgpr12_vgpr13
	s_waitcnt vmcnt(0) lgkmcnt(0)
	v_add_f64 v[32:33], v[54:55], -v[16:17]
	v_add_f64 v[52:53], v[10:11], v[10:11]
	v_cmp_ngt_f64_e64 s[14:15], |v[32:33]|, |v[52:53]|
	s_and_saveexec_b64 vcc, s[14:15]
	s_xor_b64 s[14:15], exec, vcc
	s_cbranch_execz .LBB84_98
; %bb.93:                               ;   in Loop: Header=BB84_47 Depth=2
	v_cmp_nlt_f64_e64 vcc, |v[32:33]|, |v[52:53]|
                                        ; implicit-def: $vgpr12_vgpr13
	s_and_saveexec_b64 s[40:41], vcc
	s_xor_b64 vcc, exec, s[40:41]
; %bb.94:                               ;   in Loop: Header=BB84_47 Depth=2
	v_mul_f64 v[12:13], |v[52:53]|, s[22:23]
; %bb.95:                               ;   in Loop: Header=BB84_47 Depth=2
	s_andn2_saveexec_b64 s[40:41], vcc
	s_cbranch_execz .LBB84_97
; %bb.96:                               ;   in Loop: Header=BB84_47 Depth=2
	v_and_b32_e32 v13, 0x7fffffff, v33
	v_mov_b32_e32 v12, v32
	v_and_b32_e32 v15, 0x7fffffff, v53
	v_mov_b32_e32 v14, v52
	v_div_scale_f64 v[18:19], vcc, v[14:15], v[14:15], v[12:13]
	v_rcp_f64_e32 v[30:31], v[18:19]
	v_div_scale_f64 v[12:13], vcc, v[12:13], v[14:15], v[12:13]
	v_mov_b32_e32 v4, 0xffffff80
	v_fma_f64 v[38:39], -v[18:19], v[30:31], 1.0
	v_fmac_f64_e32 v[30:31], v[30:31], v[38:39]
	v_fma_f64 v[38:39], -v[18:19], v[30:31], 1.0
	v_fmac_f64_e32 v[30:31], v[30:31], v[38:39]
	v_mul_f64 v[14:15], v[12:13], v[30:31]
	v_fma_f64 v[12:13], -v[18:19], v[14:15], v[12:13]
	v_div_fmas_f64 v[12:13], v[12:13], v[30:31], v[14:15]
	v_div_fixup_f64 v[12:13], v[12:13], |v[52:53]|, |v[32:33]|
	v_fma_f64 v[12:13], v[12:13], v[12:13], 1.0
	v_cmp_gt_f64_e32 vcc, s[20:21], v[12:13]
	v_cndmask_b32_e64 v14, 0, 1, vcc
	v_lshlrev_b32_e32 v14, 8, v14
	v_ldexp_f64 v[12:13], v[12:13], v14
	v_rsq_f64_e32 v[14:15], v[12:13]
	v_mul_f64 v[18:19], v[12:13], v[14:15]
	v_mul_f64 v[14:15], v[14:15], 0.5
	v_fma_f64 v[30:31], -v[14:15], v[18:19], 0.5
	v_fmac_f64_e32 v[18:19], v[18:19], v[30:31]
	v_fma_f64 v[38:39], -v[18:19], v[18:19], v[12:13]
	v_fmac_f64_e32 v[14:15], v[14:15], v[30:31]
	v_fmac_f64_e32 v[18:19], v[38:39], v[14:15]
	v_fma_f64 v[30:31], -v[18:19], v[18:19], v[12:13]
	v_fmac_f64_e32 v[18:19], v[30:31], v[14:15]
	v_cndmask_b32_e32 v14, 0, v4, vcc
	v_mov_b32_e32 v4, 0x260
	v_ldexp_f64 v[14:15], v[18:19], v14
	v_cmp_class_f64_e32 vcc, v[12:13], v4
	v_cndmask_b32_e32 v13, v15, v13, vcc
	v_cndmask_b32_e32 v12, v14, v12, vcc
	v_mul_f64 v[12:13], |v[52:53]|, v[12:13]
.LBB84_97:                              ;   in Loop: Header=BB84_47 Depth=2
	s_or_b64 exec, exec, s[40:41]
.LBB84_98:                              ;   in Loop: Header=BB84_47 Depth=2
	s_andn2_saveexec_b64 s[14:15], s[14:15]
	s_cbranch_execz .LBB84_100
; %bb.99:                               ;   in Loop: Header=BB84_47 Depth=2
	v_and_b32_e32 v13, 0x7fffffff, v53
	v_mov_b32_e32 v12, v52
	v_and_b32_e32 v15, 0x7fffffff, v33
	v_mov_b32_e32 v14, v32
	v_div_scale_f64 v[18:19], vcc, v[14:15], v[14:15], v[12:13]
	v_rcp_f64_e32 v[30:31], v[18:19]
	v_div_scale_f64 v[12:13], vcc, v[12:13], v[14:15], v[12:13]
	v_mov_b32_e32 v4, 0xffffff80
	v_fma_f64 v[38:39], -v[18:19], v[30:31], 1.0
	v_fmac_f64_e32 v[30:31], v[30:31], v[38:39]
	v_fma_f64 v[38:39], -v[18:19], v[30:31], 1.0
	v_fmac_f64_e32 v[30:31], v[30:31], v[38:39]
	v_mul_f64 v[14:15], v[12:13], v[30:31]
	v_fma_f64 v[12:13], -v[18:19], v[14:15], v[12:13]
	v_div_fmas_f64 v[12:13], v[12:13], v[30:31], v[14:15]
	v_div_fixup_f64 v[12:13], v[12:13], |v[32:33]|, |v[52:53]|
	v_fma_f64 v[12:13], v[12:13], v[12:13], 1.0
	v_cmp_gt_f64_e32 vcc, s[20:21], v[12:13]
	v_cndmask_b32_e64 v14, 0, 1, vcc
	v_lshlrev_b32_e32 v14, 8, v14
	v_ldexp_f64 v[12:13], v[12:13], v14
	v_rsq_f64_e32 v[14:15], v[12:13]
	v_mul_f64 v[18:19], v[12:13], v[14:15]
	v_mul_f64 v[14:15], v[14:15], 0.5
	v_fma_f64 v[30:31], -v[14:15], v[18:19], 0.5
	v_fmac_f64_e32 v[18:19], v[18:19], v[30:31]
	v_fma_f64 v[38:39], -v[18:19], v[18:19], v[12:13]
	v_fmac_f64_e32 v[14:15], v[14:15], v[30:31]
	v_fmac_f64_e32 v[18:19], v[38:39], v[14:15]
	v_fma_f64 v[30:31], -v[18:19], v[18:19], v[12:13]
	v_fmac_f64_e32 v[18:19], v[30:31], v[14:15]
	v_cndmask_b32_e32 v14, 0, v4, vcc
	v_mov_b32_e32 v4, 0x260
	v_ldexp_f64 v[14:15], v[18:19], v14
	v_cmp_class_f64_e32 vcc, v[12:13], v4
	v_cndmask_b32_e32 v13, v15, v13, vcc
	v_cndmask_b32_e32 v12, v14, v12, vcc
	v_mul_f64 v[12:13], |v[32:33]|, v[12:13]
.LBB84_100:                             ;   in Loop: Header=BB84_47 Depth=2
	s_or_b64 exec, exec, s[14:15]
	v_add_f64 v[14:15], v[54:55], v[16:17]
	v_cmp_gt_f64_e64 vcc, |v[54:55]|, |v[16:17]|
	v_cndmask_b32_e32 v31, v55, v17, vcc
	v_cndmask_b32_e32 v30, v54, v16, vcc
	;; [unrolled: 1-line block ×4, first 2 shown]
	v_cmp_ngt_f64_e32 vcc, 0, v[14:15]
                                        ; implicit-def: $vgpr54
                                        ; implicit-def: $vgpr18_vgpr19
	s_and_saveexec_b64 s[14:15], vcc
	s_xor_b64 s[14:15], exec, s[14:15]
	s_cbranch_execz .LBB84_106
; %bb.101:                              ;   in Loop: Header=BB84_47 Depth=2
	v_cmp_nlt_f64_e32 vcc, 0, v[14:15]
                                        ; implicit-def: $sgpr42
                                        ; implicit-def: $vgpr18_vgpr19
	s_and_saveexec_b64 s[40:41], vcc
	s_xor_b64 vcc, exec, s[40:41]
; %bb.102:                              ;   in Loop: Header=BB84_47 Depth=2
	v_mul_f64 v[16:17], v[12:13], 0.5
	v_mul_f64 v[18:19], v[12:13], -0.5
	s_mov_b32 s42, 1
                                        ; implicit-def: $vgpr14_vgpr15
                                        ; implicit-def: $vgpr38_vgpr39
                                        ; implicit-def: $vgpr10_vgpr11
                                        ; implicit-def: $vgpr30_vgpr31
; %bb.103:                              ;   in Loop: Header=BB84_47 Depth=2
	s_or_saveexec_b64 s[40:41], vcc
	v_mov_b32_e32 v54, s42
	s_xor_b64 exec, exec, s[40:41]
	s_cbranch_execz .LBB84_105
; %bb.104:                              ;   in Loop: Header=BB84_47 Depth=2
	v_add_f64 v[14:15], v[14:15], v[12:13]
	v_mul_f64 v[16:17], v[14:15], 0.5
	v_div_scale_f64 v[14:15], vcc, v[16:17], v[16:17], v[38:39]
	v_rcp_f64_e32 v[18:19], v[14:15]
	v_div_scale_f64 v[54:55], vcc, v[38:39], v[16:17], v[38:39]
	v_fma_f64 v[44:45], -v[14:15], v[18:19], 1.0
	v_fmac_f64_e32 v[18:19], v[18:19], v[44:45]
	v_fma_f64 v[44:45], -v[14:15], v[18:19], 1.0
	v_fmac_f64_e32 v[18:19], v[18:19], v[44:45]
	v_mul_f64 v[44:45], v[54:55], v[18:19]
	v_fma_f64 v[14:15], -v[14:15], v[44:45], v[54:55]
	v_div_scale_f64 v[54:55], s[42:43], v[16:17], v[16:17], v[10:11]
	v_rcp_f64_e32 v[46:47], v[54:55]
	v_div_fmas_f64 v[14:15], v[14:15], v[18:19], v[44:45]
	v_div_fixup_f64 v[14:15], v[14:15], v[16:17], v[38:39]
	v_fma_f64 v[18:19], -v[54:55], v[46:47], 1.0
	v_fmac_f64_e32 v[46:47], v[46:47], v[18:19]
	v_fma_f64 v[18:19], -v[54:55], v[46:47], 1.0
	v_fmac_f64_e32 v[46:47], v[46:47], v[18:19]
	v_div_scale_f64 v[18:19], vcc, v[10:11], v[16:17], v[10:11]
	v_mul_f64 v[38:39], v[18:19], v[46:47]
	v_fma_f64 v[18:19], -v[54:55], v[38:39], v[18:19]
	v_mov_b32_e32 v54, 1
	s_nop 0
	v_div_fmas_f64 v[18:19], v[18:19], v[46:47], v[38:39]
	v_div_fixup_f64 v[18:19], v[18:19], v[16:17], v[10:11]
	v_mul_f64 v[10:11], v[10:11], v[18:19]
	v_fma_f64 v[18:19], v[30:31], v[14:15], -v[10:11]
.LBB84_105:                             ;   in Loop: Header=BB84_47 Depth=2
	s_or_b64 exec, exec, s[40:41]
                                        ; implicit-def: $vgpr14_vgpr15
                                        ; implicit-def: $vgpr38_vgpr39
                                        ; implicit-def: $vgpr10_vgpr11
                                        ; implicit-def: $vgpr30_vgpr31
.LBB84_106:                             ;   in Loop: Header=BB84_47 Depth=2
	s_andn2_saveexec_b64 s[14:15], s[14:15]
	s_cbranch_execz .LBB84_108
; %bb.107:                              ;   in Loop: Header=BB84_47 Depth=2
	v_add_f64 v[14:15], v[14:15], -v[12:13]
	v_mul_f64 v[16:17], v[14:15], 0.5
	v_div_scale_f64 v[14:15], vcc, v[16:17], v[16:17], v[38:39]
	v_rcp_f64_e32 v[18:19], v[14:15]
	v_div_scale_f64 v[54:55], vcc, v[38:39], v[16:17], v[38:39]
	v_fma_f64 v[44:45], -v[14:15], v[18:19], 1.0
	v_fmac_f64_e32 v[18:19], v[18:19], v[44:45]
	v_fma_f64 v[44:45], -v[14:15], v[18:19], 1.0
	v_fmac_f64_e32 v[18:19], v[18:19], v[44:45]
	v_mul_f64 v[44:45], v[54:55], v[18:19]
	v_fma_f64 v[14:15], -v[14:15], v[44:45], v[54:55]
	v_div_scale_f64 v[54:55], s[40:41], v[16:17], v[16:17], v[10:11]
	v_rcp_f64_e32 v[46:47], v[54:55]
	v_div_fmas_f64 v[14:15], v[14:15], v[18:19], v[44:45]
	v_div_fixup_f64 v[14:15], v[14:15], v[16:17], v[38:39]
	v_fma_f64 v[18:19], -v[54:55], v[46:47], 1.0
	v_fmac_f64_e32 v[46:47], v[46:47], v[18:19]
	v_fma_f64 v[18:19], -v[54:55], v[46:47], 1.0
	v_fmac_f64_e32 v[46:47], v[46:47], v[18:19]
	v_div_scale_f64 v[18:19], vcc, v[10:11], v[16:17], v[10:11]
	v_mul_f64 v[38:39], v[18:19], v[46:47]
	v_fma_f64 v[18:19], -v[54:55], v[38:39], v[18:19]
	v_mov_b32_e32 v54, -1
	s_nop 0
	v_div_fmas_f64 v[18:19], v[18:19], v[46:47], v[38:39]
	v_div_fixup_f64 v[18:19], v[18:19], v[16:17], v[10:11]
	v_mul_f64 v[10:11], v[10:11], v[18:19]
	v_fma_f64 v[18:19], v[30:31], v[14:15], -v[10:11]
.LBB84_108:                             ;   in Loop: Header=BB84_47 Depth=2
	s_or_b64 exec, exec, s[14:15]
	v_xor_b32_e32 v10, 0x80000000, v13
	v_cmp_nle_f64_e64 s[14:15], 0, v[32:33]
	v_cndmask_b32_e64 v11, v13, v10, s[14:15]
	v_cndmask_b32_e64 v10, v12, v12, s[14:15]
	v_add_f64 v[10:11], v[32:33], v[10:11]
	v_cmp_ngt_f64_e64 vcc, |v[10:11]|, |v[52:53]|
                                        ; implicit-def: $vgpr12_vgpr13
                                        ; implicit-def: $vgpr14_vgpr15
	s_and_saveexec_b64 s[40:41], vcc
	s_xor_b64 s[40:41], exec, s[40:41]
	s_cbranch_execz .LBB84_112
; %bb.109:                              ;   in Loop: Header=BB84_47 Depth=2
	v_mov_b32_e32 v12, 0
	v_cmp_neq_f64_e32 vcc, 0, v[52:53]
	v_mov_b32_e32 v13, 0x3ff00000
	v_pk_mov_b32 v[14:15], 0, 0
	s_and_saveexec_b64 s[42:43], vcc
	s_cbranch_execz .LBB84_111
; %bb.110:                              ;   in Loop: Header=BB84_47 Depth=2
	v_div_scale_f64 v[12:13], vcc, v[52:53], v[52:53], -v[10:11]
	v_rcp_f64_e32 v[14:15], v[12:13]
	v_div_scale_f64 v[30:31], vcc, -v[10:11], v[52:53], -v[10:11]
	v_mov_b32_e32 v4, 0xffffff80
	v_fma_f64 v[32:33], -v[12:13], v[14:15], 1.0
	v_fmac_f64_e32 v[14:15], v[14:15], v[32:33]
	v_fma_f64 v[32:33], -v[12:13], v[14:15], 1.0
	v_fmac_f64_e32 v[14:15], v[14:15], v[32:33]
	v_mul_f64 v[32:33], v[30:31], v[14:15]
	v_fma_f64 v[12:13], -v[12:13], v[32:33], v[30:31]
	v_div_fmas_f64 v[12:13], v[12:13], v[14:15], v[32:33]
	v_div_fixup_f64 v[10:11], v[12:13], v[52:53], -v[10:11]
	v_fma_f64 v[12:13], v[10:11], v[10:11], 1.0
	v_cmp_gt_f64_e32 vcc, s[20:21], v[12:13]
	v_cndmask_b32_e64 v14, 0, 1, vcc
	v_lshlrev_b32_e32 v14, 8, v14
	v_ldexp_f64 v[12:13], v[12:13], v14
	v_rsq_f64_e32 v[14:15], v[12:13]
	v_mul_f64 v[30:31], v[12:13], v[14:15]
	v_mul_f64 v[14:15], v[14:15], 0.5
	v_fma_f64 v[32:33], -v[14:15], v[30:31], 0.5
	v_fmac_f64_e32 v[30:31], v[30:31], v[32:33]
	v_fma_f64 v[38:39], -v[30:31], v[30:31], v[12:13]
	v_fmac_f64_e32 v[14:15], v[14:15], v[32:33]
	v_fmac_f64_e32 v[30:31], v[38:39], v[14:15]
	v_fma_f64 v[32:33], -v[30:31], v[30:31], v[12:13]
	v_fmac_f64_e32 v[30:31], v[32:33], v[14:15]
	v_cndmask_b32_e32 v14, 0, v4, vcc
	v_mov_b32_e32 v4, 0x260
	v_ldexp_f64 v[14:15], v[30:31], v14
	v_cmp_class_f64_e32 vcc, v[12:13], v4
	v_cndmask_b32_e32 v13, v15, v13, vcc
	v_cndmask_b32_e32 v12, v14, v12, vcc
	v_div_scale_f64 v[14:15], vcc, v[12:13], v[12:13], 1.0
	v_rcp_f64_e32 v[30:31], v[14:15]
	v_fma_f64 v[32:33], -v[14:15], v[30:31], 1.0
	v_fmac_f64_e32 v[30:31], v[30:31], v[32:33]
	v_fma_f64 v[32:33], -v[14:15], v[30:31], 1.0
	v_fmac_f64_e32 v[30:31], v[30:31], v[32:33]
	v_div_scale_f64 v[32:33], vcc, 1.0, v[12:13], 1.0
	v_mul_f64 v[38:39], v[32:33], v[30:31]
	v_fma_f64 v[14:15], -v[14:15], v[38:39], v[32:33]
	s_nop 1
	v_div_fmas_f64 v[14:15], v[14:15], v[30:31], v[38:39]
	v_div_fixup_f64 v[12:13], v[14:15], v[12:13], 1.0
	v_mul_f64 v[14:15], v[10:11], v[12:13]
.LBB84_111:                             ;   in Loop: Header=BB84_47 Depth=2
	s_or_b64 exec, exec, s[42:43]
                                        ; implicit-def: $vgpr10_vgpr11
                                        ; implicit-def: $vgpr52_vgpr53
.LBB84_112:                             ;   in Loop: Header=BB84_47 Depth=2
	s_andn2_saveexec_b64 s[40:41], s[40:41]
	s_cbranch_execz .LBB84_114
; %bb.113:                              ;   in Loop: Header=BB84_47 Depth=2
	v_div_scale_f64 v[12:13], vcc, v[10:11], v[10:11], -v[52:53]
	v_rcp_f64_e32 v[14:15], v[12:13]
	v_div_scale_f64 v[30:31], vcc, -v[52:53], v[10:11], -v[52:53]
	v_mov_b32_e32 v4, 0xffffff80
	v_fma_f64 v[32:33], -v[12:13], v[14:15], 1.0
	v_fmac_f64_e32 v[14:15], v[14:15], v[32:33]
	v_fma_f64 v[32:33], -v[12:13], v[14:15], 1.0
	v_fmac_f64_e32 v[14:15], v[14:15], v[32:33]
	v_mul_f64 v[32:33], v[30:31], v[14:15]
	v_fma_f64 v[12:13], -v[12:13], v[32:33], v[30:31]
	v_div_fmas_f64 v[12:13], v[12:13], v[14:15], v[32:33]
	v_div_fixup_f64 v[10:11], v[12:13], v[10:11], -v[52:53]
	v_fma_f64 v[12:13], v[10:11], v[10:11], 1.0
	v_cmp_gt_f64_e32 vcc, s[20:21], v[12:13]
	v_cndmask_b32_e64 v14, 0, 1, vcc
	v_lshlrev_b32_e32 v14, 8, v14
	v_ldexp_f64 v[12:13], v[12:13], v14
	v_rsq_f64_e32 v[14:15], v[12:13]
	v_mul_f64 v[30:31], v[12:13], v[14:15]
	v_mul_f64 v[14:15], v[14:15], 0.5
	v_fma_f64 v[32:33], -v[14:15], v[30:31], 0.5
	v_fmac_f64_e32 v[30:31], v[30:31], v[32:33]
	v_fma_f64 v[38:39], -v[30:31], v[30:31], v[12:13]
	v_fmac_f64_e32 v[14:15], v[14:15], v[32:33]
	v_fmac_f64_e32 v[30:31], v[38:39], v[14:15]
	v_fma_f64 v[32:33], -v[30:31], v[30:31], v[12:13]
	v_fmac_f64_e32 v[30:31], v[32:33], v[14:15]
	v_cndmask_b32_e32 v14, 0, v4, vcc
	v_mov_b32_e32 v4, 0x260
	v_ldexp_f64 v[14:15], v[30:31], v14
	v_cmp_class_f64_e32 vcc, v[12:13], v4
	v_cndmask_b32_e32 v13, v15, v13, vcc
	v_cndmask_b32_e32 v12, v14, v12, vcc
	v_div_scale_f64 v[14:15], vcc, v[12:13], v[12:13], 1.0
	v_rcp_f64_e32 v[30:31], v[14:15]
	v_fma_f64 v[32:33], -v[14:15], v[30:31], 1.0
	v_fmac_f64_e32 v[30:31], v[30:31], v[32:33]
	v_fma_f64 v[32:33], -v[14:15], v[30:31], 1.0
	v_fmac_f64_e32 v[30:31], v[30:31], v[32:33]
	v_div_scale_f64 v[32:33], vcc, 1.0, v[12:13], 1.0
	v_mul_f64 v[38:39], v[32:33], v[30:31]
	v_fma_f64 v[14:15], -v[14:15], v[38:39], v[32:33]
	s_nop 1
	v_div_fmas_f64 v[14:15], v[14:15], v[30:31], v[38:39]
	v_div_fixup_f64 v[14:15], v[14:15], v[12:13], 1.0
	v_mul_f64 v[12:13], v[10:11], v[14:15]
.LBB84_114:                             ;   in Loop: Header=BB84_47 Depth=2
	s_or_b64 exec, exec, s[40:41]
	v_cndmask_b32_e64 v10, 1, -1, s[14:15]
	v_xor_b32_e32 v22, 0x80000000, v15
	v_cmp_eq_u32_e32 vcc, v54, v10
	v_accvgpr_read_b32 v4, a23
	v_cndmask_b32_e32 v11, v15, v13, vcc
	v_cndmask_b32_e32 v10, v14, v12, vcc
	;; [unrolled: 1-line block ×4, first 2 shown]
	v_add_co_u32_e32 v14, vcc, v4, v28
	v_accvgpr_read_b32 v4, a22
	v_addc_co_u32_e32 v15, vcc, v4, v29, vcc
	flat_store_dwordx2 v[14:15], v[12:13]
	v_accvgpr_read_b32 v12, a32
	v_accvgpr_read_b32 v13, a33
	v_add_co_u32_e32 v12, vcc, v14, v12
	v_addc_co_u32_e32 v13, vcc, v15, v13, vcc
	flat_store_dwordx2 v[12:13], v[10:11]
	flat_store_dwordx4 v[60:61], v[16:19]
	buffer_load_dword v10, off, s[0:3], s32 offset:112 ; 4-byte Folded Reload
	s_nop 0
	buffer_load_dword v11, off, s[0:3], s32 offset:116 ; 4-byte Folded Reload
	v_accvgpr_read_b32 v33, a11
	v_accvgpr_read_b32 v32, a10
	s_waitcnt vmcnt(0)
	v_mov_b32_e32 v4, v10
	v_mov_b32_e32 v11, v10
	buffer_store_dword v4, off, s[0:3], s32 offset:112 ; 4-byte Folded Spill
	s_nop 0
	buffer_store_dword v5, off, s[0:3], s32 offset:116 ; 4-byte Folded Spill
	flat_store_dwordx2 v[26:27], v[10:11]
	v_add_u32_e32 v10, 2, v58
	v_accvgpr_read_b32 v4, a8
	ds_write_b32 v0, v10
	s_or_b64 exec, exec, s[38:39]
                                        ; implicit-def: $vgpr60_vgpr61
                                        ; implicit-def: $vgpr54_vgpr55
                                        ; implicit-def: $vgpr10
.LBB84_115:                             ;   in Loop: Header=BB84_47 Depth=2
	s_andn2_saveexec_b64 s[14:15], s[36:37]
	s_cbranch_execz .LBB84_117
.LBB84_116:                             ;   in Loop: Header=BB84_47 Depth=2
	flat_store_dwordx2 v[60:61], v[54:55]
	ds_write_b32 v0, v10
.LBB84_117:                             ;   in Loop: Header=BB84_47 Depth=2
	s_or_b64 exec, exec, s[14:15]
.LBB84_118:                             ;   in Loop: Header=BB84_47 Depth=2
	s_or_b64 exec, exec, s[34:35]
	s_waitcnt lgkmcnt(0)
	s_barrier
	s_waitcnt vmcnt(0)
	ds_read_b32 v58, v1
	ds_read_b32 v1, v0
	s_waitcnt lgkmcnt(0)
	v_cmp_ne_u32_e32 vcc, v58, v1
	s_and_saveexec_b64 s[34:35], vcc
	s_cbranch_execz .LBB84_46
; %bb.119:                              ;   in Loop: Header=BB84_47 Depth=2
	s_and_saveexec_b64 s[36:37], s[10:11]
	s_cbranch_execz .LBB84_45
; %bb.120:                              ;   in Loop: Header=BB84_47 Depth=2
	v_accvgpr_read_b32 v10, a10
	v_accvgpr_read_b32 v11, a11
	global_load_dword v1, v[10:11], off offset:16
	v_accvgpr_read_b32 v4, a23
	s_mov_b64 s[38:39], 0
	s_waitcnt vmcnt(0)
	ds_read_b32 v10, v1
	buffer_load_dword v12, off, s[0:3], s32 offset:112 ; 4-byte Folded Reload
	buffer_load_dword v13, off, s[0:3], s32 offset:116 ; 4-byte Folded Reload
	s_waitcnt lgkmcnt(0)
	v_mul_lo_u32 v14, v10, v20
	v_sub_u32_e32 v1, v58, v10
	v_ashrrev_i32_e32 v15, 31, v14
	v_mad_i64_i32 v[16:17], s[14:15], v1, v20, 0
	v_lshlrev_b64 v[14:15], 3, v[14:15]
	v_ashrrev_i32_e32 v11, 31, v10
	v_lshlrev_b64 v[10:11], 3, v[10:11]
	v_lshlrev_b64 v[16:17], 3, v[16:17]
	v_cmp_lt_i32_e32 vcc, 0, v1
	s_waitcnt vmcnt(0)
	v_mov_b32_e32 v13, v12
	v_add_u32_e32 v12, -1, v1
	v_lshlrev_b64 v[18:19], 3, v[12:13]
	v_accvgpr_read_b32 v13, a7
	v_add_co_u32_e64 v30, s[14:15], v13, v14
	v_accvgpr_read_b32 v13, a6
	v_addc_co_u32_e64 v31, s[14:15], v13, v15, s[14:15]
	v_mad_u64_u32 v[14:15], s[14:15], v48, v12, v[14:15]
	v_add_co_u32_e64 v10, s[14:15], v10, v18
	v_addc_co_u32_e64 v11, s[14:15], v11, v19, s[14:15]
	v_add_co_u32_e64 v32, s[14:15], v30, v16
	v_addc_co_u32_e64 v33, s[14:15], v31, v17, s[14:15]
	v_mov_b32_e32 v16, v15
	v_add_co_u32_e64 v10, s[14:15], v4, v10
	v_accvgpr_read_b32 v4, a22
	v_addc_co_u32_e64 v11, s[14:15], v4, v11, s[14:15]
	v_mad_u64_u32 v[12:13], s[14:15], v49, v12, v[16:17]
	v_accvgpr_read_b32 v4, a36
	v_mov_b32_e32 v13, v12
	v_add_co_u32_e64 v12, s[14:15], v4, v14
	v_accvgpr_read_b32 v4, a37
	v_accvgpr_read_b32 v17, a15
	v_addc_co_u32_e64 v13, s[14:15], v4, v13, s[14:15]
	v_accvgpr_read_b32 v16, a14
	s_branch .LBB84_122
.LBB84_121:                             ;   in Loop: Header=BB84_122 Depth=3
	s_or_b64 exec, exec, s[40:41]
	v_add_u32_e32 v16, v16, v24
	v_cmp_ge_i32_e64 s[14:15], v16, v2
	s_or_b64 s[38:39], s[14:15], s[38:39]
	v_add_co_u32_e64 v12, s[14:15], v12, v36
	v_addc_co_u32_e64 v13, s[14:15], v13, v37, s[14:15]
	s_waitcnt vmcnt(0) lgkmcnt(0)
	flat_store_dwordx2 v[18:19], v[28:29]
	s_andn2_b64 exec, exec, s[38:39]
	s_cbranch_execz .LBB84_45
.LBB84_122:                             ;   Parent Loop BB84_8 Depth=1
                                        ;     Parent Loop BB84_47 Depth=2
                                        ; =>    This Loop Header: Depth=3
                                        ;         Child Loop BB84_124 Depth 4
	v_ashrrev_i32_e32 v17, 31, v16
	v_lshlrev_b64 v[14:15], 3, v[16:17]
	v_add_co_u32_e64 v18, s[14:15], v32, v14
	v_addc_co_u32_e64 v19, s[14:15], v33, v15, s[14:15]
	flat_load_dwordx2 v[28:29], v[18:19]
	v_add_co_u32_e64 v18, s[14:15], v30, v14
	v_addc_co_u32_e64 v19, s[14:15], v31, v15, s[14:15]
	s_and_saveexec_b64 s[40:41], vcc
	s_cbranch_execz .LBB84_121
; %bb.123:                              ;   in Loop: Header=BB84_122 Depth=3
	s_mov_b64 s[42:43], 0
	v_pk_mov_b32 v[14:15], v[10:11], v[10:11] op_sel:[0,1]
	v_pk_mov_b32 v[26:27], v[12:13], v[12:13] op_sel:[0,1]
	v_mov_b32_e32 v17, v1
.LBB84_124:                             ;   Parent Loop BB84_8 Depth=1
                                        ;     Parent Loop BB84_47 Depth=2
                                        ;       Parent Loop BB84_122 Depth=3
                                        ; =>      This Inner Loop Header: Depth=4
	v_add_co_u32_e64 v38, s[14:15], v14, v3
	v_addc_co_u32_e64 v39, s[14:15], v15, v51, s[14:15]
	flat_load_dwordx2 v[52:53], v[26:27]
	flat_load_dwordx2 v[54:55], v[14:15]
	s_nop 0
	flat_load_dwordx2 v[38:39], v[38:39]
	s_waitcnt vmcnt(0) lgkmcnt(0)
	v_pk_mov_b32 v[44:45], v[28:29], v[28:29] op_sel:[0,1]
	v_mad_u64_u32 v[28:29], s[14:15], v17, v20, 0
	v_add_co_u32_e64 v26, s[14:15], v26, v62
	v_addc_co_u32_e64 v27, s[14:15], v27, v50, s[14:15]
	v_mov_b32_e32 v46, v29
	v_add_co_u32_e64 v14, s[14:15], -8, v14
	v_mad_u64_u32 v[46:47], s[44:45], v17, v21, v[46:47]
	v_add_u32_e32 v22, -1, v17
	v_addc_co_u32_e64 v15, s[14:15], -1, v15, s[14:15]
	v_mov_b32_e32 v29, v46
	v_cmp_eq_u32_e64 s[14:15], 0, v22
	v_lshlrev_b64 v[28:29], 3, v[28:29]
	s_or_b64 s[42:43], s[14:15], s[42:43]
	v_add_co_u32_e64 v46, s[14:15], v18, v28
	v_addc_co_u32_e64 v47, s[14:15], v19, v29, s[14:15]
	v_mov_b32_e32 v17, v22
	v_mul_f64 v[28:29], v[54:55], v[52:53]
	v_mul_f64 v[52:53], v[38:39], v[52:53]
	v_fmac_f64_e32 v[28:29], v[44:45], v[38:39]
	v_fma_f64 v[38:39], v[44:45], v[54:55], -v[52:53]
	flat_store_dwordx2 v[46:47], v[38:39]
	s_andn2_b64 exec, exec, s[42:43]
	s_cbranch_execnz .LBB84_124
; %bb.125:                              ;   in Loop: Header=BB84_122 Depth=3
	s_or_b64 exec, exec, s[42:43]
	s_branch .LBB84_121
.LBB84_126:                             ;   in Loop: Header=BB84_47 Depth=2
	s_or_b64 exec, exec, s[38:39]
                                        ; implicit-def: $vgpr60_vgpr61
                                        ; implicit-def: $vgpr54_vgpr55
                                        ; implicit-def: $vgpr10
	s_andn2_saveexec_b64 s[14:15], s[36:37]
	s_cbranch_execnz .LBB84_116
	s_branch .LBB84_117
.LBB84_127:                             ;   in Loop: Header=BB84_8 Depth=1
	v_lshlrev_b64 v[0:1], 3, v[16:17]
	v_add_co_u32_e32 v10, vcc, v7, v0
	v_addc_co_u32_e32 v11, vcc, v4, v1, vcc
	flat_load_dwordx2 v[12:13], v[10:11]
	v_accvgpr_write_b32 a0, v16
	v_add_co_u32_e32 v18, vcc, v5, v0
	v_accvgpr_write_b32 a1, v17
	v_addc_co_u32_e32 v19, vcc, v6, v1, vcc
	s_mov_b64 s[30:31], 0
	v_pk_mov_b32 v[26:27], v[16:17], v[16:17] op_sel:[0,1]
                                        ; implicit-def: $sgpr28_sgpr29
                                        ; implicit-def: $sgpr36_sgpr37
                                        ; implicit-def: $sgpr34_sgpr35
	s_branch .LBB84_129
.LBB84_128:                             ;   in Loop: Header=BB84_129 Depth=2
	s_or_b64 exec, exec, s[12:13]
	s_xor_b64 s[12:13], s[34:35], -1
	s_and_b64 vcc, exec, s[36:37]
	s_or_b64 s[30:31], vcc, s[30:31]
	s_andn2_b64 s[28:29], s[28:29], exec
	s_and_b64 s[12:13], s[12:13], exec
	s_or_b64 s[28:29], s[28:29], s[12:13]
	s_andn2_b64 exec, exec, s[30:31]
	s_cbranch_execz .LBB84_131
.LBB84_129:                             ;   Parent Loop BB84_8 Depth=1
                                        ; =>  This Inner Loop Header: Depth=2
	s_waitcnt vmcnt(0) lgkmcnt(0)
	v_cmp_lt_f64_e64 vcc, |v[12:13]|, s[20:21]
	v_cndmask_b32_e64 v0, 0, 1, vcc
	v_lshlrev_b32_e32 v0, 8, v0
	v_ldexp_f64 v[14:15], |v[12:13]|, v0
	flat_load_dwordx2 v[12:13], v[10:11] offset:8
	v_pk_mov_b32 v[56:57], v[18:19], v[18:19] op_sel:[0,1]
	flat_load_dwordx2 v[18:19], v[18:19]
	v_rsq_f64_e32 v[0:1], v[14:15]
	v_accvgpr_write_b32 a41, v27
	v_accvgpr_write_b32 a40, v26
	v_mov_b32_e32 v23, 0xffffff80
	v_mul_f64 v[26:27], v[14:15], v[0:1]
	v_mul_f64 v[0:1], v[0:1], 0.5
	v_fma_f64 v[28:29], -v[0:1], v[26:27], 0.5
	v_fmac_f64_e32 v[26:27], v[26:27], v[28:29]
	v_fmac_f64_e32 v[0:1], v[0:1], v[28:29]
	v_fma_f64 v[28:29], -v[26:27], v[26:27], v[14:15]
	v_fmac_f64_e32 v[26:27], v[28:29], v[0:1]
	v_fma_f64 v[28:29], -v[26:27], v[26:27], v[14:15]
	v_cndmask_b32_e32 v17, 0, v23, vcc
	v_fmac_f64_e32 v[26:27], v[28:29], v[0:1]
	v_ldexp_f64 v[0:1], v[26:27], v17
	v_mov_b32_e32 v22, 0x260
	v_cmp_class_f64_e64 s[12:13], v[14:15], v22
	v_cndmask_b32_e64 v1, v1, v15, s[12:13]
	v_cndmask_b32_e64 v0, v0, v14, s[12:13]
	s_or_b64 s[34:35], s[34:35], exec
	s_or_b64 s[36:37], s[36:37], exec
	s_waitcnt vmcnt(0) lgkmcnt(0)
	v_cmp_lt_f64_e64 vcc, |v[12:13]|, s[20:21]
	v_cndmask_b32_e64 v17, 0, 1, vcc
	v_lshlrev_b32_e32 v17, 8, v17
	v_ldexp_f64 v[26:27], |v[12:13]|, v17
	v_rsq_f64_e32 v[28:29], v[26:27]
	v_cndmask_b32_e32 v17, 0, v23, vcc
	v_cmp_class_f64_e32 vcc, v[26:27], v22
	v_mul_f64 v[14:15], v[26:27], v[28:29]
	v_mul_f64 v[28:29], v[28:29], 0.5
	v_fma_f64 v[30:31], -v[28:29], v[14:15], 0.5
	v_fmac_f64_e32 v[14:15], v[14:15], v[30:31]
	v_fmac_f64_e32 v[28:29], v[28:29], v[30:31]
	v_fma_f64 v[30:31], -v[14:15], v[14:15], v[26:27]
	v_fmac_f64_e32 v[14:15], v[30:31], v[28:29]
	v_fma_f64 v[30:31], -v[14:15], v[14:15], v[26:27]
	v_fmac_f64_e32 v[14:15], v[30:31], v[28:29]
	v_ldexp_f64 v[14:15], v[14:15], v17
	v_cndmask_b32_e32 v15, v15, v27, vcc
	v_cndmask_b32_e32 v14, v14, v26, vcc
	v_mul_f64 v[0:1], v[0:1], v[14:15]
	v_accvgpr_read_b32 v14, a20
	v_accvgpr_read_b32 v15, a21
	v_mul_f64 v[0:1], v[0:1], v[14:15]
	v_cmp_nle_f64_e64 vcc, |v[18:19]|, v[0:1]
                                        ; implicit-def: $vgpr26_vgpr27
                                        ; implicit-def: $vgpr18_vgpr19
	s_and_saveexec_b64 s[12:13], vcc
	s_cbranch_execz .LBB84_128
; %bb.130:                              ;   in Loop: Header=BB84_129 Depth=2
	v_add_co_u32_e32 v10, vcc, 8, v10
	v_addc_co_u32_e32 v11, vcc, 0, v11, vcc
	v_accvgpr_read_b32 v0, a40
	v_accvgpr_read_b32 v1, a41
	v_add_co_u32_e32 v26, vcc, 1, v0
	v_addc_co_u32_e32 v27, vcc, 0, v1, vcc
	v_add_co_u32_e32 v18, vcc, 8, v56
	v_addc_co_u32_e32 v19, vcc, 0, v57, vcc
	v_accvgpr_read_b32 v0, a24
	v_cmp_ge_i32_e32 vcc, v26, v0
	s_andn2_b64 s[36:37], s[36:37], exec
	s_and_b64 vcc, vcc, exec
	s_andn2_b64 s[34:35], s[34:35], exec
	s_or_b64 s[36:37], s[36:37], vcc
	v_accvgpr_read_b32 v1, a25
	s_branch .LBB84_128
.LBB84_131:                             ;   in Loop: Header=BB84_8 Depth=1
	s_or_b64 exec, exec, s[30:31]
	s_andn2_b64 s[24:25], s[24:25], exec
	s_and_b64 s[28:29], s[28:29], exec
	v_accvgpr_read_b32 v12, a24
	v_accvgpr_read_b32 v19, a1
	s_mov_b64 s[12:13], exec
	s_or_b64 s[24:25], s[24:25], s[28:29]
	v_accvgpr_read_b32 v13, a25
	v_mov_b32_e32 v1, v12
	v_accvgpr_read_b32 v18, a0
	s_or_b64 exec, exec, s[26:27]
	s_and_saveexec_b64 s[26:27], s[24:25]
	s_cbranch_execz .LBB84_17
.LBB84_132:                             ;   in Loop: Header=BB84_8 Depth=1
	global_load_dword v0, v[32:33], off offset:4
	s_andn2_b64 s[12:13], s[12:13], exec
	s_waitcnt vmcnt(0)
	ds_write_b32 v0, v1
	s_or_b64 exec, exec, s[26:27]
	s_and_saveexec_b64 s[24:25], s[12:13]
	s_cbranch_execnz .LBB84_18
	s_branch .LBB84_19
.LBB84_133:                             ;   in Loop: Header=BB84_8 Depth=1
	s_or_b64 exec, exec, s[30:31]
.LBB84_134:                             ;   in Loop: Header=BB84_8 Depth=1
	s_or_b64 exec, exec, s[28:29]
                                        ; implicit-def: $vgpr0
                                        ; implicit-def: $vgpr14
                                        ; implicit-def: $vgpr58
                                        ; implicit-def: $vgpr26
.LBB84_135:                             ;   in Loop: Header=BB84_8 Depth=1
	s_andn2_saveexec_b64 s[14:15], s[26:27]
	s_cbranch_execz .LBB84_222
; %bb.136:                              ;   in Loop: Header=BB84_8 Depth=1
	s_and_saveexec_b64 s[26:27], s[12:13]
	s_cbranch_execz .LBB84_221
; %bb.137:                              ;   in Loop: Header=BB84_8 Depth=1
	s_mov_b64 s[28:29], 0
	s_branch .LBB84_140
.LBB84_138:                             ;   in Loop: Header=BB84_140 Depth=2
	s_or_b64 exec, exec, s[34:35]
	s_waitcnt lgkmcnt(0)
	s_barrier
	ds_read_b32 v58, v0
	v_accvgpr_read_b32 v33, a11
	v_accvgpr_read_b32 v4, a8
	;; [unrolled: 1-line block ×3, first 2 shown]
.LBB84_139:                             ;   in Loop: Header=BB84_140 Depth=2
	s_or_b64 exec, exec, s[30:31]
	v_accvgpr_read_b32 v10, a42
	v_accvgpr_read_b32 v1, a38
	ds_read_b32 v14, v10
	ds_read_b32 v26, v1
	v_accvgpr_read_b32 v1, a9
	v_accvgpr_read_b32 v11, a43
	s_waitcnt lgkmcnt(0)
	v_cmp_lt_i32_e32 vcc, v58, v14
	v_cmp_ge_i32_e64 s[12:13], v26, v1
	s_or_b64 s[12:13], vcc, s[12:13]
	s_and_b64 s[12:13], exec, s[12:13]
	s_or_b64 s[28:29], s[12:13], s[28:29]
	s_andn2_b64 exec, exec, s[28:29]
	s_cbranch_execz .LBB84_220
.LBB84_140:                             ;   Parent Loop BB84_8 Depth=1
                                        ; =>  This Loop Header: Depth=2
                                        ;       Child Loop BB84_177 Depth 3
                                        ;       Child Loop BB84_162 Depth 3
	;; [unrolled: 1-line block ×3, first 2 shown]
                                        ;         Child Loop BB84_217 Depth 4
                                        ; implicit-def: $vgpr1
	s_and_saveexec_b64 s[12:13], s[4:5]
	s_xor_b64 s[12:13], exec, s[12:13]
	s_cbranch_execz .LBB84_142
; %bb.141:                              ;   in Loop: Header=BB84_140 Depth=2
	global_load_dword v1, v[32:33], off offset:4
                                        ; implicit-def: $vgpr58
                                        ; implicit-def: $vgpr14
                                        ; implicit-def: $vgpr26
.LBB84_142:                             ;   in Loop: Header=BB84_140 Depth=2
	s_andn2_saveexec_b64 s[30:31], s[12:13]
	s_cbranch_execz .LBB84_211
; %bb.143:                              ;   in Loop: Header=BB84_140 Depth=2
	v_cmp_le_i32_e32 vcc, v58, v14
	s_mov_b64 s[38:39], 0
	v_ashrrev_i32_e32 v59, 31, v58
	s_mov_b64 s[12:13], 0
                                        ; implicit-def: $vgpr10_vgpr11
	s_and_saveexec_b64 s[34:35], vcc
	s_xor_b64 vcc, exec, s[34:35]
	s_cbranch_execnz .LBB84_174
; %bb.144:                              ;   in Loop: Header=BB84_140 Depth=2
	s_or_saveexec_b64 s[34:35], vcc
	v_mov_b32_e32 v16, v58
	s_xor_b64 exec, exec, s[34:35]
	s_cbranch_execnz .LBB84_175
.LBB84_145:                             ;   in Loop: Header=BB84_140 Depth=2
	s_or_b64 exec, exec, s[34:35]
                                        ; implicit-def: $vgpr1
	s_and_saveexec_b64 vcc, s[12:13]
	s_cbranch_execnz .LBB84_180
.LBB84_146:                             ;   in Loop: Header=BB84_140 Depth=2
	s_or_b64 exec, exec, vcc
	s_and_saveexec_b64 s[12:13], s[38:39]
	s_cbranch_execz .LBB84_148
.LBB84_147:                             ;   in Loop: Header=BB84_140 Depth=2
	global_load_dword v1, v[32:33], off offset:4
	global_load_dword v12, v[32:33], off offset:16
	buffer_load_dword v10, off, s[0:3], s32 offset:112 ; 4-byte Folded Reload
	buffer_load_dword v11, off, s[0:3], s32 offset:116 ; 4-byte Folded Reload
	s_waitcnt vmcnt(0)
	v_mov_b32_e32 v16, v10
	v_mov_b32_e32 v17, v10
	v_accvgpr_read_b32 v11, a3
	v_mov_b32_e32 v14, v16
	v_accvgpr_read_b32 v10, a2
	buffer_store_dword v14, off, s[0:3], s32 offset:112 ; 4-byte Folded Spill
	s_nop 0
	buffer_store_dword v15, off, s[0:3], s32 offset:116 ; 4-byte Folded Spill
	flat_store_dwordx2 v[40:41], v[16:17]
	v_mov_b32_e32 v16, v8
	ds_write_b32 v1, v8
	ds_write_b32 v12, v58
.LBB84_148:                             ;   in Loop: Header=BB84_140 Depth=2
	s_or_b64 exec, exec, s[12:13]
	v_lshlrev_b64 v[28:29], 3, v[10:11]
	v_add_co_u32_e32 v60, vcc, v7, v28
	v_addc_co_u32_e32 v61, vcc, v4, v29, vcc
	global_load_dword v59, v[32:33], off offset:8
	flat_load_dwordx2 v[54:55], v[60:61]
	v_cmp_ne_u32_e32 vcc, v16, v58
	v_add_u32_e32 v10, -1, v58
	s_waitcnt vmcnt(0) lgkmcnt(0)
	ds_write_b64 v59, v[54:55]
	s_and_saveexec_b64 s[12:13], vcc
	s_xor_b64 s[34:35], exec, s[12:13]
	s_cbranch_execz .LBB84_208
; %bb.149:                              ;   in Loop: Header=BB84_140 Depth=2
	v_cmp_ne_u32_e32 vcc, v16, v10
	v_ashrrev_i32_e32 v17, 31, v16
	s_and_saveexec_b64 s[12:13], vcc
	s_xor_b64 s[36:37], exec, s[12:13]
	s_cbranch_execz .LBB84_184
; %bb.150:                              ;   in Loop: Header=BB84_140 Depth=2
	v_add_co_u32_e32 v10, vcc, -8, v60
	v_addc_co_u32_e32 v11, vcc, -1, v61, vcc
	flat_load_dwordx2 v[12:13], v[10:11]
	v_accvgpr_read_b32 v10, a28
	v_add_co_u32_e32 v14, vcc, v10, v28
	v_accvgpr_read_b32 v10, a29
	v_addc_co_u32_e32 v15, vcc, v10, v29, vcc
	flat_load_dwordx2 v[10:11], v[14:15]
	v_lshlrev_b64 v[52:53], 3, v[16:17]
	v_add_co_u32_e32 v32, vcc, v7, v52
	v_accvgpr_write_b32 a45, v15
	v_addc_co_u32_e32 v33, vcc, v4, v53, vcc
	v_accvgpr_write_b32 a44, v14
	flat_load_dwordx2 v[14:15], v[32:33]
	buffer_load_dword v18, off, s[0:3], s32 offset:112 ; 4-byte Folded Reload
	buffer_load_dword v19, off, s[0:3], s32 offset:116 ; 4-byte Folded Reload
	v_add_u32_e32 v17, 1, v26
	v_accvgpr_read_b32 v4, a38
	ds_write_b32 v4, v17
	v_mov_b32_e32 v26, 0
	v_mov_b32_e32 v27, 0x3ff00000
	s_waitcnt vmcnt(0) lgkmcnt(0)
	v_add_f64 v[12:13], v[12:13], -v[54:55]
	v_add_f64 v[28:29], v[10:11], v[10:11]
	v_div_scale_f64 v[30:31], s[12:13], v[28:29], v[28:29], v[12:13]
	v_rcp_f64_e32 v[38:39], v[30:31]
	v_div_scale_f64 v[44:45], vcc, v[12:13], v[28:29], v[12:13]
	v_cmp_lt_i32_e64 s[12:13], v16, v58
	v_fma_f64 v[46:47], -v[30:31], v[38:39], 1.0
	v_fmac_f64_e32 v[38:39], v[38:39], v[46:47]
	v_fma_f64 v[46:47], -v[30:31], v[38:39], 1.0
	v_fmac_f64_e32 v[38:39], v[38:39], v[46:47]
	v_mul_f64 v[46:47], v[44:45], v[38:39]
	v_fma_f64 v[30:31], -v[30:31], v[46:47], v[44:45]
	v_div_fmas_f64 v[30:31], v[30:31], v[38:39], v[46:47]
	v_div_fixup_f64 v[12:13], v[30:31], v[28:29], v[12:13]
	v_fma_f64 v[28:29], v[12:13], v[12:13], 1.0
	v_cmp_gt_f64_e32 vcc, s[20:21], v[28:29]
	v_mov_b32_e32 v22, v18
	v_mov_b32_e32 v23, v18
	v_cndmask_b32_e64 v18, 0, 1, vcc
	v_lshlrev_b32_e32 v18, 8, v18
	v_ldexp_f64 v[28:29], v[28:29], v18
	v_rsq_f64_e32 v[30:31], v[28:29]
	v_mov_b32_e32 v4, v22
	buffer_store_dword v4, off, s[0:3], s32 offset:112 ; 4-byte Folded Spill
	s_nop 0
	buffer_store_dword v5, off, s[0:3], s32 offset:116 ; 4-byte Folded Spill
	v_mov_b32_e32 v4, 0xffffff80
	v_mul_f64 v[38:39], v[28:29], v[30:31]
	v_mul_f64 v[30:31], v[30:31], 0.5
	v_fma_f64 v[44:45], -v[30:31], v[38:39], 0.5
	v_fmac_f64_e32 v[38:39], v[38:39], v[44:45]
	v_fmac_f64_e32 v[30:31], v[30:31], v[44:45]
	v_fma_f64 v[44:45], -v[38:39], v[38:39], v[28:29]
	v_fmac_f64_e32 v[38:39], v[44:45], v[30:31]
	v_fma_f64 v[44:45], -v[38:39], v[38:39], v[28:29]
	v_cndmask_b32_e32 v17, 0, v4, vcc
	v_fmac_f64_e32 v[38:39], v[44:45], v[30:31]
	v_mov_b32_e32 v4, 0x260
	v_ldexp_f64 v[30:31], v[38:39], v17
	v_cmp_class_f64_e32 vcc, v[28:29], v4
	v_cndmask_b32_e32 v17, v31, v29, vcc
	v_cndmask_b32_e32 v28, v30, v28, vcc
	v_and_b32_e32 v18, 0x7fffffff, v17
	v_or_b32_e32 v17, 0x80000000, v17
	v_cmp_nle_f64_e32 vcc, 0, v[12:13]
	v_cndmask_b32_e32 v29, v18, v17, vcc
	v_add_f64 v[12:13], v[12:13], v[28:29]
	v_div_scale_f64 v[28:29], vcc, v[12:13], v[12:13], v[10:11]
	v_rcp_f64_e32 v[30:31], v[28:29]
	v_add_f64 v[14:15], v[14:15], -v[54:55]
	v_div_scale_f64 v[38:39], vcc, v[10:11], v[12:13], v[10:11]
	v_fma_f64 v[54:55], -v[28:29], v[30:31], 1.0
	v_fmac_f64_e32 v[30:31], v[30:31], v[54:55]
	v_fma_f64 v[54:55], -v[28:29], v[30:31], 1.0
	v_fmac_f64_e32 v[30:31], v[30:31], v[54:55]
	v_mul_f64 v[54:55], v[38:39], v[30:31]
	v_fma_f64 v[28:29], -v[28:29], v[54:55], v[38:39]
	v_div_fmas_f64 v[28:29], v[28:29], v[30:31], v[54:55]
	v_div_fixup_f64 v[10:11], v[28:29], v[12:13], v[10:11]
	v_add_f64 v[28:29], v[14:15], v[10:11]
	v_pk_mov_b32 v[10:11], 0, 0
	ds_write_b64 v59, v[22:23]
	s_and_saveexec_b64 s[38:39], s[12:13]
	s_cbranch_execz .LBB84_183
; %bb.151:                              ;   in Loop: Header=BB84_140 Depth=2
	v_add_co_u32_e32 v10, vcc, v5, v52
	v_addc_co_u32_e32 v11, vcc, v6, v53, vcc
	flat_load_dwordx2 v[10:11], v[10:11]
	v_pk_mov_b32 v[30:31], 0, 0
	s_waitcnt vmcnt(0) lgkmcnt(0)
	v_cmp_neq_f64_e32 vcc, 0, v[10:11]
	s_and_saveexec_b64 s[12:13], vcc
	s_cbranch_execz .LBB84_159
; %bb.152:                              ;   in Loop: Header=BB84_140 Depth=2
	v_mov_b32_e32 v30, 0
	v_cmp_neq_f64_e32 vcc, 0, v[28:29]
	v_mov_b32_e32 v31, 0x3ff00000
	v_pk_mov_b32 v[26:27], 0, 0
	s_and_saveexec_b64 s[40:41], vcc
	s_cbranch_execz .LBB84_158
; %bb.153:                              ;   in Loop: Header=BB84_140 Depth=2
	v_cmp_ngt_f64_e64 vcc, |v[10:11]|, |v[28:29]|
                                        ; implicit-def: $vgpr30_vgpr31
                                        ; implicit-def: $vgpr26_vgpr27
	s_and_saveexec_b64 s[42:43], vcc
	s_xor_b64 s[42:43], exec, s[42:43]
	s_cbranch_execz .LBB84_155
; %bb.154:                              ;   in Loop: Header=BB84_140 Depth=2
	v_div_scale_f64 v[12:13], vcc, v[28:29], v[28:29], -v[10:11]
	v_rcp_f64_e32 v[14:15], v[12:13]
	v_div_scale_f64 v[26:27], vcc, -v[10:11], v[28:29], -v[10:11]
	v_mov_b32_e32 v4, 0xffffff80
	v_fma_f64 v[30:31], -v[12:13], v[14:15], 1.0
	v_fmac_f64_e32 v[14:15], v[14:15], v[30:31]
	v_fma_f64 v[30:31], -v[12:13], v[14:15], 1.0
	v_fmac_f64_e32 v[14:15], v[14:15], v[30:31]
	v_mul_f64 v[30:31], v[26:27], v[14:15]
	v_fma_f64 v[12:13], -v[12:13], v[30:31], v[26:27]
	v_div_fmas_f64 v[12:13], v[12:13], v[14:15], v[30:31]
	v_div_fixup_f64 v[12:13], v[12:13], v[28:29], -v[10:11]
	v_fma_f64 v[14:15], v[12:13], v[12:13], 1.0
	v_cmp_gt_f64_e32 vcc, s[20:21], v[14:15]
	v_cndmask_b32_e64 v17, 0, 1, vcc
	v_lshlrev_b32_e32 v17, 8, v17
	v_ldexp_f64 v[14:15], v[14:15], v17
	v_rsq_f64_e32 v[26:27], v[14:15]
	v_cndmask_b32_e32 v17, 0, v4, vcc
	v_mov_b32_e32 v4, 0x260
	v_cmp_class_f64_e32 vcc, v[14:15], v4
	v_mul_f64 v[28:29], v[14:15], v[26:27]
	v_mul_f64 v[26:27], v[26:27], 0.5
	v_fma_f64 v[30:31], -v[26:27], v[28:29], 0.5
	v_fmac_f64_e32 v[28:29], v[28:29], v[30:31]
	v_fma_f64 v[38:39], -v[28:29], v[28:29], v[14:15]
	v_fmac_f64_e32 v[26:27], v[26:27], v[30:31]
	v_fmac_f64_e32 v[28:29], v[38:39], v[26:27]
	v_fma_f64 v[30:31], -v[28:29], v[28:29], v[14:15]
	v_fmac_f64_e32 v[28:29], v[30:31], v[26:27]
	v_ldexp_f64 v[26:27], v[28:29], v17
	v_cndmask_b32_e32 v15, v27, v15, vcc
	v_cndmask_b32_e32 v14, v26, v14, vcc
	v_div_scale_f64 v[26:27], vcc, v[14:15], v[14:15], 1.0
	v_rcp_f64_e32 v[28:29], v[26:27]
	v_fma_f64 v[30:31], -v[26:27], v[28:29], 1.0
	v_fmac_f64_e32 v[28:29], v[28:29], v[30:31]
	v_fma_f64 v[30:31], -v[26:27], v[28:29], 1.0
	v_fmac_f64_e32 v[28:29], v[28:29], v[30:31]
	v_div_scale_f64 v[30:31], vcc, 1.0, v[14:15], 1.0
	v_mul_f64 v[38:39], v[30:31], v[28:29]
	v_fma_f64 v[26:27], -v[26:27], v[38:39], v[30:31]
	s_nop 1
	v_div_fmas_f64 v[26:27], v[26:27], v[28:29], v[38:39]
	v_div_fixup_f64 v[26:27], v[26:27], v[14:15], 1.0
	v_mul_f64 v[30:31], v[12:13], v[26:27]
                                        ; implicit-def: $vgpr28_vgpr29
.LBB84_155:                             ;   in Loop: Header=BB84_140 Depth=2
	s_andn2_saveexec_b64 s[42:43], s[42:43]
	s_cbranch_execz .LBB84_157
; %bb.156:                              ;   in Loop: Header=BB84_140 Depth=2
	v_div_scale_f64 v[12:13], vcc, v[10:11], v[10:11], -v[28:29]
	v_rcp_f64_e32 v[14:15], v[12:13]
	v_div_scale_f64 v[26:27], vcc, -v[28:29], v[10:11], -v[28:29]
	v_mov_b32_e32 v4, 0xffffff80
	v_fma_f64 v[30:31], -v[12:13], v[14:15], 1.0
	v_fmac_f64_e32 v[14:15], v[14:15], v[30:31]
	v_fma_f64 v[30:31], -v[12:13], v[14:15], 1.0
	v_fmac_f64_e32 v[14:15], v[14:15], v[30:31]
	v_mul_f64 v[30:31], v[26:27], v[14:15]
	v_fma_f64 v[12:13], -v[12:13], v[30:31], v[26:27]
	v_div_fmas_f64 v[12:13], v[12:13], v[14:15], v[30:31]
	v_div_fixup_f64 v[12:13], v[12:13], v[10:11], -v[28:29]
	v_fma_f64 v[14:15], v[12:13], v[12:13], 1.0
	v_cmp_gt_f64_e32 vcc, s[20:21], v[14:15]
	v_cndmask_b32_e64 v17, 0, 1, vcc
	v_lshlrev_b32_e32 v17, 8, v17
	v_ldexp_f64 v[14:15], v[14:15], v17
	v_rsq_f64_e32 v[26:27], v[14:15]
	v_cndmask_b32_e32 v17, 0, v4, vcc
	v_mov_b32_e32 v4, 0x260
	v_cmp_class_f64_e32 vcc, v[14:15], v4
	v_mul_f64 v[28:29], v[14:15], v[26:27]
	v_mul_f64 v[26:27], v[26:27], 0.5
	v_fma_f64 v[30:31], -v[26:27], v[28:29], 0.5
	v_fmac_f64_e32 v[28:29], v[28:29], v[30:31]
	v_fma_f64 v[38:39], -v[28:29], v[28:29], v[14:15]
	v_fmac_f64_e32 v[26:27], v[26:27], v[30:31]
	v_fmac_f64_e32 v[28:29], v[38:39], v[26:27]
	v_fma_f64 v[30:31], -v[28:29], v[28:29], v[14:15]
	v_fmac_f64_e32 v[28:29], v[30:31], v[26:27]
	v_ldexp_f64 v[26:27], v[28:29], v17
	v_cndmask_b32_e32 v15, v27, v15, vcc
	v_cndmask_b32_e32 v14, v26, v14, vcc
	v_div_scale_f64 v[26:27], vcc, v[14:15], v[14:15], 1.0
	v_rcp_f64_e32 v[28:29], v[26:27]
	v_fma_f64 v[30:31], -v[26:27], v[28:29], 1.0
	v_fmac_f64_e32 v[28:29], v[28:29], v[30:31]
	v_fma_f64 v[30:31], -v[26:27], v[28:29], 1.0
	v_fmac_f64_e32 v[28:29], v[28:29], v[30:31]
	v_div_scale_f64 v[30:31], vcc, 1.0, v[14:15], 1.0
	v_mul_f64 v[38:39], v[30:31], v[28:29]
	v_fma_f64 v[26:27], -v[26:27], v[38:39], v[30:31]
	s_nop 1
	v_div_fmas_f64 v[26:27], v[26:27], v[28:29], v[38:39]
	v_div_fixup_f64 v[30:31], v[26:27], v[14:15], 1.0
	v_mul_f64 v[26:27], v[12:13], v[30:31]
.LBB84_157:                             ;   in Loop: Header=BB84_140 Depth=2
	s_or_b64 exec, exec, s[42:43]
.LBB84_158:                             ;   in Loop: Header=BB84_140 Depth=2
	s_or_b64 exec, exec, s[40:41]
.LBB84_159:                             ;   in Loop: Header=BB84_140 Depth=2
	s_or_b64 exec, exec, s[12:13]
	flat_load_dwordx4 v[44:47], v[32:33]
	v_accvgpr_read_b32 v4, a23
	v_add_co_u32_e32 v38, vcc, v4, v52
	v_accvgpr_read_b32 v4, a22
	v_addc_co_u32_e32 v39, vcc, v4, v53, vcc
	v_accvgpr_read_b32 v18, a32
	v_add_f64 v[28:29], v[26:27], v[26:27]
	v_accvgpr_read_b32 v19, a33
	v_add_co_u32_e32 v52, vcc, v38, v18
	v_add_u32_e32 v14, 1, v16
	v_addc_co_u32_e32 v53, vcc, v39, v19, vcc
	v_xor_b32_e32 v13, 0x80000000, v31
	v_mov_b32_e32 v12, v30
	v_cmp_lt_i32_e32 vcc, v14, v58
	s_waitcnt vmcnt(0) lgkmcnt(0)
	v_add_f64 v[54:55], v[46:47], -v[44:45]
	v_mul_f64 v[54:55], v[30:31], v[54:55]
	v_fma_f64 v[28:29], v[10:11], v[28:29], -v[54:55]
	v_mul_f64 v[54:55], v[28:29], -v[30:31]
	v_fma_f64 v[30:31], v[28:29], -v[30:31], v[44:45]
	v_fma_f64 v[28:29], v[26:27], v[28:29], -v[10:11]
	ds_write_b64 v59, v[54:55]
	flat_store_dwordx2 v[32:33], v[30:31]
	flat_store_dwordx2 v[38:39], v[26:27]
	;; [unrolled: 1-line block ×3, first 2 shown]
	s_and_saveexec_b64 s[12:13], vcc
	s_cbranch_execz .LBB84_182
; %bb.160:                              ;   in Loop: Header=BB84_140 Depth=2
	v_ashrrev_i32_e32 v15, 31, v14
	v_lshlrev_b64 v[10:11], 3, v[14:15]
	v_accvgpr_read_b32 v4, a23
	v_add_co_u32_e32 v32, vcc, v4, v10
	v_accvgpr_read_b32 v4, a22
	v_addc_co_u32_e32 v33, vcc, v4, v11, vcc
	v_add_co_u32_e32 v54, vcc, v7, v10
	v_accvgpr_read_b32 v4, a8
	v_addc_co_u32_e32 v55, vcc, v4, v11, vcc
	v_accvgpr_read_b32 v4, a28
	v_add_co_u32_e32 v52, vcc, v4, v10
	v_accvgpr_read_b32 v4, a29
	v_addc_co_u32_e32 v53, vcc, v4, v11, vcc
	s_mov_b32 s48, 1
	s_mov_b64 s[40:41], 0
	s_branch .LBB84_162
.LBB84_161:                             ;   in Loop: Header=BB84_162 Depth=3
	flat_load_dwordx4 v[44:47], v[54:55]
	ds_read_b64 v[14:15], v59
	v_add_co_u32_e32 v52, vcc, 8, v52
	v_addc_co_u32_e32 v53, vcc, 0, v53, vcc
	v_add_co_u32_e32 v18, vcc, 8, v54
	v_addc_co_u32_e32 v19, vcc, 0, v55, vcc
	v_accvgpr_read_b32 v22, a32
	v_mul_f64 v[10:11], v[26:27], v[10:11]
	v_add_f64 v[26:27], v[30:31], v[30:31]
	v_accvgpr_read_b32 v23, a33
	v_add_co_u32_e32 v22, vcc, v32, v22
	s_add_i32 s48, s48, 1
	v_addc_co_u32_e32 v23, vcc, v33, v23, vcc
	v_add_u32_e32 v17, s48, v16
	v_cmp_ge_i32_e32 vcc, v17, v58
	v_xor_b32_e32 v13, 0x80000000, v39
	v_mov_b32_e32 v12, v38
	s_or_b64 s[40:41], vcc, s[40:41]
	s_waitcnt vmcnt(0) lgkmcnt(0)
	v_add_f64 v[14:15], v[44:45], -v[14:15]
	v_add_f64 v[28:29], v[46:47], -v[14:15]
	v_mul_f64 v[28:29], v[38:39], v[28:29]
	v_fma_f64 v[26:27], v[10:11], v[26:27], -v[28:29]
	v_mul_f64 v[44:45], v[26:27], -v[38:39]
	v_fma_f64 v[14:15], v[26:27], -v[38:39], v[14:15]
	ds_write_b64 v59, v[44:45]
	flat_store_dwordx2 v[54:55], v[14:15]
	flat_store_dwordx2 v[32:33], v[30:31]
	;; [unrolled: 1-line block ×3, first 2 shown]
	v_add_co_u32_e32 v32, vcc, 8, v32
	v_fma_f64 v[28:29], v[30:31], v[26:27], -v[10:11]
	v_addc_co_u32_e32 v33, vcc, 0, v33, vcc
	v_pk_mov_b32 v[54:55], v[18:19], v[18:19] op_sel:[0,1]
	v_pk_mov_b32 v[26:27], v[30:31], v[30:31] op_sel:[0,1]
	s_andn2_b64 exec, exec, s[40:41]
	s_cbranch_execz .LBB84_181
.LBB84_162:                             ;   Parent Loop BB84_8 Depth=1
                                        ;     Parent Loop BB84_140 Depth=2
                                        ; =>    This Inner Loop Header: Depth=3
	flat_load_dwordx2 v[10:11], v[52:53] offset:8
	v_mov_b32_e32 v30, 0
	v_mov_b32_e32 v31, 0x3ff00000
	v_pk_mov_b32 v[38:39], 0, 0
	s_waitcnt vmcnt(0) lgkmcnt(0)
	v_mul_f64 v[12:13], v[12:13], v[10:11]
	v_cmp_neq_f64_e32 vcc, 0, v[12:13]
	s_and_saveexec_b64 s[42:43], vcc
	s_cbranch_execz .LBB84_172
; %bb.163:                              ;   in Loop: Header=BB84_162 Depth=3
	v_cmp_neq_f64_e32 vcc, 0, v[28:29]
                                        ; implicit-def: $vgpr38_vgpr39
                                        ; implicit-def: $vgpr30_vgpr31
	s_and_saveexec_b64 s[44:45], vcc
	s_xor_b64 s[44:45], exec, s[44:45]
	s_cbranch_execz .LBB84_169
; %bb.164:                              ;   in Loop: Header=BB84_162 Depth=3
	v_cmp_ngt_f64_e64 vcc, |v[12:13]|, |v[28:29]|
                                        ; implicit-def: $vgpr38_vgpr39
                                        ; implicit-def: $vgpr30_vgpr31
	s_and_saveexec_b64 s[46:47], vcc
	s_xor_b64 s[46:47], exec, s[46:47]
	s_cbranch_execz .LBB84_166
; %bb.165:                              ;   in Loop: Header=BB84_162 Depth=3
	v_div_scale_f64 v[14:15], vcc, v[28:29], v[28:29], -v[12:13]
	v_rcp_f64_e32 v[18:19], v[14:15]
	v_div_scale_f64 v[30:31], vcc, -v[12:13], v[28:29], -v[12:13]
	v_mov_b32_e32 v4, 0xffffff80
	v_fma_f64 v[38:39], -v[14:15], v[18:19], 1.0
	v_fmac_f64_e32 v[18:19], v[18:19], v[38:39]
	v_fma_f64 v[38:39], -v[14:15], v[18:19], 1.0
	v_fmac_f64_e32 v[18:19], v[18:19], v[38:39]
	v_mul_f64 v[38:39], v[30:31], v[18:19]
	v_fma_f64 v[14:15], -v[14:15], v[38:39], v[30:31]
	v_div_fmas_f64 v[14:15], v[14:15], v[18:19], v[38:39]
	v_div_fixup_f64 v[14:15], v[14:15], v[28:29], -v[12:13]
	v_fma_f64 v[18:19], v[14:15], v[14:15], 1.0
	v_cmp_gt_f64_e32 vcc, s[20:21], v[18:19]
	v_cndmask_b32_e64 v17, 0, 1, vcc
	v_lshlrev_b32_e32 v17, 8, v17
	v_ldexp_f64 v[18:19], v[18:19], v17
	v_rsq_f64_e32 v[30:31], v[18:19]
	v_cndmask_b32_e32 v17, 0, v4, vcc
	v_mov_b32_e32 v4, 0x260
	v_cmp_class_f64_e32 vcc, v[18:19], v4
	v_mul_f64 v[38:39], v[18:19], v[30:31]
	v_mul_f64 v[30:31], v[30:31], 0.5
	v_fma_f64 v[44:45], -v[30:31], v[38:39], 0.5
	v_fmac_f64_e32 v[38:39], v[38:39], v[44:45]
	v_fma_f64 v[46:47], -v[38:39], v[38:39], v[18:19]
	v_fmac_f64_e32 v[30:31], v[30:31], v[44:45]
	v_fmac_f64_e32 v[38:39], v[46:47], v[30:31]
	v_fma_f64 v[44:45], -v[38:39], v[38:39], v[18:19]
	v_fmac_f64_e32 v[38:39], v[44:45], v[30:31]
	v_ldexp_f64 v[30:31], v[38:39], v17
	v_cndmask_b32_e32 v19, v31, v19, vcc
	v_cndmask_b32_e32 v18, v30, v18, vcc
	v_div_scale_f64 v[30:31], vcc, v[18:19], v[18:19], 1.0
	v_rcp_f64_e32 v[38:39], v[30:31]
	v_fma_f64 v[44:45], -v[30:31], v[38:39], 1.0
	v_fmac_f64_e32 v[38:39], v[38:39], v[44:45]
	v_fma_f64 v[44:45], -v[30:31], v[38:39], 1.0
	v_fmac_f64_e32 v[38:39], v[38:39], v[44:45]
	v_div_scale_f64 v[44:45], vcc, 1.0, v[18:19], 1.0
	v_mul_f64 v[46:47], v[44:45], v[38:39]
	v_fma_f64 v[30:31], -v[30:31], v[46:47], v[44:45]
	s_nop 1
	v_div_fmas_f64 v[30:31], v[30:31], v[38:39], v[46:47]
	v_div_fixup_f64 v[30:31], v[30:31], v[18:19], 1.0
	v_mul_f64 v[38:39], v[14:15], v[30:31]
.LBB84_166:                             ;   in Loop: Header=BB84_162 Depth=3
	s_andn2_saveexec_b64 s[46:47], s[46:47]
	s_cbranch_execz .LBB84_168
; %bb.167:                              ;   in Loop: Header=BB84_162 Depth=3
	v_div_scale_f64 v[14:15], vcc, v[12:13], v[12:13], -v[28:29]
	v_rcp_f64_e32 v[30:31], v[14:15]
	v_div_scale_f64 v[38:39], vcc, -v[28:29], v[12:13], -v[28:29]
	v_mov_b32_e32 v4, 0xffffff80
	v_fma_f64 v[44:45], -v[14:15], v[30:31], 1.0
	v_fmac_f64_e32 v[30:31], v[30:31], v[44:45]
	v_fma_f64 v[44:45], -v[14:15], v[30:31], 1.0
	v_fmac_f64_e32 v[30:31], v[30:31], v[44:45]
	v_mul_f64 v[44:45], v[38:39], v[30:31]
	v_fma_f64 v[14:15], -v[14:15], v[44:45], v[38:39]
	v_div_fmas_f64 v[14:15], v[14:15], v[30:31], v[44:45]
	v_div_fixup_f64 v[14:15], v[14:15], v[12:13], -v[28:29]
	v_fma_f64 v[30:31], v[14:15], v[14:15], 1.0
	v_cmp_gt_f64_e32 vcc, s[20:21], v[30:31]
	v_cndmask_b32_e64 v17, 0, 1, vcc
	v_lshlrev_b32_e32 v17, 8, v17
	v_ldexp_f64 v[30:31], v[30:31], v17
	v_rsq_f64_e32 v[38:39], v[30:31]
	v_cndmask_b32_e32 v17, 0, v4, vcc
	v_mov_b32_e32 v4, 0x260
	v_cmp_class_f64_e32 vcc, v[30:31], v4
	v_mul_f64 v[44:45], v[30:31], v[38:39]
	v_mul_f64 v[38:39], v[38:39], 0.5
	v_fma_f64 v[46:47], -v[38:39], v[44:45], 0.5
	v_fmac_f64_e32 v[44:45], v[44:45], v[46:47]
	v_fma_f64 v[18:19], -v[44:45], v[44:45], v[30:31]
	v_fmac_f64_e32 v[38:39], v[38:39], v[46:47]
	v_fmac_f64_e32 v[44:45], v[18:19], v[38:39]
	v_fma_f64 v[18:19], -v[44:45], v[44:45], v[30:31]
	v_fmac_f64_e32 v[44:45], v[18:19], v[38:39]
	v_ldexp_f64 v[18:19], v[44:45], v17
	v_cndmask_b32_e32 v19, v19, v31, vcc
	v_cndmask_b32_e32 v18, v18, v30, vcc
	v_div_scale_f64 v[30:31], vcc, v[18:19], v[18:19], 1.0
	v_rcp_f64_e32 v[38:39], v[30:31]
	v_fma_f64 v[44:45], -v[30:31], v[38:39], 1.0
	v_fmac_f64_e32 v[38:39], v[38:39], v[44:45]
	v_fma_f64 v[44:45], -v[30:31], v[38:39], 1.0
	v_fmac_f64_e32 v[38:39], v[38:39], v[44:45]
	v_div_scale_f64 v[44:45], vcc, 1.0, v[18:19], 1.0
	v_mul_f64 v[46:47], v[44:45], v[38:39]
	v_fma_f64 v[30:31], -v[30:31], v[46:47], v[44:45]
	s_nop 1
	v_div_fmas_f64 v[30:31], v[30:31], v[38:39], v[46:47]
	v_div_fixup_f64 v[38:39], v[30:31], v[18:19], 1.0
	v_mul_f64 v[30:31], v[14:15], v[38:39]
.LBB84_168:                             ;   in Loop: Header=BB84_162 Depth=3
	s_or_b64 exec, exec, s[46:47]
	v_mul_f64 v[12:13], v[12:13], v[38:39]
	v_fma_f64 v[28:29], v[28:29], v[30:31], -v[12:13]
                                        ; implicit-def: $vgpr12_vgpr13
.LBB84_169:                             ;   in Loop: Header=BB84_162 Depth=3
	s_andn2_saveexec_b64 vcc, s[44:45]
; %bb.170:                              ;   in Loop: Header=BB84_162 Depth=3
	v_xor_b32_e32 v13, 0x80000000, v13
	v_mov_b32_e32 v38, 0
	v_mov_b32_e32 v39, 0x3ff00000
	v_pk_mov_b32 v[30:31], 0, 0
	v_pk_mov_b32 v[28:29], v[12:13], v[12:13] op_sel:[0,1]
; %bb.171:                              ;   in Loop: Header=BB84_162 Depth=3
	s_or_b64 exec, exec, vcc
.LBB84_172:                             ;   in Loop: Header=BB84_162 Depth=3
	s_or_b64 exec, exec, s[42:43]
	s_cmp_eq_u32 s48, 0
	s_cbranch_scc1 .LBB84_161
; %bb.173:                              ;   in Loop: Header=BB84_162 Depth=3
	flat_store_dwordx2 v[52:53], v[28:29]
	s_branch .LBB84_161
.LBB84_174:                             ;   in Loop: Header=BB84_140 Depth=2
	s_mov_b64 s[12:13], exec
	v_pk_mov_b32 v[10:11], v[58:59], v[58:59] op_sel:[0,1]
                                        ; implicit-def: $vgpr14
	s_or_saveexec_b64 s[34:35], vcc
	v_mov_b32_e32 v16, v58
	s_xor_b64 exec, exec, s[34:35]
	s_cbranch_execz .LBB84_145
.LBB84_175:                             ;   in Loop: Header=BB84_140 Depth=2
	v_lshlrev_b64 v[12:13], 3, v[58:59]
	s_waitcnt vmcnt(0)
	v_accvgpr_read_b32 v1, a34
	v_add_co_u32_e32 v10, vcc, v1, v12
	v_accvgpr_read_b32 v1, a35
	v_addc_co_u32_e32 v11, vcc, v1, v13, vcc
	v_accvgpr_read_b32 v1, a28
	v_accvgpr_write_b32 a2, v58
	v_add_co_u32_e32 v12, vcc, v1, v12
	v_accvgpr_read_b32 v1, a29
	v_accvgpr_write_b32 a3, v59
	v_addc_co_u32_e32 v13, vcc, v1, v13, vcc
	v_mov_b32_e32 v1, v58
                                        ; implicit-def: $sgpr36_sgpr37
                                        ; implicit-def: $sgpr42_sgpr43
                                        ; implicit-def: $sgpr40_sgpr41
	s_branch .LBB84_177
.LBB84_176:                             ;   in Loop: Header=BB84_177 Depth=3
	s_or_b64 exec, exec, s[44:45]
	s_xor_b64 vcc, s[40:41], -1
	s_and_b64 s[44:45], exec, s[42:43]
	s_or_b64 s[38:39], s[44:45], s[38:39]
	s_andn2_b64 s[36:37], s[36:37], exec
	s_and_b64 vcc, vcc, exec
	s_or_b64 s[36:37], s[36:37], vcc
	s_andn2_b64 exec, exec, s[38:39]
	s_cbranch_execz .LBB84_179
.LBB84_177:                             ;   Parent Loop BB84_8 Depth=1
                                        ;     Parent Loop BB84_140 Depth=2
                                        ; =>    This Inner Loop Header: Depth=3
	v_pk_mov_b32 v[40:41], v[12:13], v[12:13] op_sel:[0,1]
	flat_load_dwordx4 v[16:19], v[10:11]
	s_nop 0
	flat_load_dwordx2 v[12:13], v[12:13]
	v_mov_b32_e32 v8, v1
	s_or_b64 s[40:41], s[40:41], exec
	s_or_b64 s[42:43], s[42:43], exec
                                        ; implicit-def: $vgpr1
	s_waitcnt vmcnt(0) lgkmcnt(0)
	v_mul_f64 v[16:17], v[18:19], v[16:17]
	v_mul_f64 v[12:13], v[12:13], v[12:13]
	v_mul_f64 v[16:17], v[34:35], |v[16:17]|
	v_cmp_nle_f64_e64 vcc, |v[12:13]|, v[16:17]
                                        ; implicit-def: $vgpr12_vgpr13
	s_and_saveexec_b64 s[44:45], vcc
	s_cbranch_execz .LBB84_176
; %bb.178:                              ;   in Loop: Header=BB84_177 Depth=3
	v_add_co_u32_e32 v10, vcc, -8, v10
	v_addc_co_u32_e32 v11, vcc, -1, v11, vcc
	v_add_co_u32_e32 v12, vcc, -8, v40
	v_add_u32_e32 v1, -1, v8
	v_addc_co_u32_e32 v13, vcc, -1, v41, vcc
	v_cmp_le_i32_e32 vcc, v1, v14
	s_andn2_b64 s[42:43], s[42:43], exec
	s_and_b64 vcc, vcc, exec
	s_andn2_b64 s[40:41], s[40:41], exec
	s_or_b64 s[42:43], s[42:43], vcc
	s_branch .LBB84_176
.LBB84_179:                             ;   in Loop: Header=BB84_140 Depth=2
	s_or_b64 exec, exec, s[38:39]
	s_andn2_b64 s[12:13], s[12:13], exec
	s_and_b64 vcc, s[36:37], exec
	v_accvgpr_read_b32 v11, a3
	s_mov_b64 s[38:39], exec
	s_or_b64 s[12:13], s[12:13], vcc
	v_mov_b32_e32 v16, v14
	v_accvgpr_read_b32 v10, a2
	s_or_b64 exec, exec, s[34:35]
                                        ; implicit-def: $vgpr1
	s_and_saveexec_b64 vcc, s[12:13]
	s_cbranch_execz .LBB84_146
.LBB84_180:                             ;   in Loop: Header=BB84_140 Depth=2
	global_load_dword v1, v[32:33], off offset:4
	global_load_dword v12, v[32:33], off offset:16
	s_andn2_b64 s[38:39], s[38:39], exec
	s_waitcnt vmcnt(0)
	ds_write_b32 v1, v16
	ds_write_b32 v12, v58
	s_or_b64 exec, exec, vcc
	s_and_saveexec_b64 s[12:13], s[38:39]
	s_cbranch_execnz .LBB84_147
	s_branch .LBB84_148
.LBB84_181:                             ;   in Loop: Header=BB84_140 Depth=2
	s_or_b64 exec, exec, s[40:41]
.LBB84_182:                             ;   in Loop: Header=BB84_140 Depth=2
	s_or_b64 exec, exec, s[12:13]
	ds_read_b64 v[10:11], v59
.LBB84_183:                             ;   in Loop: Header=BB84_140 Depth=2
	s_or_b64 exec, exec, s[38:39]
	flat_load_dwordx2 v[12:13], v[60:61]
	v_accvgpr_read_b32 v33, a11
                                        ; implicit-def: $vgpr16
                                        ; implicit-def: $vgpr54_vgpr55
                                        ; implicit-def: $vgpr58
	v_accvgpr_read_b32 v4, a8
	v_accvgpr_read_b32 v32, a10
	s_waitcnt vmcnt(0) lgkmcnt(0)
	v_add_f64 v[10:11], v[12:13], -v[10:11]
	flat_store_dwordx2 v[60:61], v[10:11]
	v_accvgpr_read_b32 v10, a44
	v_accvgpr_read_b32 v11, a45
	flat_store_dwordx2 v[10:11], v[28:29]
                                        ; implicit-def: $vgpr28_vgpr29
                                        ; implicit-def: $vgpr60
.LBB84_184:                             ;   in Loop: Header=BB84_140 Depth=2
	s_andn2_saveexec_b64 s[36:37], s[36:37]
	s_cbranch_execz .LBB84_219
; %bb.185:                              ;   in Loop: Header=BB84_140 Depth=2
	v_lshlrev_b64 v[26:27], 3, v[16:17]
	v_add_co_u32_e32 v10, vcc, v7, v26
	v_addc_co_u32_e32 v11, vcc, v4, v27, vcc
	v_add_co_u32_e32 v12, vcc, v5, v26
	v_addc_co_u32_e32 v13, vcc, v6, v27, vcc
	flat_load_dwordx2 v[16:17], v[10:11]
	s_nop 0
	flat_load_dwordx2 v[10:11], v[12:13]
                                        ; implicit-def: $vgpr12_vgpr13
	s_waitcnt vmcnt(0) lgkmcnt(0)
	v_add_f64 v[32:33], v[16:17], -v[54:55]
	v_add_f64 v[52:53], v[10:11], v[10:11]
	v_cmp_ngt_f64_e64 s[12:13], |v[32:33]|, |v[52:53]|
	s_and_saveexec_b64 vcc, s[12:13]
	s_xor_b64 s[12:13], exec, vcc
	s_cbranch_execz .LBB84_191
; %bb.186:                              ;   in Loop: Header=BB84_140 Depth=2
	v_cmp_nlt_f64_e64 vcc, |v[32:33]|, |v[52:53]|
                                        ; implicit-def: $vgpr12_vgpr13
	s_and_saveexec_b64 s[38:39], vcc
	s_xor_b64 vcc, exec, s[38:39]
; %bb.187:                              ;   in Loop: Header=BB84_140 Depth=2
	v_mul_f64 v[12:13], |v[52:53]|, s[22:23]
; %bb.188:                              ;   in Loop: Header=BB84_140 Depth=2
	s_andn2_saveexec_b64 s[38:39], vcc
	s_cbranch_execz .LBB84_190
; %bb.189:                              ;   in Loop: Header=BB84_140 Depth=2
	v_and_b32_e32 v13, 0x7fffffff, v33
	v_mov_b32_e32 v12, v32
	v_and_b32_e32 v15, 0x7fffffff, v53
	v_mov_b32_e32 v14, v52
	v_div_scale_f64 v[18:19], vcc, v[14:15], v[14:15], v[12:13]
	v_rcp_f64_e32 v[30:31], v[18:19]
	v_div_scale_f64 v[12:13], vcc, v[12:13], v[14:15], v[12:13]
	v_mov_b32_e32 v4, 0xffffff80
	v_fma_f64 v[38:39], -v[18:19], v[30:31], 1.0
	v_fmac_f64_e32 v[30:31], v[30:31], v[38:39]
	v_fma_f64 v[38:39], -v[18:19], v[30:31], 1.0
	v_fmac_f64_e32 v[30:31], v[30:31], v[38:39]
	v_mul_f64 v[14:15], v[12:13], v[30:31]
	v_fma_f64 v[12:13], -v[18:19], v[14:15], v[12:13]
	v_div_fmas_f64 v[12:13], v[12:13], v[30:31], v[14:15]
	v_div_fixup_f64 v[12:13], v[12:13], |v[52:53]|, |v[32:33]|
	v_fma_f64 v[12:13], v[12:13], v[12:13], 1.0
	v_cmp_gt_f64_e32 vcc, s[20:21], v[12:13]
	v_cndmask_b32_e64 v14, 0, 1, vcc
	v_lshlrev_b32_e32 v14, 8, v14
	v_ldexp_f64 v[12:13], v[12:13], v14
	v_rsq_f64_e32 v[14:15], v[12:13]
	v_mul_f64 v[18:19], v[12:13], v[14:15]
	v_mul_f64 v[14:15], v[14:15], 0.5
	v_fma_f64 v[30:31], -v[14:15], v[18:19], 0.5
	v_fmac_f64_e32 v[18:19], v[18:19], v[30:31]
	v_fma_f64 v[38:39], -v[18:19], v[18:19], v[12:13]
	v_fmac_f64_e32 v[14:15], v[14:15], v[30:31]
	v_fmac_f64_e32 v[18:19], v[38:39], v[14:15]
	v_fma_f64 v[30:31], -v[18:19], v[18:19], v[12:13]
	v_fmac_f64_e32 v[18:19], v[30:31], v[14:15]
	v_cndmask_b32_e32 v14, 0, v4, vcc
	v_mov_b32_e32 v4, 0x260
	v_ldexp_f64 v[14:15], v[18:19], v14
	v_cmp_class_f64_e32 vcc, v[12:13], v4
	v_cndmask_b32_e32 v13, v15, v13, vcc
	v_cndmask_b32_e32 v12, v14, v12, vcc
	v_mul_f64 v[12:13], |v[52:53]|, v[12:13]
.LBB84_190:                             ;   in Loop: Header=BB84_140 Depth=2
	s_or_b64 exec, exec, s[38:39]
.LBB84_191:                             ;   in Loop: Header=BB84_140 Depth=2
	s_andn2_saveexec_b64 s[12:13], s[12:13]
	s_cbranch_execz .LBB84_193
; %bb.192:                              ;   in Loop: Header=BB84_140 Depth=2
	v_and_b32_e32 v13, 0x7fffffff, v53
	v_mov_b32_e32 v12, v52
	v_and_b32_e32 v15, 0x7fffffff, v33
	v_mov_b32_e32 v14, v32
	v_div_scale_f64 v[18:19], vcc, v[14:15], v[14:15], v[12:13]
	v_rcp_f64_e32 v[30:31], v[18:19]
	v_div_scale_f64 v[12:13], vcc, v[12:13], v[14:15], v[12:13]
	v_mov_b32_e32 v4, 0xffffff80
	v_fma_f64 v[38:39], -v[18:19], v[30:31], 1.0
	v_fmac_f64_e32 v[30:31], v[30:31], v[38:39]
	v_fma_f64 v[38:39], -v[18:19], v[30:31], 1.0
	v_fmac_f64_e32 v[30:31], v[30:31], v[38:39]
	v_mul_f64 v[14:15], v[12:13], v[30:31]
	v_fma_f64 v[12:13], -v[18:19], v[14:15], v[12:13]
	v_div_fmas_f64 v[12:13], v[12:13], v[30:31], v[14:15]
	v_div_fixup_f64 v[12:13], v[12:13], |v[32:33]|, |v[52:53]|
	v_fma_f64 v[12:13], v[12:13], v[12:13], 1.0
	v_cmp_gt_f64_e32 vcc, s[20:21], v[12:13]
	v_cndmask_b32_e64 v14, 0, 1, vcc
	v_lshlrev_b32_e32 v14, 8, v14
	v_ldexp_f64 v[12:13], v[12:13], v14
	v_rsq_f64_e32 v[14:15], v[12:13]
	v_mul_f64 v[18:19], v[12:13], v[14:15]
	v_mul_f64 v[14:15], v[14:15], 0.5
	v_fma_f64 v[30:31], -v[14:15], v[18:19], 0.5
	v_fmac_f64_e32 v[18:19], v[18:19], v[30:31]
	v_fma_f64 v[38:39], -v[18:19], v[18:19], v[12:13]
	v_fmac_f64_e32 v[14:15], v[14:15], v[30:31]
	v_fmac_f64_e32 v[18:19], v[38:39], v[14:15]
	v_fma_f64 v[30:31], -v[18:19], v[18:19], v[12:13]
	v_fmac_f64_e32 v[18:19], v[30:31], v[14:15]
	v_cndmask_b32_e32 v14, 0, v4, vcc
	v_mov_b32_e32 v4, 0x260
	v_ldexp_f64 v[14:15], v[18:19], v14
	v_cmp_class_f64_e32 vcc, v[12:13], v4
	v_cndmask_b32_e32 v13, v15, v13, vcc
	v_cndmask_b32_e32 v12, v14, v12, vcc
	v_mul_f64 v[12:13], |v[32:33]|, v[12:13]
.LBB84_193:                             ;   in Loop: Header=BB84_140 Depth=2
	s_or_b64 exec, exec, s[12:13]
	v_add_f64 v[14:15], v[16:17], v[54:55]
	v_cmp_gt_f64_e64 vcc, |v[16:17]|, |v[54:55]|
	v_cndmask_b32_e32 v31, v17, v55, vcc
	v_cndmask_b32_e32 v30, v16, v54, vcc
	;; [unrolled: 1-line block ×4, first 2 shown]
	v_cmp_ngt_f64_e32 vcc, 0, v[14:15]
                                        ; implicit-def: $vgpr54
                                        ; implicit-def: $vgpr18_vgpr19
	s_and_saveexec_b64 s[12:13], vcc
	s_xor_b64 s[12:13], exec, s[12:13]
	s_cbranch_execz .LBB84_199
; %bb.194:                              ;   in Loop: Header=BB84_140 Depth=2
	v_cmp_nlt_f64_e32 vcc, 0, v[14:15]
                                        ; implicit-def: $sgpr40
                                        ; implicit-def: $vgpr18_vgpr19
	s_and_saveexec_b64 s[38:39], vcc
	s_xor_b64 vcc, exec, s[38:39]
; %bb.195:                              ;   in Loop: Header=BB84_140 Depth=2
	v_mul_f64 v[16:17], v[12:13], 0.5
	v_mul_f64 v[18:19], v[12:13], -0.5
	s_mov_b32 s40, 1
                                        ; implicit-def: $vgpr14_vgpr15
                                        ; implicit-def: $vgpr38_vgpr39
                                        ; implicit-def: $vgpr10_vgpr11
                                        ; implicit-def: $vgpr30_vgpr31
; %bb.196:                              ;   in Loop: Header=BB84_140 Depth=2
	s_or_saveexec_b64 s[38:39], vcc
	v_mov_b32_e32 v54, s40
	s_xor_b64 exec, exec, s[38:39]
	s_cbranch_execz .LBB84_198
; %bb.197:                              ;   in Loop: Header=BB84_140 Depth=2
	v_add_f64 v[14:15], v[14:15], v[12:13]
	v_mul_f64 v[16:17], v[14:15], 0.5
	v_div_scale_f64 v[14:15], vcc, v[16:17], v[16:17], v[38:39]
	v_rcp_f64_e32 v[18:19], v[14:15]
	v_div_scale_f64 v[54:55], vcc, v[38:39], v[16:17], v[38:39]
	v_fma_f64 v[44:45], -v[14:15], v[18:19], 1.0
	v_fmac_f64_e32 v[18:19], v[18:19], v[44:45]
	v_fma_f64 v[44:45], -v[14:15], v[18:19], 1.0
	v_fmac_f64_e32 v[18:19], v[18:19], v[44:45]
	v_mul_f64 v[44:45], v[54:55], v[18:19]
	v_fma_f64 v[14:15], -v[14:15], v[44:45], v[54:55]
	v_div_scale_f64 v[54:55], s[40:41], v[16:17], v[16:17], v[10:11]
	v_rcp_f64_e32 v[46:47], v[54:55]
	v_div_fmas_f64 v[14:15], v[14:15], v[18:19], v[44:45]
	v_div_fixup_f64 v[14:15], v[14:15], v[16:17], v[38:39]
	v_fma_f64 v[18:19], -v[54:55], v[46:47], 1.0
	v_fmac_f64_e32 v[46:47], v[46:47], v[18:19]
	v_fma_f64 v[18:19], -v[54:55], v[46:47], 1.0
	v_fmac_f64_e32 v[46:47], v[46:47], v[18:19]
	v_div_scale_f64 v[18:19], vcc, v[10:11], v[16:17], v[10:11]
	v_mul_f64 v[38:39], v[18:19], v[46:47]
	v_fma_f64 v[18:19], -v[54:55], v[38:39], v[18:19]
	v_mov_b32_e32 v54, 1
	s_nop 0
	v_div_fmas_f64 v[18:19], v[18:19], v[46:47], v[38:39]
	v_div_fixup_f64 v[18:19], v[18:19], v[16:17], v[10:11]
	v_mul_f64 v[10:11], v[10:11], v[18:19]
	v_fma_f64 v[18:19], v[30:31], v[14:15], -v[10:11]
.LBB84_198:                             ;   in Loop: Header=BB84_140 Depth=2
	s_or_b64 exec, exec, s[38:39]
                                        ; implicit-def: $vgpr14_vgpr15
                                        ; implicit-def: $vgpr38_vgpr39
                                        ; implicit-def: $vgpr10_vgpr11
                                        ; implicit-def: $vgpr30_vgpr31
.LBB84_199:                             ;   in Loop: Header=BB84_140 Depth=2
	s_andn2_saveexec_b64 s[12:13], s[12:13]
	s_cbranch_execz .LBB84_201
; %bb.200:                              ;   in Loop: Header=BB84_140 Depth=2
	v_add_f64 v[14:15], v[14:15], -v[12:13]
	v_mul_f64 v[16:17], v[14:15], 0.5
	v_div_scale_f64 v[14:15], vcc, v[16:17], v[16:17], v[38:39]
	v_rcp_f64_e32 v[18:19], v[14:15]
	v_div_scale_f64 v[54:55], vcc, v[38:39], v[16:17], v[38:39]
	v_fma_f64 v[44:45], -v[14:15], v[18:19], 1.0
	v_fmac_f64_e32 v[18:19], v[18:19], v[44:45]
	v_fma_f64 v[44:45], -v[14:15], v[18:19], 1.0
	v_fmac_f64_e32 v[18:19], v[18:19], v[44:45]
	v_mul_f64 v[44:45], v[54:55], v[18:19]
	v_fma_f64 v[14:15], -v[14:15], v[44:45], v[54:55]
	v_div_scale_f64 v[54:55], s[38:39], v[16:17], v[16:17], v[10:11]
	v_rcp_f64_e32 v[46:47], v[54:55]
	v_div_fmas_f64 v[14:15], v[14:15], v[18:19], v[44:45]
	v_div_fixup_f64 v[14:15], v[14:15], v[16:17], v[38:39]
	v_fma_f64 v[18:19], -v[54:55], v[46:47], 1.0
	v_fmac_f64_e32 v[46:47], v[46:47], v[18:19]
	v_fma_f64 v[18:19], -v[54:55], v[46:47], 1.0
	v_fmac_f64_e32 v[46:47], v[46:47], v[18:19]
	v_div_scale_f64 v[18:19], vcc, v[10:11], v[16:17], v[10:11]
	v_mul_f64 v[38:39], v[18:19], v[46:47]
	v_fma_f64 v[18:19], -v[54:55], v[38:39], v[18:19]
	v_mov_b32_e32 v54, -1
	s_nop 0
	v_div_fmas_f64 v[18:19], v[18:19], v[46:47], v[38:39]
	v_div_fixup_f64 v[18:19], v[18:19], v[16:17], v[10:11]
	v_mul_f64 v[10:11], v[10:11], v[18:19]
	v_fma_f64 v[18:19], v[30:31], v[14:15], -v[10:11]
.LBB84_201:                             ;   in Loop: Header=BB84_140 Depth=2
	s_or_b64 exec, exec, s[12:13]
	v_xor_b32_e32 v10, 0x80000000, v13
	v_cmp_nle_f64_e64 s[12:13], 0, v[32:33]
	v_cndmask_b32_e64 v11, v13, v10, s[12:13]
	v_cndmask_b32_e64 v10, v12, v12, s[12:13]
	v_add_f64 v[10:11], v[32:33], v[10:11]
	v_cmp_ngt_f64_e64 vcc, |v[10:11]|, |v[52:53]|
                                        ; implicit-def: $vgpr12_vgpr13
                                        ; implicit-def: $vgpr14_vgpr15
	s_and_saveexec_b64 s[38:39], vcc
	s_xor_b64 s[38:39], exec, s[38:39]
	s_cbranch_execz .LBB84_205
; %bb.202:                              ;   in Loop: Header=BB84_140 Depth=2
	v_mov_b32_e32 v14, 0
	v_cmp_neq_f64_e32 vcc, 0, v[52:53]
	v_pk_mov_b32 v[12:13], 0, 0
	v_mov_b32_e32 v15, 0x3ff00000
	s_and_saveexec_b64 s[40:41], vcc
	s_cbranch_execz .LBB84_204
; %bb.203:                              ;   in Loop: Header=BB84_140 Depth=2
	v_div_scale_f64 v[12:13], vcc, v[52:53], v[52:53], -v[10:11]
	v_rcp_f64_e32 v[14:15], v[12:13]
	v_div_scale_f64 v[30:31], vcc, -v[10:11], v[52:53], -v[10:11]
	v_mov_b32_e32 v4, 0xffffff80
	v_fma_f64 v[32:33], -v[12:13], v[14:15], 1.0
	v_fmac_f64_e32 v[14:15], v[14:15], v[32:33]
	v_fma_f64 v[32:33], -v[12:13], v[14:15], 1.0
	v_fmac_f64_e32 v[14:15], v[14:15], v[32:33]
	v_mul_f64 v[32:33], v[30:31], v[14:15]
	v_fma_f64 v[12:13], -v[12:13], v[32:33], v[30:31]
	v_div_fmas_f64 v[12:13], v[12:13], v[14:15], v[32:33]
	v_div_fixup_f64 v[10:11], v[12:13], v[52:53], -v[10:11]
	v_fma_f64 v[12:13], v[10:11], v[10:11], 1.0
	v_cmp_gt_f64_e32 vcc, s[20:21], v[12:13]
	v_cndmask_b32_e64 v14, 0, 1, vcc
	v_lshlrev_b32_e32 v14, 8, v14
	v_ldexp_f64 v[12:13], v[12:13], v14
	v_rsq_f64_e32 v[14:15], v[12:13]
	v_mul_f64 v[30:31], v[12:13], v[14:15]
	v_mul_f64 v[14:15], v[14:15], 0.5
	v_fma_f64 v[32:33], -v[14:15], v[30:31], 0.5
	v_fmac_f64_e32 v[30:31], v[30:31], v[32:33]
	v_fma_f64 v[38:39], -v[30:31], v[30:31], v[12:13]
	v_fmac_f64_e32 v[14:15], v[14:15], v[32:33]
	v_fmac_f64_e32 v[30:31], v[38:39], v[14:15]
	v_fma_f64 v[32:33], -v[30:31], v[30:31], v[12:13]
	v_fmac_f64_e32 v[30:31], v[32:33], v[14:15]
	v_cndmask_b32_e32 v14, 0, v4, vcc
	v_mov_b32_e32 v4, 0x260
	v_ldexp_f64 v[14:15], v[30:31], v14
	v_cmp_class_f64_e32 vcc, v[12:13], v4
	v_cndmask_b32_e32 v13, v15, v13, vcc
	v_cndmask_b32_e32 v12, v14, v12, vcc
	v_div_scale_f64 v[14:15], vcc, v[12:13], v[12:13], 1.0
	v_rcp_f64_e32 v[30:31], v[14:15]
	v_fma_f64 v[32:33], -v[14:15], v[30:31], 1.0
	v_fmac_f64_e32 v[30:31], v[30:31], v[32:33]
	v_fma_f64 v[32:33], -v[14:15], v[30:31], 1.0
	v_fmac_f64_e32 v[30:31], v[30:31], v[32:33]
	v_div_scale_f64 v[32:33], vcc, 1.0, v[12:13], 1.0
	v_mul_f64 v[38:39], v[32:33], v[30:31]
	v_fma_f64 v[14:15], -v[14:15], v[38:39], v[32:33]
	s_nop 1
	v_div_fmas_f64 v[14:15], v[14:15], v[30:31], v[38:39]
	v_div_fixup_f64 v[14:15], v[14:15], v[12:13], 1.0
	v_mul_f64 v[12:13], v[10:11], v[14:15]
.LBB84_204:                             ;   in Loop: Header=BB84_140 Depth=2
	s_or_b64 exec, exec, s[40:41]
                                        ; implicit-def: $vgpr10_vgpr11
                                        ; implicit-def: $vgpr52_vgpr53
.LBB84_205:                             ;   in Loop: Header=BB84_140 Depth=2
	s_andn2_saveexec_b64 s[38:39], s[38:39]
	s_cbranch_execz .LBB84_207
; %bb.206:                              ;   in Loop: Header=BB84_140 Depth=2
	v_div_scale_f64 v[12:13], vcc, v[10:11], v[10:11], -v[52:53]
	v_rcp_f64_e32 v[14:15], v[12:13]
	v_div_scale_f64 v[30:31], vcc, -v[52:53], v[10:11], -v[52:53]
	v_mov_b32_e32 v4, 0xffffff80
	v_fma_f64 v[32:33], -v[12:13], v[14:15], 1.0
	v_fmac_f64_e32 v[14:15], v[14:15], v[32:33]
	v_fma_f64 v[32:33], -v[12:13], v[14:15], 1.0
	v_fmac_f64_e32 v[14:15], v[14:15], v[32:33]
	v_mul_f64 v[32:33], v[30:31], v[14:15]
	v_fma_f64 v[12:13], -v[12:13], v[32:33], v[30:31]
	v_div_fmas_f64 v[12:13], v[12:13], v[14:15], v[32:33]
	v_div_fixup_f64 v[10:11], v[12:13], v[10:11], -v[52:53]
	v_fma_f64 v[12:13], v[10:11], v[10:11], 1.0
	v_cmp_gt_f64_e32 vcc, s[20:21], v[12:13]
	v_cndmask_b32_e64 v14, 0, 1, vcc
	v_lshlrev_b32_e32 v14, 8, v14
	v_ldexp_f64 v[12:13], v[12:13], v14
	v_rsq_f64_e32 v[14:15], v[12:13]
	v_mul_f64 v[30:31], v[12:13], v[14:15]
	v_mul_f64 v[14:15], v[14:15], 0.5
	v_fma_f64 v[32:33], -v[14:15], v[30:31], 0.5
	v_fmac_f64_e32 v[30:31], v[30:31], v[32:33]
	v_fma_f64 v[38:39], -v[30:31], v[30:31], v[12:13]
	v_fmac_f64_e32 v[14:15], v[14:15], v[32:33]
	v_fmac_f64_e32 v[30:31], v[38:39], v[14:15]
	v_fma_f64 v[32:33], -v[30:31], v[30:31], v[12:13]
	v_fmac_f64_e32 v[30:31], v[32:33], v[14:15]
	v_cndmask_b32_e32 v14, 0, v4, vcc
	v_mov_b32_e32 v4, 0x260
	v_ldexp_f64 v[14:15], v[30:31], v14
	v_cmp_class_f64_e32 vcc, v[12:13], v4
	v_cndmask_b32_e32 v13, v15, v13, vcc
	v_cndmask_b32_e32 v12, v14, v12, vcc
	v_div_scale_f64 v[14:15], vcc, v[12:13], v[12:13], 1.0
	v_rcp_f64_e32 v[30:31], v[14:15]
	v_fma_f64 v[32:33], -v[14:15], v[30:31], 1.0
	v_fmac_f64_e32 v[30:31], v[30:31], v[32:33]
	v_fma_f64 v[32:33], -v[14:15], v[30:31], 1.0
	v_fmac_f64_e32 v[30:31], v[30:31], v[32:33]
	v_div_scale_f64 v[32:33], vcc, 1.0, v[12:13], 1.0
	v_mul_f64 v[38:39], v[32:33], v[30:31]
	v_fma_f64 v[14:15], -v[14:15], v[38:39], v[32:33]
	s_nop 1
	v_div_fmas_f64 v[14:15], v[14:15], v[30:31], v[38:39]
	v_div_fixup_f64 v[12:13], v[14:15], v[12:13], 1.0
	v_mul_f64 v[14:15], v[10:11], v[12:13]
.LBB84_207:                             ;   in Loop: Header=BB84_140 Depth=2
	s_or_b64 exec, exec, s[38:39]
	v_cndmask_b32_e64 v10, 1, -1, s[12:13]
	v_xor_b32_e32 v11, 0x80000000, v13
	v_cmp_eq_u32_e32 vcc, v54, v10
	v_accvgpr_read_b32 v4, a23
	v_cndmask_b32_e32 v11, v15, v11, vcc
	v_cndmask_b32_e32 v10, v14, v12, vcc
	;; [unrolled: 1-line block ×4, first 2 shown]
	v_add_co_u32_e32 v14, vcc, v4, v26
	v_accvgpr_read_b32 v4, a22
	v_addc_co_u32_e32 v15, vcc, v4, v27, vcc
	flat_store_dwordx2 v[14:15], v[10:11]
	v_accvgpr_read_b32 v10, a32
	v_accvgpr_read_b32 v11, a33
	v_add_co_u32_e32 v10, vcc, v14, v10
	v_addc_co_u32_e32 v11, vcc, v15, v11, vcc
	flat_store_dwordx2 v[10:11], v[12:13]
	v_add_co_u32_e32 v10, vcc, -8, v60
	v_addc_co_u32_e32 v11, vcc, -1, v61, vcc
	flat_store_dwordx4 v[10:11], v[16:19]
	buffer_load_dword v12, off, s[0:3], s32 offset:112 ; 4-byte Folded Reload
	buffer_load_dword v13, off, s[0:3], s32 offset:116 ; 4-byte Folded Reload
	v_accvgpr_read_b32 v4, a28
	v_add_co_u32_e32 v10, vcc, v4, v28
	v_accvgpr_read_b32 v4, a29
	v_addc_co_u32_e32 v11, vcc, v4, v29, vcc
	v_accvgpr_read_b32 v33, a11
	v_accvgpr_read_b32 v32, a10
	s_waitcnt vmcnt(0)
	v_mov_b32_e32 v4, v12
	v_mov_b32_e32 v13, v12
	buffer_store_dword v4, off, s[0:3], s32 offset:112 ; 4-byte Folded Spill
	s_nop 0
	buffer_store_dword v5, off, s[0:3], s32 offset:116 ; 4-byte Folded Spill
	flat_store_dwordx2 v[10:11], v[12:13]
	v_add_u32_e32 v10, -2, v58
	v_accvgpr_read_b32 v4, a8
	ds_write_b32 v0, v10
	s_or_b64 exec, exec, s[36:37]
                                        ; implicit-def: $vgpr60_vgpr61
                                        ; implicit-def: $vgpr54_vgpr55
                                        ; implicit-def: $vgpr10
.LBB84_208:                             ;   in Loop: Header=BB84_140 Depth=2
	s_andn2_saveexec_b64 s[12:13], s[34:35]
	s_cbranch_execz .LBB84_210
.LBB84_209:                             ;   in Loop: Header=BB84_140 Depth=2
	flat_store_dwordx2 v[60:61], v[54:55]
	ds_write_b32 v0, v10
.LBB84_210:                             ;   in Loop: Header=BB84_140 Depth=2
	s_or_b64 exec, exec, s[12:13]
.LBB84_211:                             ;   in Loop: Header=BB84_140 Depth=2
	s_or_b64 exec, exec, s[30:31]
	s_waitcnt lgkmcnt(0)
	s_barrier
	s_waitcnt vmcnt(0)
	ds_read_b32 v58, v1
	ds_read_b32 v1, v0
	s_waitcnt lgkmcnt(0)
	v_cmp_ne_u32_e32 vcc, v58, v1
	s_and_saveexec_b64 s[30:31], vcc
	s_cbranch_execz .LBB84_139
; %bb.212:                              ;   in Loop: Header=BB84_140 Depth=2
	s_and_saveexec_b64 s[34:35], s[10:11]
	s_cbranch_execz .LBB84_138
; %bb.213:                              ;   in Loop: Header=BB84_140 Depth=2
	v_accvgpr_read_b32 v10, a10
	v_accvgpr_read_b32 v11, a11
	global_load_dword v14, v[10:11], off offset:16
	v_ashrrev_i32_e32 v59, 31, v58
	v_mul_lo_u32 v12, v58, v20
	v_lshlrev_b64 v[10:11], 3, v[58:59]
	v_accvgpr_read_b32 v1, a23
	v_ashrrev_i32_e32 v13, 31, v12
	v_add_co_u32_e32 v10, vcc, v1, v10
	v_accvgpr_read_b32 v1, a22
	v_addc_co_u32_e32 v11, vcc, v1, v11, vcc
	v_lshlrev_b64 v[12:13], 3, v[12:13]
	v_accvgpr_read_b32 v1, a7
	v_add_co_u32_e32 v1, vcc, v1, v12
	v_accvgpr_read_b32 v15, a6
	v_addc_co_u32_e32 v30, vcc, v15, v13, vcc
	v_accvgpr_read_b32 v4, a36
	v_add_co_u32_e32 v12, vcc, v4, v12
	v_accvgpr_read_b32 v4, a37
	v_addc_co_u32_e32 v13, vcc, v4, v13, vcc
	v_accvgpr_read_b32 v17, a15
	s_mov_b64 s[36:37], 0
	v_accvgpr_read_b32 v16, a14
	s_waitcnt vmcnt(0)
	ds_read_b32 v14, v14
	s_waitcnt lgkmcnt(0)
	v_sub_u32_e32 v31, v14, v58
	v_mad_i64_i32 v[14:15], s[12:13], v31, v20, 0
	v_lshlrev_b64 v[14:15], 3, v[14:15]
	v_add_co_u32_e64 v32, s[12:13], v1, v14
	v_cmp_lt_i32_e32 vcc, 0, v31
	v_addc_co_u32_e64 v33, s[12:13], v30, v15, s[12:13]
	s_branch .LBB84_215
.LBB84_214:                             ;   in Loop: Header=BB84_215 Depth=3
	s_or_b64 exec, exec, s[38:39]
	v_add_co_u32_e64 v14, s[12:13], v32, v14
	v_addc_co_u32_e64 v15, s[12:13], v33, v15, s[12:13]
	v_add_u32_e32 v16, v16, v24
	v_cmp_ge_i32_e64 s[12:13], v16, v2
	s_or_b64 s[36:37], s[12:13], s[36:37]
	v_add_co_u32_e64 v12, s[12:13], v12, v36
	v_addc_co_u32_e64 v13, s[12:13], v13, v37, s[12:13]
	s_waitcnt vmcnt(0) lgkmcnt(0)
	flat_store_dwordx2 v[14:15], v[18:19]
	s_andn2_b64 exec, exec, s[36:37]
	s_cbranch_execz .LBB84_138
.LBB84_215:                             ;   Parent Loop BB84_8 Depth=1
                                        ;     Parent Loop BB84_140 Depth=2
                                        ; =>    This Loop Header: Depth=3
                                        ;         Child Loop BB84_217 Depth 4
	v_ashrrev_i32_e32 v17, 31, v16
	v_lshlrev_b64 v[14:15], 3, v[16:17]
	v_add_co_u32_e64 v18, s[12:13], v1, v14
	v_addc_co_u32_e64 v19, s[12:13], v30, v15, s[12:13]
	flat_load_dwordx2 v[18:19], v[18:19]
	s_and_saveexec_b64 s[38:39], vcc
	s_cbranch_execz .LBB84_214
; %bb.216:                              ;   in Loop: Header=BB84_215 Depth=3
	s_mov_b64 s[40:41], 0
	v_pk_mov_b32 v[26:27], v[10:11], v[10:11] op_sel:[0,1]
	v_pk_mov_b32 v[28:29], v[12:13], v[12:13] op_sel:[0,1]
	v_mov_b32_e32 v17, v31
.LBB84_217:                             ;   Parent Loop BB84_8 Depth=1
                                        ;     Parent Loop BB84_140 Depth=2
                                        ;       Parent Loop BB84_215 Depth=3
                                        ; =>      This Inner Loop Header: Depth=4
	v_add_co_u32_e64 v22, s[12:13], v26, v3
	v_addc_co_u32_e64 v23, s[12:13], v27, v51, s[12:13]
	v_add_co_u32_e64 v38, s[12:13], v28, v48
	flat_load_dwordx2 v[22:23], v[22:23]
	v_addc_co_u32_e64 v39, s[12:13], v29, v49, s[12:13]
	flat_load_dwordx2 v[52:53], v[38:39]
	flat_load_dwordx2 v[54:55], v[26:27]
	v_add_co_u32_e64 v26, s[12:13], 8, v26
	v_add_u32_e32 v17, -1, v17
	v_addc_co_u32_e64 v27, s[12:13], 0, v27, s[12:13]
	v_cmp_eq_u32_e64 s[12:13], 0, v17
	s_or_b64 s[40:41], s[12:13], s[40:41]
	s_waitcnt vmcnt(0) lgkmcnt(0)
	v_mul_f64 v[44:45], v[22:23], v[52:53]
	v_mul_f64 v[22:23], v[18:19], v[22:23]
	v_fmac_f64_e32 v[44:45], v[18:19], v[54:55]
	v_fma_f64 v[18:19], v[54:55], v[52:53], -v[22:23]
	flat_store_dwordx2 v[28:29], v[44:45]
	v_pk_mov_b32 v[28:29], v[38:39], v[38:39] op_sel:[0,1]
	s_andn2_b64 exec, exec, s[40:41]
	s_cbranch_execnz .LBB84_217
; %bb.218:                              ;   in Loop: Header=BB84_215 Depth=3
	s_or_b64 exec, exec, s[40:41]
	s_branch .LBB84_214
.LBB84_219:                             ;   in Loop: Header=BB84_140 Depth=2
	s_or_b64 exec, exec, s[36:37]
                                        ; implicit-def: $vgpr60_vgpr61
                                        ; implicit-def: $vgpr54_vgpr55
                                        ; implicit-def: $vgpr10
	s_andn2_saveexec_b64 s[12:13], s[34:35]
	s_cbranch_execnz .LBB84_209
	s_branch .LBB84_210
.LBB84_220:                             ;   in Loop: Header=BB84_8 Depth=1
	s_or_b64 exec, exec, s[28:29]
.LBB84_221:                             ;   in Loop: Header=BB84_8 Depth=1
	s_or_b64 exec, exec, s[26:27]
.LBB84_222:                             ;   in Loop: Header=BB84_8 Depth=1
	s_or_b64 exec, exec, s[14:15]
	v_accvgpr_read_b32 v1, a43
	s_barrier
	ds_read_b64 v[12:13], v1
	v_accvgpr_read_b32 v0, a16
	v_accvgpr_read_b32 v1, a17
	s_waitcnt lgkmcnt(0)
	v_cmp_gt_f64_e32 vcc, v[12:13], v[0:1]
	s_and_saveexec_b64 s[12:13], vcc
	s_cbranch_execz .LBB84_228
; %bb.223:                              ;   in Loop: Header=BB84_8 Depth=1
	global_load_dword v10, v[32:33], off offset:16
	global_load_dword v11, v[32:33], off offset:32
	v_accvgpr_read_b32 v27, a17
	v_accvgpr_read_b32 v26, a16
	v_div_scale_f64 v[14:15], s[14:15], v[12:13], v[12:13], v[26:27]
	v_rcp_f64_e32 v[16:17], v[14:15]
	v_div_scale_f64 v[18:19], vcc, v[26:27], v[12:13], v[26:27]
	v_fma_f64 v[0:1], -v[14:15], v[16:17], 1.0
	v_fmac_f64_e32 v[16:17], v[16:17], v[0:1]
	v_fma_f64 v[0:1], -v[14:15], v[16:17], 1.0
	v_fmac_f64_e32 v[16:17], v[16:17], v[0:1]
	v_mul_f64 v[22:23], v[18:19], v[16:17]
	v_fma_f64 v[14:15], -v[14:15], v[22:23], v[18:19]
	v_div_fmas_f64 v[14:15], v[14:15], v[16:17], v[22:23]
	v_div_fixup_f64 v[12:13], v[14:15], v[12:13], v[26:27]
	s_waitcnt vmcnt(0)
	ds_read_b32 v0, v10
	ds_read_b32 v10, v11
	s_and_saveexec_b64 s[14:15], s[8:9]
	s_cbranch_execz .LBB84_225
; %bb.224:                              ;   in Loop: Header=BB84_8 Depth=1
	s_waitcnt lgkmcnt(0)
	v_ashrrev_i32_e32 v11, 31, v10
	v_lshlrev_b64 v[14:15], 3, v[10:11]
	v_add_co_u32_e32 v14, vcc, v7, v14
	v_addc_co_u32_e32 v15, vcc, v4, v15, vcc
	flat_load_dwordx2 v[16:17], v[14:15]
	s_waitcnt vmcnt(0) lgkmcnt(0)
	v_mul_f64 v[16:17], v[12:13], v[16:17]
	flat_store_dwordx2 v[14:15], v[16:17]
.LBB84_225:                             ;   in Loop: Header=BB84_8 Depth=1
	s_or_b64 exec, exec, s[14:15]
	v_accvgpr_read_b32 v14, a14
	s_waitcnt lgkmcnt(0)
	v_add_u32_e32 v14, v0, v14
	v_cmp_lt_i32_e32 vcc, v14, v10
	v_accvgpr_read_b32 v15, a15
	s_and_b64 exec, exec, vcc
	s_cbranch_execz .LBB84_228
; %bb.226:                              ;   in Loop: Header=BB84_8 Depth=1
	v_ashrrev_i32_e32 v15, 31, v14
	v_lshlrev_b64 v[16:17], 3, v[14:15]
	s_mov_b64 s[14:15], 0
.LBB84_227:                             ;   Parent Loop BB84_8 Depth=1
                                        ; =>  This Inner Loop Header: Depth=2
	v_add_co_u32_e32 v0, vcc, v7, v16
	v_addc_co_u32_e32 v1, vcc, v4, v17, vcc
	flat_load_dwordx2 v[18:19], v[0:1]
	v_add_co_u32_e32 v22, vcc, v5, v16
	v_addc_co_u32_e32 v23, vcc, v6, v17, vcc
	v_add_co_u32_e32 v16, vcc, v16, v36
	v_add_u32_e32 v14, v14, v24
	v_addc_co_u32_e32 v17, vcc, v17, v37, vcc
	v_cmp_ge_i32_e32 vcc, v14, v10
	s_or_b64 s[14:15], vcc, s[14:15]
	s_waitcnt vmcnt(0) lgkmcnt(0)
	v_mul_f64 v[18:19], v[12:13], v[18:19]
	flat_store_dwordx2 v[0:1], v[18:19]
	flat_load_dwordx2 v[0:1], v[22:23]
	s_waitcnt vmcnt(0) lgkmcnt(0)
	v_mul_f64 v[0:1], v[12:13], v[0:1]
	flat_store_dwordx2 v[22:23], v[0:1]
	s_andn2_b64 exec, exec, s[14:15]
	s_cbranch_execnz .LBB84_227
.LBB84_228:                             ;   in Loop: Header=BB84_8 Depth=1
	s_or_b64 exec, exec, s[12:13]
	v_accvgpr_read_b32 v1, a43
	ds_read_b64 v[12:13], v1
	v_accvgpr_read_b32 v0, a18
	v_accvgpr_read_b32 v1, a19
	s_waitcnt lgkmcnt(0)
	v_cmp_lt_f64_e32 vcc, v[12:13], v[0:1]
	s_and_saveexec_b64 s[12:13], vcc
	s_cbranch_execz .LBB84_6
; %bb.229:                              ;   in Loop: Header=BB84_8 Depth=1
	global_load_dword v10, v[32:33], off offset:16
	global_load_dword v11, v[32:33], off offset:32
	v_accvgpr_read_b32 v27, a19
	v_accvgpr_read_b32 v26, a18
	v_div_scale_f64 v[14:15], s[14:15], v[12:13], v[12:13], v[26:27]
	v_rcp_f64_e32 v[16:17], v[14:15]
	v_div_scale_f64 v[18:19], vcc, v[26:27], v[12:13], v[26:27]
	v_fma_f64 v[0:1], -v[14:15], v[16:17], 1.0
	v_fmac_f64_e32 v[16:17], v[16:17], v[0:1]
	v_fma_f64 v[0:1], -v[14:15], v[16:17], 1.0
	v_fmac_f64_e32 v[16:17], v[16:17], v[0:1]
	v_mul_f64 v[22:23], v[18:19], v[16:17]
	v_fma_f64 v[14:15], -v[14:15], v[22:23], v[18:19]
	v_div_fmas_f64 v[14:15], v[14:15], v[16:17], v[22:23]
	v_div_fixup_f64 v[12:13], v[14:15], v[12:13], v[26:27]
	s_waitcnt vmcnt(0)
	ds_read_b32 v0, v10
	ds_read_b32 v10, v11
	s_and_saveexec_b64 s[14:15], s[8:9]
	s_cbranch_execz .LBB84_231
; %bb.230:                              ;   in Loop: Header=BB84_8 Depth=1
	s_waitcnt lgkmcnt(0)
	v_ashrrev_i32_e32 v11, 31, v10
	v_lshlrev_b64 v[14:15], 3, v[10:11]
	v_add_co_u32_e32 v14, vcc, v7, v14
	v_addc_co_u32_e32 v15, vcc, v4, v15, vcc
	flat_load_dwordx2 v[16:17], v[14:15]
	s_waitcnt vmcnt(0) lgkmcnt(0)
	v_mul_f64 v[16:17], v[12:13], v[16:17]
	flat_store_dwordx2 v[14:15], v[16:17]
.LBB84_231:                             ;   in Loop: Header=BB84_8 Depth=1
	s_or_b64 exec, exec, s[14:15]
	v_accvgpr_read_b32 v14, a14
	s_waitcnt lgkmcnt(0)
	v_add_u32_e32 v14, v0, v14
	v_cmp_lt_i32_e32 vcc, v14, v10
	v_accvgpr_read_b32 v15, a15
	s_and_b64 exec, exec, vcc
	s_cbranch_execz .LBB84_6
; %bb.232:                              ;   in Loop: Header=BB84_8 Depth=1
	v_ashrrev_i32_e32 v15, 31, v14
	v_lshlrev_b64 v[16:17], 3, v[14:15]
	s_mov_b64 s[14:15], 0
.LBB84_233:                             ;   Parent Loop BB84_8 Depth=1
                                        ; =>  This Inner Loop Header: Depth=2
	v_add_co_u32_e32 v0, vcc, v7, v16
	v_addc_co_u32_e32 v1, vcc, v4, v17, vcc
	flat_load_dwordx2 v[18:19], v[0:1]
	v_add_co_u32_e32 v22, vcc, v5, v16
	v_addc_co_u32_e32 v23, vcc, v6, v17, vcc
	v_add_co_u32_e32 v16, vcc, v16, v36
	v_add_u32_e32 v14, v14, v24
	v_addc_co_u32_e32 v17, vcc, v17, v37, vcc
	v_cmp_ge_i32_e32 vcc, v14, v10
	s_or_b64 s[14:15], vcc, s[14:15]
	s_waitcnt vmcnt(0) lgkmcnt(0)
	v_mul_f64 v[18:19], v[12:13], v[18:19]
	flat_store_dwordx2 v[0:1], v[18:19]
	flat_load_dwordx2 v[0:1], v[22:23]
	s_waitcnt vmcnt(0) lgkmcnt(0)
	v_mul_f64 v[0:1], v[12:13], v[0:1]
	flat_store_dwordx2 v[22:23], v[0:1]
	s_andn2_b64 exec, exec, s[14:15]
	s_cbranch_execnz .LBB84_233
	s_branch .LBB84_6
.LBB84_234:
	s_or_b64 exec, exec, s[16:17]
	v_accvgpr_read_b32 v0, a14
	v_accvgpr_read_b32 v8, a24
	;; [unrolled: 1-line block ×3, first 2 shown]
	v_cmp_gt_i32_e32 vcc, v8, v0
	s_mov_b64 s[8:9], exec
	v_accvgpr_read_b32 v15, a13
	s_and_b64 s[10:11], s[8:9], vcc
	v_accvgpr_read_b32 v14, a12
	s_mov_b64 exec, s[10:11]
	s_cbranch_execz .LBB84_239
; %bb.235:
	v_accvgpr_read_b32 v0, a14
	v_accvgpr_read_b32 v1, a15
	v_lshlrev_b64 v[0:1], 3, v[0:1]
	v_add_co_u32_e32 v10, vcc, v5, v0
	v_addc_co_u32_e32 v11, vcc, v6, v1, vcc
	v_lshlrev_b64 v[12:13], 3, v[24:25]
	s_mov_b64 s[10:11], 0
	v_mov_b32_e32 v0, 1
	s_branch .LBB84_237
.LBB84_236:                             ;   in Loop: Header=BB84_237 Depth=1
	s_or_b64 exec, exec, s[12:13]
	v_accvgpr_read_b32 v6, a14
	v_add_u32_e32 v6, v6, v24
	v_accvgpr_read_b32 v8, a24
	v_cmp_ge_i32_e32 vcc, v6, v8
	s_or_b64 s[10:11], vcc, s[10:11]
	v_add_co_u32_e32 v10, vcc, v10, v12
	v_accvgpr_write_b32 a14, v6
	v_addc_co_u32_e32 v11, vcc, v11, v13, vcc
	s_andn2_b64 exec, exec, s[10:11]
	s_cbranch_execz .LBB84_239
.LBB84_237:                             ; =>This Inner Loop Header: Depth=1
	flat_load_dwordx2 v[8:9], v[10:11]
	s_waitcnt vmcnt(0) lgkmcnt(0)
	v_cmp_neq_f64_e32 vcc, 0, v[8:9]
	s_and_saveexec_b64 s[12:13], vcc
	s_cbranch_execz .LBB84_236
; %bb.238:                              ;   in Loop: Header=BB84_237 Depth=1
	flat_atomic_add v[14:15], v0
	s_branch .LBB84_236
.LBB84_239:
	s_or_b64 exec, exec, s[8:9]
	v_cmp_lt_i32_e32 vcc, 1, v2
	s_mov_b32 s18, 1
	s_and_b64 s[8:9], vcc, s[6:7]
	s_and_saveexec_b64 s[6:7], s[8:9]
	s_cbranch_execz .LBB84_255
; %bb.240:
	v_add_co_u32_e32 v0, vcc, 8, v7
	v_addc_co_u32_e32 v1, vcc, 0, v4, vcc
	s_mov_b64 s[8:9], 0
	s_branch .LBB84_242
.LBB84_241:                             ;   in Loop: Header=BB84_242 Depth=1
	s_or_b64 exec, exec, s[10:11]
	s_add_i32 s18, s18, 1
	v_cmp_eq_u32_e32 vcc, s18, v2
	s_or_b64 s[8:9], vcc, s[8:9]
	v_add_co_u32_e32 v0, vcc, 8, v0
	v_addc_co_u32_e32 v1, vcc, 0, v1, vcc
	s_waitcnt lgkmcnt(0)
	s_barrier
	s_andn2_b64 exec, exec, s[8:9]
	s_cbranch_execz .LBB84_255
.LBB84_242:                             ; =>This Loop Header: Depth=1
                                        ;     Child Loop BB84_247 Depth 2
                                        ;     Child Loop BB84_254 Depth 2
                                        ; implicit-def: $vgpr11
	s_and_saveexec_b64 s[10:11], s[4:5]
	s_xor_b64 s[10:11], exec, s[10:11]
	s_cbranch_execz .LBB84_244
; %bb.243:                              ;   in Loop: Header=BB84_242 Depth=1
	global_load_dwordx2 v[10:11], v[32:33], off
.LBB84_244:                             ;   in Loop: Header=BB84_242 Depth=1
	s_andn2_saveexec_b64 s[10:11], s[10:11]
	s_cbranch_execz .LBB84_252
; %bb.245:                              ;   in Loop: Header=BB84_242 Depth=1
	s_add_i32 s12, s18, -1
	s_ashr_i32 s13, s12, 31
	s_lshl_b64 s[14:15], s[12:13], 3
	v_mov_b32_e32 v3, s15
	v_add_co_u32_e32 v14, vcc, s14, v7
	v_addc_co_u32_e32 v15, vcc, v4, v3, vcc
	global_load_dwordx3 v[10:12], v[32:33], off
	flat_load_dwordx2 v[24:25], v[14:15]
	s_mov_b64 s[14:15], 0
	v_pk_mov_b32 v[18:19], v[0:1], v[0:1] op_sel:[0,1]
	v_mov_b32_e32 v16, s12
	s_mov_b32 s13, s18
	s_waitcnt vmcnt(0)
	ds_write_b32 v10, v16
	ds_write_b32 v11, v16
	s_waitcnt lgkmcnt(0)
	ds_write_b64 v12, v[24:25]
	s_branch .LBB84_247
.LBB84_246:                             ;   in Loop: Header=BB84_247 Depth=2
	s_or_b64 exec, exec, s[16:17]
	s_add_i32 s13, s13, 1
	v_cmp_ge_i32_e32 vcc, s13, v2
	s_or_b64 s[14:15], vcc, s[14:15]
	v_add_co_u32_e32 v18, vcc, 8, v18
	v_addc_co_u32_e32 v19, vcc, 0, v19, vcc
	s_andn2_b64 exec, exec, s[14:15]
	s_cbranch_execz .LBB84_249
.LBB84_247:                             ;   Parent Loop BB84_242 Depth=1
                                        ; =>  This Inner Loop Header: Depth=2
	flat_load_dwordx2 v[26:27], v[18:19]
	s_waitcnt vmcnt(0) lgkmcnt(0)
	v_cmp_lt_f64_e32 vcc, v[26:27], v[24:25]
	s_and_saveexec_b64 s[16:17], vcc
	s_cbranch_execz .LBB84_246
; %bb.248:                              ;   in Loop: Header=BB84_247 Depth=2
	v_mov_b32_e32 v16, s13
	v_pk_mov_b32 v[24:25], v[26:27], v[26:27] op_sel:[0,1]
	ds_write_b32 v11, v16
	ds_write_b64 v12, v[26:27]
	s_branch .LBB84_246
.LBB84_249:                             ;   in Loop: Header=BB84_242 Depth=1
	s_or_b64 exec, exec, s[14:15]
	v_cmp_ne_u32_e32 vcc, s12, v16
	s_and_saveexec_b64 s[12:13], vcc
	s_cbranch_execz .LBB84_251
; %bb.250:                              ;   in Loop: Header=BB84_242 Depth=1
	flat_load_dwordx2 v[8:9], v[14:15]
	v_ashrrev_i32_e32 v17, 31, v16
	v_lshlrev_b64 v[16:17], 3, v[16:17]
	v_add_co_u32_e32 v16, vcc, v7, v16
	v_addc_co_u32_e32 v17, vcc, v4, v17, vcc
	s_waitcnt vmcnt(0) lgkmcnt(0)
	flat_store_dwordx2 v[16:17], v[8:9]
	ds_read_b64 v[8:9], v12
	s_waitcnt lgkmcnt(0)
	flat_store_dwordx2 v[14:15], v[8:9]
.LBB84_251:                             ;   in Loop: Header=BB84_242 Depth=1
	s_or_b64 exec, exec, s[12:13]
.LBB84_252:                             ;   in Loop: Header=BB84_242 Depth=1
	s_or_b64 exec, exec, s[10:11]
	s_waitcnt lgkmcnt(0)
	s_barrier
	s_waitcnt vmcnt(0)
	ds_read_b32 v3, v11
	ds_read_b32 v5, v10
	s_waitcnt lgkmcnt(0)
	v_cmp_ne_u32_e32 vcc, v3, v5
	s_and_saveexec_b64 s[10:11], vcc
	s_cbranch_execz .LBB84_241
; %bb.253:                              ;   in Loop: Header=BB84_242 Depth=1
	v_mul_lo_u32 v10, v3, v20
	v_ashrrev_i32_e32 v11, 31, v10
	v_mul_lo_u32 v8, v5, v20
	v_lshlrev_b64 v[10:11], 3, v[10:11]
	v_accvgpr_read_b32 v6, a7
	v_add_co_u32_e32 v10, vcc, v6, v10
	v_accvgpr_read_b32 v3, a6
	v_ashrrev_i32_e32 v9, 31, v8
	v_addc_co_u32_e32 v11, vcc, v3, v11, vcc
	v_lshlrev_b64 v[8:9], 3, v[8:9]
	v_add_co_u32_e32 v12, vcc, v6, v8
	v_addc_co_u32_e32 v13, vcc, v3, v9, vcc
	s_mov_b64 s[12:13], 0
	v_mov_b32_e32 v3, v2
.LBB84_254:                             ;   Parent Loop BB84_242 Depth=1
                                        ; =>  This Inner Loop Header: Depth=2
	flat_load_dwordx2 v[8:9], v[10:11]
	flat_load_dwordx2 v[14:15], v[12:13]
	v_add_u32_e32 v3, -1, v3
	v_cmp_eq_u32_e32 vcc, 0, v3
	s_or_b64 s[12:13], vcc, s[12:13]
	s_waitcnt vmcnt(0) lgkmcnt(0)
	flat_store_dwordx2 v[12:13], v[8:9]
	flat_store_dwordx2 v[10:11], v[14:15]
	v_add_co_u32_e32 v10, vcc, 8, v10
	v_addc_co_u32_e32 v11, vcc, 0, v11, vcc
	v_add_co_u32_e32 v12, vcc, 8, v12
	v_addc_co_u32_e32 v13, vcc, 0, v13, vcc
	s_andn2_b64 exec, exec, s[12:13]
	s_cbranch_execnz .LBB84_254
	s_branch .LBB84_241
.LBB84_255:
	s_or_b64 exec, exec, s[6:7]
	buffer_load_dword a45, off, s[0:3], s32 ; 4-byte Folded Reload
	buffer_load_dword a44, off, s[0:3], s32 offset:4 ; 4-byte Folded Reload
	buffer_load_dword a43, off, s[0:3], s32 offset:8 ; 4-byte Folded Reload
	;; [unrolled: 1-line block ×27, first 2 shown]
	v_readlane_b32 s30, v63, 17
	v_readlane_b32 s31, v63, 18
	v_readlane_b32 s50, v63, 16
	v_readlane_b32 s49, v63, 15
	v_readlane_b32 s48, v63, 14
	v_readlane_b32 s47, v63, 13
	v_readlane_b32 s46, v63, 12
	v_readlane_b32 s45, v63, 11
	v_readlane_b32 s44, v63, 10
	v_readlane_b32 s43, v63, 9
	v_readlane_b32 s42, v63, 8
	v_readlane_b32 s41, v63, 7
	v_readlane_b32 s40, v63, 6
	v_readlane_b32 s39, v63, 5
	v_readlane_b32 s38, v63, 4
	v_readlane_b32 s37, v63, 3
	v_readlane_b32 s36, v63, 2
	v_readlane_b32 s35, v63, 1
	v_readlane_b32 s34, v63, 0
	s_or_saveexec_b64 s[4:5], -1
	buffer_load_dword v63, off, s[0:3], s32 offset:120 ; 4-byte Folded Reload
	s_mov_b64 exec, s[4:5]
	s_waitcnt vmcnt(0) lgkmcnt(0)
	s_setpc_b64 s[30:31]
.Lfunc_end84:
	.size	_ZN9rocsolver6v331009run_steqrIddEEviiiPT0_S3_PT_iPiS3_iS2_S2_S2_b, .Lfunc_end84-_ZN9rocsolver6v331009run_steqrIddEEviiiPT0_S3_PT_iPiS3_iS2_S2_S2_b
                                        ; -- End function
	.section	.AMDGPU.csdata,"",@progbits
; Function info:
; codeLenInByte = 18056
; NumSgprs: 55
; NumVgprs: 64
; NumAgprs: 46
; TotalNumVgprs: 110
; ScratchSize: 128
; MemoryBound: 0
	.section	.text._ZN9rocsolver6v33100L12steqr_kernelIddPdEEviPT0_lS4_lT1_iilPiS4_iS3_S3_S3_,"axG",@progbits,_ZN9rocsolver6v33100L12steqr_kernelIddPdEEviPT0_lS4_lT1_iilPiS4_iS3_S3_S3_,comdat
	.globl	_ZN9rocsolver6v33100L12steqr_kernelIddPdEEviPT0_lS4_lT1_iilPiS4_iS3_S3_S3_ ; -- Begin function _ZN9rocsolver6v33100L12steqr_kernelIddPdEEviPT0_lS4_lT1_iilPiS4_iS3_S3_S3_
	.p2align	8
	.type	_ZN9rocsolver6v33100L12steqr_kernelIddPdEEviPT0_lS4_lT1_iilPiS4_iS3_S3_S3_,@function
_ZN9rocsolver6v33100L12steqr_kernelIddPdEEviPT0_lS4_lT1_iilPiS4_iS3_S3_S3_: ; @_ZN9rocsolver6v33100L12steqr_kernelIddPdEEviPT0_lS4_lT1_iilPiS4_iS3_S3_S3_
; %bb.0:
	s_add_u32 flat_scratch_lo, s6, s10
	s_addc_u32 flat_scratch_hi, s7, 0
	s_add_u32 s0, s0, s10
	s_mov_b32 s6, s9
	s_load_dword s33, s[4:5], 0x0
	s_load_dwordx8 s[24:31], s[4:5], 0x8
	s_load_dwordx8 s[16:23], s[4:5], 0x28
	s_load_dword s7, s[4:5], 0x70
	s_load_dword s9, s[4:5], 0x7c
	s_load_dwordx2 s[10:11], s[4:5], 0x48
	s_load_dword s34, s[4:5], 0x50
	s_load_dwordx4 s[36:39], s[4:5], 0x58
	s_load_dwordx2 s[12:13], s[4:5], 0x68
	s_addc_u32 s1, s1, 0
	s_waitcnt lgkmcnt(0)
	s_and_b32 s9, s9, 0xffff
	s_mul_i32 s8, s8, s9
	v_add_u32_e32 v0, s8, v0
	s_mul_i32 s35, s7, s9
	s_ashr_i32 s7, s6, 31
	s_mul_i32 s8, s6, s27
	s_mul_hi_u32 s9, s6, s26
	s_add_i32 s8, s9, s8
	s_mul_i32 s9, s7, s26
	s_add_i32 s9, s8, s9
	s_mul_i32 s8, s6, s26
	s_lshl_b32 s40, s33, 1
	s_lshl_b64 s[8:9], s[8:9], 3
	s_add_u32 s24, s24, s8
	s_addc_u32 s25, s25, s9
	s_mul_i32 s8, s6, s31
	s_mul_hi_u32 s9, s6, s30
	s_add_i32 s8, s9, s8
	s_mul_i32 s9, s7, s30
	s_add_i32 s9, s8, s9
	s_mul_i32 s8, s6, s30
	s_lshl_b64 s[8:9], s[8:9], 3
	s_add_u32 s26, s28, s8
	s_mul_i32 s14, s6, s21
	s_mul_hi_u32 s15, s6, s20
	s_addc_u32 s27, s29, s9
	s_add_i32 s14, s15, s14
	s_mul_i32 s15, s7, s20
	s_add_i32 s15, s14, s15
	s_mul_i32 s14, s6, s20
	s_ashr_i32 s9, s18, 31
	s_lshl_b64 s[14:15], s[14:15], 3
	s_mov_b32 s8, s18
	s_add_u32 s14, s16, s14
	s_addc_u32 s15, s17, s15
	s_lshl_b64 s[8:9], s[8:9], 3
	s_add_u32 s14, s14, s8
	s_addc_u32 s16, s15, s9
	s_mul_hi_i32 s9, s40, s6
	s_mul_i32 s8, s40, s6
	s_lshl_b64 s[8:9], s[8:9], 3
	s_add_u32 s10, s10, s8
	s_addc_u32 s11, s11, s9
	s_lshl_b64 s[6:7], s[6:7], 2
	s_add_u32 s6, s22, s6
	s_addc_u32 s7, s23, s7
	s_add_u32 s8, s4, 0x70
	s_addc_u32 s9, s5, 0
	s_mov_b32 s15, 0
	v_mov_b32_e32 v1, s35
	v_mov_b32_e32 v2, s33
	;; [unrolled: 1-line block ×21, first 2 shown]
	s_mov_b32 s32, 0
	s_getpc_b64 s[4:5]
	s_add_u32 s4, s4, _ZN9rocsolver6v331009run_steqrIddEEviiiPT0_S3_PT_iPiS3_iS2_S2_S2_b@rel32@lo+4
	s_addc_u32 s5, s5, _ZN9rocsolver6v331009run_steqrIddEEviiiPT0_S3_PT_iPiS3_iS2_S2_S2_b@rel32@hi+12
	s_swappc_b64 s[30:31], s[4:5]
	s_endpgm
	.section	.rodata,"a",@progbits
	.p2align	6, 0x0
	.amdhsa_kernel _ZN9rocsolver6v33100L12steqr_kernelIddPdEEviPT0_lS4_lT1_iilPiS4_iS3_S3_S3_
		.amdhsa_group_segment_fixed_size 48
		.amdhsa_private_segment_fixed_size 128
		.amdhsa_kernarg_size 368
		.amdhsa_user_sgpr_count 8
		.amdhsa_user_sgpr_private_segment_buffer 1
		.amdhsa_user_sgpr_dispatch_ptr 0
		.amdhsa_user_sgpr_queue_ptr 0
		.amdhsa_user_sgpr_kernarg_segment_ptr 1
		.amdhsa_user_sgpr_dispatch_id 0
		.amdhsa_user_sgpr_flat_scratch_init 1
		.amdhsa_user_sgpr_kernarg_preload_length 0
		.amdhsa_user_sgpr_kernarg_preload_offset 0
		.amdhsa_user_sgpr_private_segment_size 0
		.amdhsa_uses_dynamic_stack 0
		.amdhsa_system_sgpr_private_segment_wavefront_offset 1
		.amdhsa_system_sgpr_workgroup_id_x 1
		.amdhsa_system_sgpr_workgroup_id_y 1
		.amdhsa_system_sgpr_workgroup_id_z 0
		.amdhsa_system_sgpr_workgroup_info 0
		.amdhsa_system_vgpr_workitem_id 0
		.amdhsa_next_free_vgpr 110
		.amdhsa_next_free_sgpr 51
		.amdhsa_accum_offset 64
		.amdhsa_reserve_vcc 1
		.amdhsa_reserve_flat_scratch 1
		.amdhsa_float_round_mode_32 0
		.amdhsa_float_round_mode_16_64 0
		.amdhsa_float_denorm_mode_32 3
		.amdhsa_float_denorm_mode_16_64 3
		.amdhsa_dx10_clamp 1
		.amdhsa_ieee_mode 1
		.amdhsa_fp16_overflow 0
		.amdhsa_tg_split 0
		.amdhsa_exception_fp_ieee_invalid_op 0
		.amdhsa_exception_fp_denorm_src 0
		.amdhsa_exception_fp_ieee_div_zero 0
		.amdhsa_exception_fp_ieee_overflow 0
		.amdhsa_exception_fp_ieee_underflow 0
		.amdhsa_exception_fp_ieee_inexact 0
		.amdhsa_exception_int_div_zero 0
	.end_amdhsa_kernel
	.section	.text._ZN9rocsolver6v33100L12steqr_kernelIddPdEEviPT0_lS4_lT1_iilPiS4_iS3_S3_S3_,"axG",@progbits,_ZN9rocsolver6v33100L12steqr_kernelIddPdEEviPT0_lS4_lT1_iilPiS4_iS3_S3_S3_,comdat
.Lfunc_end85:
	.size	_ZN9rocsolver6v33100L12steqr_kernelIddPdEEviPT0_lS4_lT1_iilPiS4_iS3_S3_S3_, .Lfunc_end85-_ZN9rocsolver6v33100L12steqr_kernelIddPdEEviPT0_lS4_lT1_iilPiS4_iS3_S3_S3_
                                        ; -- End function
	.section	.AMDGPU.csdata,"",@progbits
; Kernel info:
; codeLenInByte = 416
; NumSgprs: 57
; NumVgprs: 64
; NumAgprs: 46
; TotalNumVgprs: 110
; ScratchSize: 128
; MemoryBound: 0
; FloatMode: 240
; IeeeMode: 1
; LDSByteSize: 48 bytes/workgroup (compile time only)
; SGPRBlocks: 7
; VGPRBlocks: 13
; NumSGPRsForWavesPerEU: 57
; NumVGPRsForWavesPerEU: 110
; AccumOffset: 64
; Occupancy: 4
; WaveLimiterHint : 0
; COMPUTE_PGM_RSRC2:SCRATCH_EN: 1
; COMPUTE_PGM_RSRC2:USER_SGPR: 8
; COMPUTE_PGM_RSRC2:TRAP_HANDLER: 0
; COMPUTE_PGM_RSRC2:TGID_X_EN: 1
; COMPUTE_PGM_RSRC2:TGID_Y_EN: 1
; COMPUTE_PGM_RSRC2:TGID_Z_EN: 0
; COMPUTE_PGM_RSRC2:TIDIG_COMP_CNT: 0
; COMPUTE_PGM_RSRC3_GFX90A:ACCUM_OFFSET: 15
; COMPUTE_PGM_RSRC3_GFX90A:TG_SPLIT: 0
	.section	.text._ZN9rocsolver6v33100L10init_identIdPdEEviiT0_iil,"axG",@progbits,_ZN9rocsolver6v33100L10init_identIdPdEEviiT0_iil,comdat
	.globl	_ZN9rocsolver6v33100L10init_identIdPdEEviiT0_iil ; -- Begin function _ZN9rocsolver6v33100L10init_identIdPdEEviiT0_iil
	.p2align	8
	.type	_ZN9rocsolver6v33100L10init_identIdPdEEviiT0_iil,@function
_ZN9rocsolver6v33100L10init_identIdPdEEviiT0_iil: ; @_ZN9rocsolver6v33100L10init_identIdPdEEviiT0_iil
; %bb.0:
	s_load_dword s2, s[4:5], 0x2c
	s_load_dwordx2 s[0:1], s[4:5], 0x0
	v_and_b32_e32 v1, 0x3ff, v0
	v_bfe_u32 v0, v0, 10, 10
	s_waitcnt lgkmcnt(0)
	s_lshr_b32 s3, s2, 16
	s_and_b32 s2, s2, 0xffff
	s_mul_i32 s6, s6, s2
	s_mul_i32 s7, s7, s3
	v_add_u32_e32 v2, s6, v1
	v_add_u32_e32 v1, s7, v0
	v_cmp_gt_u32_e32 vcc, s0, v2
	v_cmp_gt_u32_e64 s[0:1], s1, v1
	s_and_b64 s[0:1], vcc, s[0:1]
	s_and_saveexec_b64 s[2:3], s[0:1]
	s_cbranch_execz .LBB86_6
; %bb.1:
	s_load_dwordx2 s[0:1], s[4:5], 0x10
	v_cmp_ne_u32_e32 vcc, v2, v1
                                        ; implicit-def: $sgpr2_sgpr3
                                        ; implicit-def: $vgpr0
	s_and_saveexec_b64 s[6:7], vcc
	s_xor_b64 s[6:7], exec, s[6:7]
	s_cbranch_execz .LBB86_3
; %bb.2:
	s_waitcnt lgkmcnt(0)
	v_mad_u64_u32 v[0:1], s[2:3], v1, s1, v[2:3]
	s_mov_b64 s[2:3], 0
                                        ; implicit-def: $vgpr2
.LBB86_3:
	s_or_saveexec_b64 s[6:7], s[6:7]
	v_pk_mov_b32 v[4:5], s[2:3], s[2:3] op_sel:[0,1]
	s_xor_b64 exec, exec, s[6:7]
	s_cbranch_execz .LBB86_5
; %bb.4:
	v_mov_b32_e32 v4, 0
	s_waitcnt lgkmcnt(0)
	v_mad_u64_u32 v[0:1], s[2:3], v2, s1, v[2:3]
	v_mov_b32_e32 v5, 0x3ff00000
.LBB86_5:
	s_or_b64 exec, exec, s[6:7]
	s_load_dwordx2 s[2:3], s[4:5], 0x18
	s_load_dwordx2 s[6:7], s[4:5], 0x8
	s_waitcnt lgkmcnt(0)
	s_ashr_i32 s1, s0, 31
	v_mov_b32_e32 v1, 0
	v_lshlrev_b64 v[0:1], 3, v[0:1]
	s_mul_i32 s3, s8, s3
	s_mul_hi_u32 s4, s8, s2
	s_mul_i32 s2, s8, s2
	s_add_i32 s3, s4, s3
	s_lshl_b64 s[2:3], s[2:3], 3
	s_add_u32 s2, s6, s2
	s_addc_u32 s3, s7, s3
	s_lshl_b64 s[0:1], s[0:1], 3
	s_add_u32 s0, s2, s0
	s_addc_u32 s1, s3, s1
	v_mov_b32_e32 v2, s1
	v_add_co_u32_e32 v0, vcc, s0, v0
	v_addc_co_u32_e32 v1, vcc, v2, v1, vcc
	global_store_dwordx2 v[0:1], v[4:5], off
.LBB86_6:
	s_endpgm
	.section	.rodata,"a",@progbits
	.p2align	6, 0x0
	.amdhsa_kernel _ZN9rocsolver6v33100L10init_identIdPdEEviiT0_iil
		.amdhsa_group_segment_fixed_size 0
		.amdhsa_private_segment_fixed_size 0
		.amdhsa_kernarg_size 288
		.amdhsa_user_sgpr_count 6
		.amdhsa_user_sgpr_private_segment_buffer 1
		.amdhsa_user_sgpr_dispatch_ptr 0
		.amdhsa_user_sgpr_queue_ptr 0
		.amdhsa_user_sgpr_kernarg_segment_ptr 1
		.amdhsa_user_sgpr_dispatch_id 0
		.amdhsa_user_sgpr_flat_scratch_init 0
		.amdhsa_user_sgpr_kernarg_preload_length 0
		.amdhsa_user_sgpr_kernarg_preload_offset 0
		.amdhsa_user_sgpr_private_segment_size 0
		.amdhsa_uses_dynamic_stack 0
		.amdhsa_system_sgpr_private_segment_wavefront_offset 0
		.amdhsa_system_sgpr_workgroup_id_x 1
		.amdhsa_system_sgpr_workgroup_id_y 1
		.amdhsa_system_sgpr_workgroup_id_z 1
		.amdhsa_system_sgpr_workgroup_info 0
		.amdhsa_system_vgpr_workitem_id 1
		.amdhsa_next_free_vgpr 6
		.amdhsa_next_free_sgpr 9
		.amdhsa_accum_offset 8
		.amdhsa_reserve_vcc 1
		.amdhsa_reserve_flat_scratch 0
		.amdhsa_float_round_mode_32 0
		.amdhsa_float_round_mode_16_64 0
		.amdhsa_float_denorm_mode_32 3
		.amdhsa_float_denorm_mode_16_64 3
		.amdhsa_dx10_clamp 1
		.amdhsa_ieee_mode 1
		.amdhsa_fp16_overflow 0
		.amdhsa_tg_split 0
		.amdhsa_exception_fp_ieee_invalid_op 0
		.amdhsa_exception_fp_denorm_src 0
		.amdhsa_exception_fp_ieee_div_zero 0
		.amdhsa_exception_fp_ieee_overflow 0
		.amdhsa_exception_fp_ieee_underflow 0
		.amdhsa_exception_fp_ieee_inexact 0
		.amdhsa_exception_int_div_zero 0
	.end_amdhsa_kernel
	.section	.text._ZN9rocsolver6v33100L10init_identIdPdEEviiT0_iil,"axG",@progbits,_ZN9rocsolver6v33100L10init_identIdPdEEviiT0_iil,comdat
.Lfunc_end86:
	.size	_ZN9rocsolver6v33100L10init_identIdPdEEviiT0_iil, .Lfunc_end86-_ZN9rocsolver6v33100L10init_identIdPdEEviiT0_iil
                                        ; -- End function
	.section	.AMDGPU.csdata,"",@progbits
; Kernel info:
; codeLenInByte = 276
; NumSgprs: 13
; NumVgprs: 6
; NumAgprs: 0
; TotalNumVgprs: 6
; ScratchSize: 0
; MemoryBound: 0
; FloatMode: 240
; IeeeMode: 1
; LDSByteSize: 0 bytes/workgroup (compile time only)
; SGPRBlocks: 1
; VGPRBlocks: 0
; NumSGPRsForWavesPerEU: 13
; NumVGPRsForWavesPerEU: 6
; AccumOffset: 8
; Occupancy: 8
; WaveLimiterHint : 0
; COMPUTE_PGM_RSRC2:SCRATCH_EN: 0
; COMPUTE_PGM_RSRC2:USER_SGPR: 6
; COMPUTE_PGM_RSRC2:TRAP_HANDLER: 0
; COMPUTE_PGM_RSRC2:TGID_X_EN: 1
; COMPUTE_PGM_RSRC2:TGID_Y_EN: 1
; COMPUTE_PGM_RSRC2:TGID_Z_EN: 1
; COMPUTE_PGM_RSRC2:TIDIG_COMP_CNT: 1
; COMPUTE_PGM_RSRC3_GFX90A:ACCUM_OFFSET: 1
; COMPUTE_PGM_RSRC3_GFX90A:TG_SPLIT: 0
	.section	.text._ZN9rocsolver6v33100L19stedc_divide_kernelIdEEviiiPT_lS3_liPi,"axG",@progbits,_ZN9rocsolver6v33100L19stedc_divide_kernelIdEEviiiPT_lS3_liPi,comdat
	.globl	_ZN9rocsolver6v33100L19stedc_divide_kernelIdEEviiiPT_lS3_liPi ; -- Begin function _ZN9rocsolver6v33100L19stedc_divide_kernelIdEEviiiPT_lS3_liPi
	.p2align	8
	.type	_ZN9rocsolver6v33100L19stedc_divide_kernelIdEEviiiPT_lS3_liPi,@function
_ZN9rocsolver6v33100L19stedc_divide_kernelIdEEviiiPT_lS3_liPi: ; @_ZN9rocsolver6v33100L19stedc_divide_kernelIdEEviiiPT_lS3_liPi
; %bb.0:
	s_load_dword s0, s[4:5], 0x4c
	s_load_dword s1, s[4:5], 0x30
	s_waitcnt lgkmcnt(0)
	s_and_b32 s0, s0, 0xffff
	s_mul_i32 s6, s6, s0
	v_add_u32_e32 v4, s6, v0
	v_cmp_gt_i32_e32 vcc, s1, v4
	s_and_saveexec_b64 s[0:1], vcc
	s_cbranch_execz .LBB87_10
; %bb.1:
	s_load_dwordx4 s[8:11], s[4:5], 0x0
	s_load_dwordx2 s[2:3], s[4:5], 0x38
	s_waitcnt lgkmcnt(0)
	s_mul_i32 s0, s10, 13
	v_mul_lo_u32 v0, s0, v4
	v_ashrrev_i32_e32 v1, 31, v0
	v_lshlrev_b64 v[2:3], 2, v[0:1]
	v_mov_b32_e32 v5, s3
	v_add_co_u32_e32 v0, vcc, s2, v2
	v_addc_co_u32_e64 v1, s[0:1], v5, v3, vcc
	v_mov_b32_e32 v2, s10
	s_cmp_lt_i32 s8, 1
	global_store_dword v[0:1], v2, off
	s_cbranch_scc1 .LBB87_7
; %bb.2:
	v_mov_b32_e32 v2, s3
	v_addc_co_u32_e32 v2, vcc, v3, v2, vcc
	v_add_co_u32_e32 v5, vcc, -4, v0
	v_addc_co_u32_e32 v6, vcc, -1, v2, vcc
	s_mov_b32 s1, 0
	s_mov_b32 s2, 0
	s_branch .LBB87_4
.LBB87_3:                               ;   in Loop: Header=BB87_4 Depth=1
	s_add_i32 s2, s2, 1
	s_cmp_eq_u32 s2, s8
	s_cbranch_scc1 .LBB87_7
.LBB87_4:                               ; =>This Loop Header: Depth=1
                                        ;     Child Loop BB87_6 Depth 2
	s_cmp_eq_u32 s2, 31
	s_cbranch_scc1 .LBB87_3
; %bb.5:                                ;   in Loop: Header=BB87_4 Depth=1
	s_lshl_b32 s0, 1, s2
	s_lshl_b64 s[6:7], s[0:1], 2
	v_mov_b32_e32 v3, s7
	v_add_co_u32_e32 v2, vcc, s6, v5
	s_add_i32 s3, s0, 1
	v_addc_co_u32_e32 v3, vcc, v6, v3, vcc
	s_lshl_b32 s0, s0, 1
.LBB87_6:                               ;   Parent Loop BB87_4 Depth=1
                                        ; =>  This Inner Loop Header: Depth=2
	global_load_dword v7, v[2:3], off
	v_add_co_u32_e32 v2, vcc, -4, v2
	s_lshl_b64 s[6:7], s[0:1], 2
	v_addc_co_u32_e32 v3, vcc, -1, v3, vcc
	s_add_i32 s3, s3, -1
	s_add_i32 s0, s0, -2
	v_mov_b32_e32 v9, s7
	v_add_co_u32_e32 v8, vcc, s6, v0
	s_cmp_lt_i32 s3, 2
	v_addc_co_u32_e32 v9, vcc, v1, v9, vcc
	s_waitcnt vmcnt(0)
	v_lshrrev_b32_e32 v10, 31, v7
	v_and_b32_e32 v11, 1, v7
	v_add_u32_e32 v7, v7, v10
	v_ashrrev_i32_e32 v10, 1, v7
	v_add_u32_e32 v11, v10, v11
	global_store_dwordx2 v[8:9], v[10:11], off offset:-8
	s_cbranch_scc0 .LBB87_6
	s_branch .LBB87_3
.LBB87_7:
	s_ashr_i32 s11, s10, 31
	s_lshl_b64 s[0:1], s[10:11], 2
	v_mov_b32_e32 v2, s1
	v_add_co_u32_e32 v6, vcc, s0, v0
	v_addc_co_u32_e32 v7, vcc, v1, v2, vcc
	v_mov_b32_e32 v2, 0
	s_cmp_lt_i32 s9, 2
	global_store_dword v[6:7], v2, off
	s_cbranch_scc1 .LBB87_10
; %bb.8:
	s_load_dwordx8 s[12:19], s[4:5], 0x10
	v_ashrrev_i32_e32 v3, 31, v4
	s_waitcnt lgkmcnt(0)
	v_mul_lo_u32 v5, v4, s15
	v_mul_lo_u32 v8, v3, s14
	v_mad_u64_u32 v[6:7], s[2:3], v4, s14, 0
	v_add3_u32 v7, v7, v5, v8
	v_lshlrev_b64 v[6:7], 3, v[6:7]
	v_mov_b32_e32 v8, s13
	v_add_co_u32_e32 v5, vcc, s12, v6
	v_addc_co_u32_e32 v6, vcc, v8, v7, vcc
	v_mul_lo_u32 v7, v4, s19
	v_mul_lo_u32 v3, v3, s18
	v_mad_u64_u32 v[8:9], s[2:3], v4, s18, 0
	v_add3_u32 v9, v9, v7, v3
	v_lshlrev_b64 v[8:9], 3, v[8:9]
	v_mov_b32_e32 v3, s17
	v_add_co_u32_e32 v4, vcc, s16, v8
	s_add_i32 s2, s9, -1
	v_addc_co_u32_e32 v3, vcc, v3, v9, vcc
	s_add_u32 s0, s0, 4
	v_add_co_u32_e32 v4, vcc, -8, v4
	s_addc_u32 s1, s1, 0
	v_addc_co_u32_e32 v7, vcc, -1, v3, vcc
	v_mov_b32_e32 v8, s1
.LBB87_9:                               ; =>This Inner Loop Header: Depth=1
	global_load_dword v3, v[0:1], off
	s_add_i32 s2, s2, -1
	s_cmp_lg_u32 s2, 0
	s_waitcnt vmcnt(0)
	v_add_u32_e32 v2, v3, v2
	v_ashrrev_i32_e32 v3, 31, v2
	v_lshlrev_b64 v[10:11], 3, v[2:3]
	v_add_co_u32_e32 v14, vcc, v4, v10
	v_addc_co_u32_e32 v15, vcc, v7, v11, vcc
	v_add_co_u32_e32 v16, vcc, v5, v10
	v_addc_co_u32_e32 v17, vcc, v6, v11, vcc
	global_load_dwordx2 v[18:19], v[14:15], off
	global_load_dwordx4 v[10:13], v[16:17], off offset:-8
	v_add_co_u32_e32 v14, vcc, s0, v0
	v_addc_co_u32_e32 v15, vcc, v1, v8, vcc
	v_add_co_u32_e32 v0, vcc, 4, v0
	v_addc_co_u32_e32 v1, vcc, 0, v1, vcc
	global_store_dword v[14:15], v2, off
	s_waitcnt vmcnt(1)
	v_add_f64 v[12:13], v[12:13], -v[18:19]
	v_add_f64 v[10:11], v[10:11], -v[18:19]
	global_store_dwordx4 v[16:17], v[10:13], off offset:-8
	s_cbranch_scc1 .LBB87_9
.LBB87_10:
	s_endpgm
	.section	.rodata,"a",@progbits
	.p2align	6, 0x0
	.amdhsa_kernel _ZN9rocsolver6v33100L19stedc_divide_kernelIdEEviiiPT_lS3_liPi
		.amdhsa_group_segment_fixed_size 0
		.amdhsa_private_segment_fixed_size 0
		.amdhsa_kernarg_size 320
		.amdhsa_user_sgpr_count 6
		.amdhsa_user_sgpr_private_segment_buffer 1
		.amdhsa_user_sgpr_dispatch_ptr 0
		.amdhsa_user_sgpr_queue_ptr 0
		.amdhsa_user_sgpr_kernarg_segment_ptr 1
		.amdhsa_user_sgpr_dispatch_id 0
		.amdhsa_user_sgpr_flat_scratch_init 0
		.amdhsa_user_sgpr_kernarg_preload_length 0
		.amdhsa_user_sgpr_kernarg_preload_offset 0
		.amdhsa_user_sgpr_private_segment_size 0
		.amdhsa_uses_dynamic_stack 0
		.amdhsa_system_sgpr_private_segment_wavefront_offset 0
		.amdhsa_system_sgpr_workgroup_id_x 1
		.amdhsa_system_sgpr_workgroup_id_y 0
		.amdhsa_system_sgpr_workgroup_id_z 0
		.amdhsa_system_sgpr_workgroup_info 0
		.amdhsa_system_vgpr_workitem_id 0
		.amdhsa_next_free_vgpr 20
		.amdhsa_next_free_sgpr 20
		.amdhsa_accum_offset 20
		.amdhsa_reserve_vcc 1
		.amdhsa_reserve_flat_scratch 0
		.amdhsa_float_round_mode_32 0
		.amdhsa_float_round_mode_16_64 0
		.amdhsa_float_denorm_mode_32 3
		.amdhsa_float_denorm_mode_16_64 3
		.amdhsa_dx10_clamp 1
		.amdhsa_ieee_mode 1
		.amdhsa_fp16_overflow 0
		.amdhsa_tg_split 0
		.amdhsa_exception_fp_ieee_invalid_op 0
		.amdhsa_exception_fp_denorm_src 0
		.amdhsa_exception_fp_ieee_div_zero 0
		.amdhsa_exception_fp_ieee_overflow 0
		.amdhsa_exception_fp_ieee_underflow 0
		.amdhsa_exception_fp_ieee_inexact 0
		.amdhsa_exception_int_div_zero 0
	.end_amdhsa_kernel
	.section	.text._ZN9rocsolver6v33100L19stedc_divide_kernelIdEEviiiPT_lS3_liPi,"axG",@progbits,_ZN9rocsolver6v33100L19stedc_divide_kernelIdEEviiiPT_lS3_liPi,comdat
.Lfunc_end87:
	.size	_ZN9rocsolver6v33100L19stedc_divide_kernelIdEEviiiPT_lS3_liPi, .Lfunc_end87-_ZN9rocsolver6v33100L19stedc_divide_kernelIdEEviiiPT_lS3_liPi
                                        ; -- End function
	.section	.AMDGPU.csdata,"",@progbits
; Kernel info:
; codeLenInByte = 600
; NumSgprs: 24
; NumVgprs: 20
; NumAgprs: 0
; TotalNumVgprs: 20
; ScratchSize: 0
; MemoryBound: 0
; FloatMode: 240
; IeeeMode: 1
; LDSByteSize: 0 bytes/workgroup (compile time only)
; SGPRBlocks: 2
; VGPRBlocks: 2
; NumSGPRsForWavesPerEU: 24
; NumVGPRsForWavesPerEU: 20
; AccumOffset: 20
; Occupancy: 8
; WaveLimiterHint : 1
; COMPUTE_PGM_RSRC2:SCRATCH_EN: 0
; COMPUTE_PGM_RSRC2:USER_SGPR: 6
; COMPUTE_PGM_RSRC2:TRAP_HANDLER: 0
; COMPUTE_PGM_RSRC2:TGID_X_EN: 1
; COMPUTE_PGM_RSRC2:TGID_Y_EN: 0
; COMPUTE_PGM_RSRC2:TGID_Z_EN: 0
; COMPUTE_PGM_RSRC2:TIDIG_COMP_CNT: 0
; COMPUTE_PGM_RSRC3_GFX90A:ACCUM_OFFSET: 4
; COMPUTE_PGM_RSRC3_GFX90A:TG_SPLIT: 0
	.section	.text._ZN9rocsolver6v33100L18stedc_solve_kernelIdEEviiPT_lS3_lS3_iilPiS3_S4_S2_S2_S2_,"axG",@progbits,_ZN9rocsolver6v33100L18stedc_solve_kernelIdEEviiPT_lS3_lS3_iilPiS3_S4_S2_S2_S2_,comdat
	.globl	_ZN9rocsolver6v33100L18stedc_solve_kernelIdEEviiPT_lS3_lS3_iilPiS3_S4_S2_S2_S2_ ; -- Begin function _ZN9rocsolver6v33100L18stedc_solve_kernelIdEEviiPT_lS3_lS3_iilPiS3_S4_S2_S2_S2_
	.p2align	8
	.type	_ZN9rocsolver6v33100L18stedc_solve_kernelIdEEviiPT_lS3_lS3_iilPiS3_S4_S2_S2_S2_,@function
_ZN9rocsolver6v33100L18stedc_solve_kernelIdEEviiPT_lS3_lS3_iilPiS3_S4_S2_S2_S2_: ; @_ZN9rocsolver6v33100L18stedc_solve_kernelIdEEviiPT_lS3_lS3_iilPiS3_S4_S2_S2_S2_
; %bb.0:
	s_add_u32 flat_scratch_lo, s6, s10
	s_addc_u32 flat_scratch_hi, s7, 0
	s_add_u32 s0, s0, s10
	s_load_dword s10, s[4:5], 0x4
	s_load_dword s7, s[4:5], 0x7c
	s_load_dwordx4 s[28:31], s[4:5], 0x28
	s_load_dwordx8 s[20:27], s[4:5], 0x8
	s_load_dwordx8 s[12:19], s[4:5], 0x38
	s_mov_b32 s6, s9
	s_addc_u32 s1, s1, 0
	s_waitcnt lgkmcnt(0)
	s_and_b32 s33, s7, 0xffff
	s_ashr_i32 s7, s9, 31
	s_mul_i32 s9, s9, s13
	s_mul_hi_u32 s13, s6, s12
	s_add_i32 s9, s13, s9
	s_mul_i32 s13, s7, s12
	s_add_i32 s13, s9, s13
	s_mul_i32 s12, s6, s12
	s_ashr_i32 s11, s10, 31
	s_ashr_i32 s35, s30, 31
	s_lshl_b64 s[12:13], s[12:13], 3
	s_mov_b32 s34, s30
	s_add_u32 s9, s28, s12
	s_addc_u32 s28, s29, s13
	s_lshl_b64 s[12:13], s[34:35], 3
	s_add_u32 s29, s9, s12
	s_mul_i32 s9, s6, s23
	s_mul_hi_u32 s12, s6, s22
	s_addc_u32 s28, s28, s13
	s_add_i32 s9, s12, s9
	s_mul_i32 s12, s7, s22
	s_add_i32 s13, s9, s12
	s_mul_i32 s12, s6, s22
	s_lshl_b64 s[12:13], s[12:13], 3
	s_add_u32 s20, s20, s12
	s_mul_i32 s9, s6, s27
	s_mul_hi_u32 s12, s6, s26
	s_addc_u32 s21, s21, s13
	s_add_i32 s9, s12, s9
	s_mul_i32 s12, s7, s26
	s_add_i32 s13, s9, s12
	s_mul_i32 s12, s6, s26
	s_lshl_b64 s[12:13], s[12:13], 3
	s_add_u32 s22, s24, s12
	s_addc_u32 s23, s25, s13
	s_lshl_b64 s[12:13], s[6:7], 2
	s_mul_i32 s9, s6, s10
	s_add_u32 s14, s14, s12
	s_mul_i32 s6, s9, 13
	s_addc_u32 s24, s15, s13
	s_ashr_i32 s7, s6, 31
	s_lshl_b64 s[6:7], s[6:7], 2
	s_add_u32 s12, s18, s6
	s_addc_u32 s13, s19, s7
	s_lshl_b64 s[6:7], s[10:11], 2
	s_lshl_b32 s10, s9, 1
	s_ashr_i32 s11, s10, 31
	s_lshl_b64 s[10:11], s[10:11], 3
	s_add_u32 s15, s16, s10
	s_addc_u32 s25, s17, s11
	s_ashr_i32 s9, s8, 31
	s_lshl_b64 s[8:9], s[8:9], 2
	s_add_u32 s8, s12, s8
	s_addc_u32 s9, s13, s9
	s_add_u32 s6, s8, s6
	s_addc_u32 s7, s9, s7
	s_load_dword s10, s[6:7], 0x0
	s_load_dword s26, s[8:9], 0x0
	s_load_dwordx2 s[12:13], s[4:5], 0x68
	s_load_dwordx4 s[16:19], s[4:5], 0x58
	v_mov_b32_e32 v1, s33
	s_waitcnt lgkmcnt(0)
	s_ashr_i32 s11, s10, 31
	s_lshl_b64 s[6:7], s[10:11], 3
	s_add_u32 s11, s20, s6
	s_addc_u32 s20, s21, s7
	s_add_u32 s21, s22, s6
	s_addc_u32 s22, s23, s7
	s_add_u32 s8, s29, s6
	s_mul_i32 s6, s10, s31
	s_addc_u32 s9, s28, s7
	s_ashr_i32 s7, s6, 31
	s_lshl_b64 s[6:7], s[6:7], 3
	s_add_u32 s23, s8, s6
	s_addc_u32 s27, s9, s7
	s_lshl_b32 s6, s10, 1
	s_ashr_i32 s7, s6, 31
	s_lshl_b64 s[6:7], s[6:7], 3
	s_add_u32 s6, s15, s6
	s_addc_u32 s7, s25, s7
	s_mul_i32 s10, s26, 30
	s_add_u32 s8, s4, 0x70
	s_addc_u32 s9, s5, 0
	s_mov_b32 s15, 1
	v_mov_b32_e32 v2, s26
	v_mov_b32_e32 v3, s11
	;; [unrolled: 1-line block ×20, first 2 shown]
	s_mov_b32 s32, 0
	s_getpc_b64 s[4:5]
	s_add_u32 s4, s4, _ZN9rocsolver6v331009run_steqrIddEEviiiPT0_S3_PT_iPiS3_iS2_S2_S2_b@rel32@lo+4
	s_addc_u32 s5, s5, _ZN9rocsolver6v331009run_steqrIddEEviiiPT0_S3_PT_iPiS3_iS2_S2_S2_b@rel32@hi+12
	s_swappc_b64 s[30:31], s[4:5]
	s_endpgm
	.section	.rodata,"a",@progbits
	.p2align	6, 0x0
	.amdhsa_kernel _ZN9rocsolver6v33100L18stedc_solve_kernelIdEEviiPT_lS3_lS3_iilPiS3_S4_S2_S2_S2_
		.amdhsa_group_segment_fixed_size 48
		.amdhsa_private_segment_fixed_size 128
		.amdhsa_kernarg_size 368
		.amdhsa_user_sgpr_count 8
		.amdhsa_user_sgpr_private_segment_buffer 1
		.amdhsa_user_sgpr_dispatch_ptr 0
		.amdhsa_user_sgpr_queue_ptr 0
		.amdhsa_user_sgpr_kernarg_segment_ptr 1
		.amdhsa_user_sgpr_dispatch_id 0
		.amdhsa_user_sgpr_flat_scratch_init 1
		.amdhsa_user_sgpr_kernarg_preload_length 0
		.amdhsa_user_sgpr_kernarg_preload_offset 0
		.amdhsa_user_sgpr_private_segment_size 0
		.amdhsa_uses_dynamic_stack 0
		.amdhsa_system_sgpr_private_segment_wavefront_offset 1
		.amdhsa_system_sgpr_workgroup_id_x 1
		.amdhsa_system_sgpr_workgroup_id_y 1
		.amdhsa_system_sgpr_workgroup_id_z 0
		.amdhsa_system_sgpr_workgroup_info 0
		.amdhsa_system_vgpr_workitem_id 0
		.amdhsa_next_free_vgpr 110
		.amdhsa_next_free_sgpr 51
		.amdhsa_accum_offset 64
		.amdhsa_reserve_vcc 1
		.amdhsa_reserve_flat_scratch 1
		.amdhsa_float_round_mode_32 0
		.amdhsa_float_round_mode_16_64 0
		.amdhsa_float_denorm_mode_32 3
		.amdhsa_float_denorm_mode_16_64 3
		.amdhsa_dx10_clamp 1
		.amdhsa_ieee_mode 1
		.amdhsa_fp16_overflow 0
		.amdhsa_tg_split 0
		.amdhsa_exception_fp_ieee_invalid_op 0
		.amdhsa_exception_fp_denorm_src 0
		.amdhsa_exception_fp_ieee_div_zero 0
		.amdhsa_exception_fp_ieee_overflow 0
		.amdhsa_exception_fp_ieee_underflow 0
		.amdhsa_exception_fp_ieee_inexact 0
		.amdhsa_exception_int_div_zero 0
	.end_amdhsa_kernel
	.section	.text._ZN9rocsolver6v33100L18stedc_solve_kernelIdEEviiPT_lS3_lS3_iilPiS3_S4_S2_S2_S2_,"axG",@progbits,_ZN9rocsolver6v33100L18stedc_solve_kernelIdEEviiPT_lS3_lS3_iilPiS3_S4_S2_S2_S2_,comdat
.Lfunc_end88:
	.size	_ZN9rocsolver6v33100L18stedc_solve_kernelIdEEviiPT_lS3_lS3_iilPiS3_S4_S2_S2_S2_, .Lfunc_end88-_ZN9rocsolver6v33100L18stedc_solve_kernelIdEEviiPT_lS3_lS3_iilPiS3_S4_S2_S2_S2_
                                        ; -- End function
	.section	.AMDGPU.csdata,"",@progbits
; Kernel info:
; codeLenInByte = 536
; NumSgprs: 57
; NumVgprs: 64
; NumAgprs: 46
; TotalNumVgprs: 110
; ScratchSize: 128
; MemoryBound: 0
; FloatMode: 240
; IeeeMode: 1
; LDSByteSize: 48 bytes/workgroup (compile time only)
; SGPRBlocks: 7
; VGPRBlocks: 13
; NumSGPRsForWavesPerEU: 57
; NumVGPRsForWavesPerEU: 110
; AccumOffset: 64
; Occupancy: 4
; WaveLimiterHint : 0
; COMPUTE_PGM_RSRC2:SCRATCH_EN: 1
; COMPUTE_PGM_RSRC2:USER_SGPR: 8
; COMPUTE_PGM_RSRC2:TRAP_HANDLER: 0
; COMPUTE_PGM_RSRC2:TGID_X_EN: 1
; COMPUTE_PGM_RSRC2:TGID_Y_EN: 1
; COMPUTE_PGM_RSRC2:TGID_Z_EN: 0
; COMPUTE_PGM_RSRC2:TIDIG_COMP_CNT: 0
; COMPUTE_PGM_RSRC3_GFX90A:ACCUM_OFFSET: 15
; COMPUTE_PGM_RSRC3_GFX90A:TG_SPLIT: 0
	.section	.text._ZN9rocsolver6v33100L37stedc_mergePrepare_DeflateZero_kernelIdEEviiPT_lS3_lS3_iilS3_PiS2_,"axG",@progbits,_ZN9rocsolver6v33100L37stedc_mergePrepare_DeflateZero_kernelIdEEviiPT_lS3_lS3_iilS3_PiS2_,comdat
	.globl	_ZN9rocsolver6v33100L37stedc_mergePrepare_DeflateZero_kernelIdEEviiPT_lS3_lS3_iilS3_PiS2_ ; -- Begin function _ZN9rocsolver6v33100L37stedc_mergePrepare_DeflateZero_kernelIdEEviiPT_lS3_lS3_iilS3_PiS2_
	.p2align	8
	.type	_ZN9rocsolver6v33100L37stedc_mergePrepare_DeflateZero_kernelIdEEviiPT_lS3_lS3_iilS3_PiS2_,@function
_ZN9rocsolver6v33100L37stedc_mergePrepare_DeflateZero_kernelIdEEviiPT_lS3_lS3_iilS3_PiS2_: ; @_ZN9rocsolver6v33100L37stedc_mergePrepare_DeflateZero_kernelIdEEviiPT_lS3_lS3_iilS3_PiS2_
; %bb.0:
	s_load_dword s24, s[4:5], 0x4
	s_load_dwordx8 s[16:23], s[4:5], 0x8
	s_load_dwordx8 s[8:15], s[4:5], 0x38
	s_ashr_i32 s37, s7, 31
	s_waitcnt lgkmcnt(0)
	s_ashr_i32 s25, s24, 31
	s_mul_i32 s0, s7, s23
	s_mul_hi_u32 s1, s7, s22
	s_add_i32 s0, s1, s0
	s_mul_i32 s1, s37, s22
	s_add_i32 s1, s0, s1
	s_mul_i32 s0, s7, s22
	s_lshl_b64 s[0:1], s[0:1], 3
	s_mul_i32 s2, s7, s24
	s_add_u32 s20, s20, s0
	s_mul_i32 s0, s2, 13
	s_addc_u32 s21, s21, s1
	s_ashr_i32 s1, s0, 31
	s_lshl_b64 s[0:1], s[0:1], 2
	s_add_u32 s3, s12, s0
	s_addc_u32 s12, s13, s1
	s_lshl_b32 s0, s24, 3
	s_ashr_i32 s1, s0, 31
	s_lshl_b64 s[0:1], s[0:1], 2
	s_add_u32 s30, s3, s0
	s_addc_u32 s33, s12, s1
	s_mul_i32 s1, s24, 0xffffffe8
	s_mul_hi_i32 s0, s24, 0xffffffe8
	s_add_u32 s12, s30, s1
	s_mul_i32 s2, s2, 10
	s_addc_u32 s13, s33, s0
	s_ashr_i32 s3, s2, 31
	s_lshl_b64 s[0:1], s[24:25], 2
	s_lshl_b64 s[2:3], s[2:3], 3
	s_add_u32 s31, s10, s2
	s_mul_i32 s2, s24, 9
	s_addc_u32 s34, s11, s3
	s_ashr_i32 s3, s2, 31
	s_lshl_b64 s[2:3], s[2:3], 3
	s_add_u32 s35, s31, s2
	s_addc_u32 s36, s34, s3
	s_lshl_b32 s2, s6, 1
	s_ashr_i32 s3, s2, 31
	s_lshl_b64 s[2:3], s[2:3], 2
	s_add_u32 s2, s12, s2
	s_addc_u32 s3, s13, s3
	s_add_u32 s0, s2, s0
	s_addc_u32 s1, s3, s1
	s_load_dwordx2 s[10:11], s[0:1], 0x0
	s_waitcnt lgkmcnt(0)
	s_ashr_i32 s13, s11, 31
	s_mov_b32 s12, s11
	s_lshl_b64 s[0:1], s[12:13], 3
	s_add_u32 s0, s20, s0
	s_addc_u32 s1, s21, s1
	s_add_u32 s0, s0, -8
	s_addc_u32 s1, s1, -1
	s_load_dwordx2 s[22:23], s[0:1], 0x0
	s_load_dwordx2 s[20:21], s[2:3], 0x0
	;; [unrolled: 1-line block ×3, first 2 shown]
	s_waitcnt lgkmcnt(0)
	v_add_f64 v[2:3], s[22:23], s[22:23]
	s_add_i32 s11, s21, s20
	v_cmp_le_i32_e64 s[2:3], s11, v0
	v_cmp_gt_i32_e64 s[0:1], s11, v0
	s_and_saveexec_b64 s[22:23], s[0:1]
	s_cbranch_execz .LBB89_3
; %bb.1:
	s_load_dword s6, s[4:5], 0x64
	s_mov_b64 s[28:29], 0
	v_mov_b32_e32 v1, s36
	v_mov_b32_e32 v4, v0
	s_waitcnt lgkmcnt(0)
	s_and_b32 s6, s6, 0xffff
.LBB89_2:                               ; =>This Inner Loop Header: Depth=1
	v_add_u32_e32 v6, s10, v4
	v_add_u32_e32 v4, s6, v4
	v_ashrrev_i32_e32 v7, 31, v6
	v_cmp_le_i32_e32 vcc, s11, v4
	v_lshlrev_b64 v[6:7], 3, v[6:7]
	s_or_b64 s[28:29], vcc, s[28:29]
	v_add_co_u32_e32 v6, vcc, s35, v6
	v_addc_co_u32_e32 v7, vcc, v1, v7, vcc
	global_store_dwordx2 v[6:7], v[2:3], off
	s_andn2_b64 exec, exec, s[28:29]
	s_cbranch_execnz .LBB89_2
.LBB89_3:
	s_or_b64 exec, exec, s[22:23]
	s_load_dwordx2 s[22:23], s[4:5], 0x30
	s_mul_i32 s6, s7, s9
	s_mul_hi_u32 s9, s7, s8
	s_add_i32 s6, s9, s6
	s_mul_i32 s9, s37, s8
	s_add_i32 s9, s6, s9
	s_mul_i32 s8, s7, s8
	s_waitcnt lgkmcnt(0)
	s_ashr_i32 s29, s22, 31
	s_lshl_b64 s[8:9], s[8:9], 3
	s_mov_b32 s28, s22
	s_add_u32 s6, s26, s8
	s_addc_u32 s22, s27, s9
	s_lshl_b64 s[8:9], s[28:29], 3
	s_add_u32 s6, s6, s8
	s_addc_u32 s38, s22, s9
	v_cmp_gt_i32_e32 vcc, s20, v0
	v_pk_mov_b32 v[4:5], 0, 0
	s_and_saveexec_b64 s[8:9], vcc
	s_cbranch_execz .LBB89_7
; %bb.4:
	s_load_dword s22, s[4:5], 0x64
	v_add_u32_e32 v1, s10, v0
	s_mov_b64 s[26:27], 0
	v_mul_lo_u32 v1, s23, v1
	v_pk_mov_b32 v[4:5], 0, 0
	s_waitcnt lgkmcnt(0)
	s_and_b32 s22, s22, 0xffff
	s_add_u32 s39, s6, -8
	s_addc_u32 s28, s38, -1
	v_mov_b32_e32 v7, s28
	s_mov_b32 s28, 0x667f3bcd
	s_mul_i32 s40, s23, s22
	v_mov_b32_e32 v6, s13
	s_mov_b32 s29, 0x3ff6a09e
	v_mov_b32_e32 v8, s34
	v_mov_b32_e32 v9, v0
.LBB89_5:                               ; =>This Inner Loop Header: Depth=1
	v_ashrrev_i32_e32 v11, 31, v1
	v_add_co_u32_e32 v10, vcc, s12, v1
	v_addc_co_u32_e32 v11, vcc, v11, v6, vcc
	v_lshlrev_b64 v[10:11], 3, v[10:11]
	v_add_co_u32_e32 v10, vcc, s39, v10
	v_addc_co_u32_e32 v11, vcc, v7, v11, vcc
	global_load_dwordx2 v[10:11], v[10:11], off
	v_add_u32_e32 v12, s10, v9
	v_add_u32_e32 v9, s22, v9
	v_ashrrev_i32_e32 v13, 31, v12
	v_cmp_le_i32_e32 vcc, s20, v9
	v_lshlrev_b64 v[12:13], 3, v[12:13]
	s_or_b64 s[26:27], vcc, s[26:27]
	v_add_co_u32_e32 v12, vcc, s31, v12
	v_addc_co_u32_e32 v13, vcc, v8, v13, vcc
	v_add_u32_e32 v1, s40, v1
	s_waitcnt vmcnt(0)
	v_div_scale_f64 v[14:15], s[42:43], s[28:29], s[28:29], v[10:11]
	v_rcp_f64_e32 v[18:19], v[14:15]
	v_div_scale_f64 v[16:17], vcc, v[10:11], s[28:29], v[10:11]
	v_fma_f64 v[20:21], -v[14:15], v[18:19], 1.0
	v_fmac_f64_e32 v[18:19], v[18:19], v[20:21]
	v_fma_f64 v[20:21], -v[14:15], v[18:19], 1.0
	v_fmac_f64_e32 v[18:19], v[18:19], v[20:21]
	v_mul_f64 v[20:21], v[16:17], v[18:19]
	v_fma_f64 v[14:15], -v[14:15], v[20:21], v[16:17]
	v_div_fmas_f64 v[14:15], v[14:15], v[18:19], v[20:21]
	v_div_fixup_f64 v[10:11], v[14:15], s[28:29], v[10:11]
	global_store_dwordx2 v[12:13], v[10:11], off
	v_and_b32_e32 v12, 0x7fffffff, v11
	v_cmp_lt_f64_e64 vcc, v[4:5], |v[10:11]|
	v_cndmask_b32_e32 v5, v5, v12, vcc
	v_cndmask_b32_e32 v4, v4, v10, vcc
	s_andn2_b64 exec, exec, s[26:27]
	s_cbranch_execnz .LBB89_5
; %bb.6:
	s_or_b64 exec, exec, s[26:27]
.LBB89_7:
	s_or_b64 exec, exec, s[8:9]
	v_cmp_le_i32_e32 vcc, s21, v0
                                        ; implicit-def: $sgpr26_sgpr27
	s_and_saveexec_b64 s[8:9], vcc
	s_xor_b64 s[8:9], exec, s[8:9]
	s_cbranch_execz .LBB89_11
; %bb.8:
	s_add_u32 s26, s4, 0x58
	s_addc_u32 s27, s5, 0
	s_or_saveexec_b64 s[8:9], s[8:9]
	v_pk_mov_b32 v[8:9], s[26:27], s[26:27] op_sel:[0,1]
	s_xor_b64 exec, exec, s[8:9]
	s_cbranch_execnz .LBB89_12
.LBB89_9:
	s_or_b64 exec, exec, s[8:9]
                                        ; implicit-def: $sgpr4_sgpr5
                                        ; implicit-def: $vgpr10
                                        ; implicit-def: $vgpr1
	s_and_saveexec_b64 s[8:9], s[2:3]
	s_xor_b64 s[2:3], exec, s[8:9]
	s_cbranch_execz .LBB89_15
.LBB89_10:
	global_load_ushort v10, v[8:9], off offset:12
	s_mov_b64 s[4:5], 0
                                        ; implicit-def: $vgpr8_vgpr9
	s_waitcnt vmcnt(0)
	v_and_b32_e32 v1, 0xffff, v10
	s_or_saveexec_b64 s[2:3], s[2:3]
	v_pk_mov_b32 v[6:7], s[4:5], s[4:5] op_sel:[0,1]
	s_xor_b64 exec, exec, s[2:3]
	s_cbranch_execz .LBB89_19
	s_branch .LBB89_16
.LBB89_11:
	s_or_saveexec_b64 s[8:9], s[8:9]
	v_pk_mov_b32 v[8:9], s[26:27], s[26:27] op_sel:[0,1]
	s_xor_b64 exec, exec, s[8:9]
	s_cbranch_execz .LBB89_9
.LBB89_12:
	s_load_dword s13, s[4:5], 0x64
	s_add_u32 s4, s4, 0x58
	v_add_u32_e32 v1, s12, v0
	s_addc_u32 s5, s5, 0
	s_mov_b32 s26, 0x667f3bcd
	s_waitcnt lgkmcnt(0)
	s_and_b32 s13, s13, 0xffff
	v_mul_lo_u32 v1, s23, v1
	s_mul_i32 s20, s23, s13
	s_mov_b64 s[22:23], 0
	v_mov_b32_e32 v6, s38
	s_mov_b32 s27, 0x3ff6a09e
	v_mov_b32_e32 v7, s34
	v_mov_b32_e32 v8, v0
.LBB89_13:                              ; =>This Inner Loop Header: Depth=1
	v_add_u32_e32 v10, s12, v1
	v_ashrrev_i32_e32 v11, 31, v10
	v_lshlrev_b64 v[10:11], 3, v[10:11]
	v_add_co_u32_e32 v10, vcc, s6, v10
	v_addc_co_u32_e32 v11, vcc, v6, v11, vcc
	global_load_dwordx2 v[10:11], v[10:11], off
	v_add_u32_e32 v12, s12, v8
	v_add_u32_e32 v8, s13, v8
	v_ashrrev_i32_e32 v13, 31, v12
	v_cmp_le_i32_e32 vcc, s21, v8
	v_lshlrev_b64 v[12:13], 3, v[12:13]
	s_or_b64 s[22:23], vcc, s[22:23]
	v_add_co_u32_e32 v12, vcc, s31, v12
	v_addc_co_u32_e32 v13, vcc, v7, v13, vcc
	v_add_u32_e32 v1, s20, v1
	s_waitcnt vmcnt(0)
	v_div_scale_f64 v[14:15], s[28:29], s[26:27], s[26:27], v[10:11]
	v_rcp_f64_e32 v[18:19], v[14:15]
	v_div_scale_f64 v[16:17], vcc, v[10:11], s[26:27], v[10:11]
	v_fma_f64 v[20:21], -v[14:15], v[18:19], 1.0
	v_fmac_f64_e32 v[18:19], v[18:19], v[20:21]
	v_fma_f64 v[20:21], -v[14:15], v[18:19], 1.0
	v_fmac_f64_e32 v[18:19], v[18:19], v[20:21]
	v_mul_f64 v[20:21], v[16:17], v[18:19]
	v_fma_f64 v[14:15], -v[14:15], v[20:21], v[16:17]
	v_div_fmas_f64 v[14:15], v[14:15], v[18:19], v[20:21]
	v_div_fixup_f64 v[10:11], v[14:15], s[26:27], v[10:11]
	v_and_b32_e32 v9, 0x7fffffff, v11
	v_cmp_lt_f64_e64 vcc, v[4:5], |v[10:11]|
	v_cndmask_b32_e32 v5, v5, v9, vcc
	v_cndmask_b32_e32 v4, v4, v10, vcc
	global_store_dwordx2 v[12:13], v[10:11], off
	s_andn2_b64 exec, exec, s[22:23]
	s_cbranch_execnz .LBB89_13
; %bb.14:
	s_or_b64 exec, exec, s[22:23]
	v_pk_mov_b32 v[8:9], s[4:5], s[4:5] op_sel:[0,1]
	s_or_b64 exec, exec, s[8:9]
                                        ; implicit-def: $sgpr4_sgpr5
                                        ; implicit-def: $vgpr10
                                        ; implicit-def: $vgpr1
	s_and_saveexec_b64 s[8:9], s[2:3]
	s_xor_b64 s[2:3], exec, s[8:9]
	s_cbranch_execnz .LBB89_10
.LBB89_15:
	s_or_saveexec_b64 s[2:3], s[2:3]
	v_pk_mov_b32 v[6:7], s[4:5], s[4:5] op_sel:[0,1]
	s_xor_b64 exec, exec, s[2:3]
	s_cbranch_execz .LBB89_19
.LBB89_16:
	global_load_ushort v10, v[8:9], off offset:12
	s_mul_i32 s8, s7, s19
	s_mul_hi_u32 s9, s7, s18
	s_mul_i32 s12, s37, s18
	s_mul_i32 s6, s7, s18
	s_add_i32 s7, s9, s8
	s_add_i32 s7, s7, s12
	s_lshl_b64 s[6:7], s[6:7], 3
	s_add_u32 s6, s16, s6
	s_addc_u32 s7, s17, s7
	s_mov_b64 s[4:5], 0
	v_pk_mov_b32 v[6:7], 0, 0
	v_mov_b32_e32 v8, s7
	v_mov_b32_e32 v9, v0
	s_waitcnt vmcnt(0)
	v_and_b32_e32 v1, 0xffff, v10
.LBB89_17:                              ; =>This Inner Loop Header: Depth=1
	v_add_u32_e32 v12, s10, v9
	v_ashrrev_i32_e32 v13, 31, v12
	v_lshlrev_b64 v[12:13], 3, v[12:13]
	v_add_co_u32_e32 v12, vcc, s6, v12
	v_addc_co_u32_e32 v13, vcc, v8, v13, vcc
	global_load_dwordx2 v[12:13], v[12:13], off
	v_add_u32_e32 v9, v9, v1
	v_cmp_le_i32_e32 vcc, s11, v9
	s_or_b64 s[4:5], vcc, s[4:5]
	s_waitcnt vmcnt(0)
	v_and_b32_e32 v11, 0x7fffffff, v13
	v_cmp_lt_f64_e64 vcc, v[6:7], |v[12:13]|
	v_cndmask_b32_e32 v7, v7, v11, vcc
	v_cndmask_b32_e32 v6, v6, v12, vcc
	s_andn2_b64 exec, exec, s[4:5]
	s_cbranch_execnz .LBB89_17
; %bb.18:
	s_or_b64 exec, exec, s[4:5]
.LBB89_19:
	s_or_b64 exec, exec, s[2:3]
	v_lshlrev_b32_e32 v8, 3, v0
	v_cmp_lt_u16_e32 vcc, 1, v10
	ds_write2st64_b64 v8, v[6:7], v[4:5] offset1:8
	s_waitcnt lgkmcnt(0)
	s_barrier
	s_and_saveexec_b64 s[2:3], vcc
	s_cbranch_execz .LBB89_24
; %bb.20:
	v_or_b32_e32 v9, 0x1000, v8
	s_mov_b64 s[4:5], 0
	v_mov_b32_e32 v10, v1
	s_branch .LBB89_22
.LBB89_21:                              ;   in Loop: Header=BB89_22 Depth=1
	s_or_b64 exec, exec, s[6:7]
	v_cmp_gt_u32_e32 vcc, 4, v10
	s_or_b64 s[4:5], vcc, s[4:5]
	v_mov_b32_e32 v10, v11
	s_waitcnt lgkmcnt(0)
	s_barrier
	s_andn2_b64 exec, exec, s[4:5]
	s_cbranch_execz .LBB89_24
.LBB89_22:                              ; =>This Inner Loop Header: Depth=1
	v_lshrrev_b32_e32 v11, 1, v10
	v_cmp_lt_u32_e32 vcc, v0, v11
	s_and_saveexec_b64 s[6:7], vcc
	s_cbranch_execz .LBB89_21
; %bb.23:                               ;   in Loop: Header=BB89_22 Depth=1
	v_lshlrev_b32_e32 v14, 3, v11
	v_add_u32_e32 v12, v8, v14
	ds_read_b64 v[12:13], v12
	v_add_u32_e32 v14, v9, v14
	ds_read_b64 v[14:15], v14
	s_waitcnt lgkmcnt(1)
	v_cmp_lt_f64_e32 vcc, v[6:7], v[12:13]
	v_cndmask_b32_e32 v7, v7, v13, vcc
	v_cndmask_b32_e32 v6, v6, v12, vcc
	s_waitcnt lgkmcnt(0)
	v_cmp_lt_f64_e32 vcc, v[4:5], v[14:15]
	v_cndmask_b32_e32 v5, v5, v15, vcc
	v_cndmask_b32_e32 v4, v4, v14, vcc
	ds_write_b64 v8, v[6:7]
	ds_write_b64 v9, v[4:5]
	s_branch .LBB89_21
.LBB89_24:
	s_or_b64 exec, exec, s[2:3]
	s_and_saveexec_b64 s[2:3], s[0:1]
	s_cbranch_execz .LBB89_29
; %bb.25:
	v_mov_b32_e32 v4, 0
	ds_read2st64_b64 v[4:7], v4 offset1:8
	s_mul_i32 s1, s24, 0xffffffd8
	s_mul_hi_i32 s0, s24, 0xffffffd8
	s_add_u32 s2, s35, s1
	s_addc_u32 s4, s36, s0
	s_lshl_b64 s[0:1], s[24:25], 3
	s_waitcnt lgkmcnt(0)
	v_cmp_lt_f64_e32 vcc, v[4:5], v[6:7]
	s_add_u32 s3, s2, s0
	v_ldexp_f64 v[8:9], s[14:15], 3
	v_cndmask_b32_e32 v5, v5, v7, vcc
	v_cndmask_b32_e32 v4, v4, v6, vcc
	s_addc_u32 s5, s4, s1
	v_mul_f64 v[4:5], v[8:9], v[4:5]
	s_mov_b64 s[0:1], 0
	v_mov_b32_e32 v6, s4
	v_mov_b32_e32 v7, s5
	;; [unrolled: 1-line block ×3, first 2 shown]
.LBB89_26:                              ; =>This Inner Loop Header: Depth=1
	v_add_u32_e32 v10, s10, v8
	v_add_u32_e32 v8, v8, v1
	v_ashrrev_i32_e32 v11, 31, v10
	v_cmp_le_i32_e32 vcc, s11, v8
	v_lshlrev_b64 v[10:11], 3, v[10:11]
	s_or_b64 s[0:1], vcc, s[0:1]
	v_add_co_u32_e32 v12, vcc, s2, v10
	v_addc_co_u32_e32 v13, vcc, v6, v11, vcc
	v_add_co_u32_e32 v10, vcc, s3, v10
	v_addc_co_u32_e32 v11, vcc, v7, v11, vcc
	global_store_dwordx2 v[12:13], v[4:5], off
	global_store_dwordx2 v[10:11], v[4:5], off
	s_andn2_b64 exec, exec, s[0:1]
	s_cbranch_execnz .LBB89_26
; %bb.27:
	s_or_b64 exec, exec, s[0:1]
	s_mov_b64 s[0:1], 0
	v_mov_b32_e32 v6, s34
	v_mov_b32_e32 v7, s33
.LBB89_28:                              ; =>This Inner Loop Header: Depth=1
	v_add_u32_e32 v8, s10, v0
	v_ashrrev_i32_e32 v9, 31, v8
	v_lshlrev_b64 v[10:11], 3, v[8:9]
	v_add_co_u32_e32 v10, vcc, s31, v10
	v_addc_co_u32_e32 v11, vcc, v6, v11, vcc
	global_load_dwordx2 v[10:11], v[10:11], off
	v_add_u32_e32 v0, v0, v1
	v_cmp_le_i32_e32 vcc, s11, v0
	v_lshlrev_b64 v[8:9], 2, v[8:9]
	s_or_b64 s[0:1], vcc, s[0:1]
	v_add_co_u32_e32 v8, vcc, s30, v8
	v_addc_co_u32_e32 v9, vcc, v7, v9, vcc
	s_waitcnt vmcnt(0)
	v_mul_f64 v[10:11], v[2:3], v[10:11]
	v_cmp_nle_f64_e64 s[2:3], |v[10:11]|, v[4:5]
	v_cndmask_b32_e64 v10, 0, 1, s[2:3]
	global_store_dword v[8:9], v10, off
	s_andn2_b64 exec, exec, s[0:1]
	s_cbranch_execnz .LBB89_28
.LBB89_29:
	s_endpgm
	.section	.rodata,"a",@progbits
	.p2align	6, 0x0
	.amdhsa_kernel _ZN9rocsolver6v33100L37stedc_mergePrepare_DeflateZero_kernelIdEEviiPT_lS3_lS3_iilS3_PiS2_
		.amdhsa_group_segment_fixed_size 8192
		.amdhsa_private_segment_fixed_size 0
		.amdhsa_kernarg_size 344
		.amdhsa_user_sgpr_count 6
		.amdhsa_user_sgpr_private_segment_buffer 1
		.amdhsa_user_sgpr_dispatch_ptr 0
		.amdhsa_user_sgpr_queue_ptr 0
		.amdhsa_user_sgpr_kernarg_segment_ptr 1
		.amdhsa_user_sgpr_dispatch_id 0
		.amdhsa_user_sgpr_flat_scratch_init 0
		.amdhsa_user_sgpr_kernarg_preload_length 0
		.amdhsa_user_sgpr_kernarg_preload_offset 0
		.amdhsa_user_sgpr_private_segment_size 0
		.amdhsa_uses_dynamic_stack 0
		.amdhsa_system_sgpr_private_segment_wavefront_offset 0
		.amdhsa_system_sgpr_workgroup_id_x 1
		.amdhsa_system_sgpr_workgroup_id_y 1
		.amdhsa_system_sgpr_workgroup_id_z 0
		.amdhsa_system_sgpr_workgroup_info 0
		.amdhsa_system_vgpr_workitem_id 0
		.amdhsa_next_free_vgpr 22
		.amdhsa_next_free_sgpr 44
		.amdhsa_accum_offset 24
		.amdhsa_reserve_vcc 1
		.amdhsa_reserve_flat_scratch 0
		.amdhsa_float_round_mode_32 0
		.amdhsa_float_round_mode_16_64 0
		.amdhsa_float_denorm_mode_32 3
		.amdhsa_float_denorm_mode_16_64 3
		.amdhsa_dx10_clamp 1
		.amdhsa_ieee_mode 1
		.amdhsa_fp16_overflow 0
		.amdhsa_tg_split 0
		.amdhsa_exception_fp_ieee_invalid_op 0
		.amdhsa_exception_fp_denorm_src 0
		.amdhsa_exception_fp_ieee_div_zero 0
		.amdhsa_exception_fp_ieee_overflow 0
		.amdhsa_exception_fp_ieee_underflow 0
		.amdhsa_exception_fp_ieee_inexact 0
		.amdhsa_exception_int_div_zero 0
	.end_amdhsa_kernel
	.section	.text._ZN9rocsolver6v33100L37stedc_mergePrepare_DeflateZero_kernelIdEEviiPT_lS3_lS3_iilS3_PiS2_,"axG",@progbits,_ZN9rocsolver6v33100L37stedc_mergePrepare_DeflateZero_kernelIdEEviiPT_lS3_lS3_iilS3_PiS2_,comdat
.Lfunc_end89:
	.size	_ZN9rocsolver6v33100L37stedc_mergePrepare_DeflateZero_kernelIdEEviiPT_lS3_lS3_iilS3_PiS2_, .Lfunc_end89-_ZN9rocsolver6v33100L37stedc_mergePrepare_DeflateZero_kernelIdEEviiPT_lS3_lS3_iilS3_PiS2_
                                        ; -- End function
	.section	.AMDGPU.csdata,"",@progbits
; Kernel info:
; codeLenInByte = 1880
; NumSgprs: 48
; NumVgprs: 22
; NumAgprs: 0
; TotalNumVgprs: 22
; ScratchSize: 0
; MemoryBound: 0
; FloatMode: 240
; IeeeMode: 1
; LDSByteSize: 8192 bytes/workgroup (compile time only)
; SGPRBlocks: 5
; VGPRBlocks: 2
; NumSGPRsForWavesPerEU: 48
; NumVGPRsForWavesPerEU: 22
; AccumOffset: 24
; Occupancy: 8
; WaveLimiterHint : 1
; COMPUTE_PGM_RSRC2:SCRATCH_EN: 0
; COMPUTE_PGM_RSRC2:USER_SGPR: 6
; COMPUTE_PGM_RSRC2:TRAP_HANDLER: 0
; COMPUTE_PGM_RSRC2:TGID_X_EN: 1
; COMPUTE_PGM_RSRC2:TGID_Y_EN: 1
; COMPUTE_PGM_RSRC2:TGID_Z_EN: 0
; COMPUTE_PGM_RSRC2:TIDIG_COMP_CNT: 0
; COMPUTE_PGM_RSRC3_GFX90A:ACCUM_OFFSET: 5
; COMPUTE_PGM_RSRC3_GFX90A:TG_SPLIT: 0
	.section	.text._ZN9rocsolver6v33100L31stedc_mergePrepare_SortD_kernelIdEEviiPT_lS3_Pi,"axG",@progbits,_ZN9rocsolver6v33100L31stedc_mergePrepare_SortD_kernelIdEEviiPT_lS3_Pi,comdat
	.globl	_ZN9rocsolver6v33100L31stedc_mergePrepare_SortD_kernelIdEEviiPT_lS3_Pi ; -- Begin function _ZN9rocsolver6v33100L31stedc_mergePrepare_SortD_kernelIdEEviiPT_lS3_Pi
	.p2align	8
	.type	_ZN9rocsolver6v33100L31stedc_mergePrepare_SortD_kernelIdEEviiPT_lS3_Pi,@function
_ZN9rocsolver6v33100L31stedc_mergePrepare_SortD_kernelIdEEviiPT_lS3_Pi: ; @_ZN9rocsolver6v33100L31stedc_mergePrepare_SortD_kernelIdEEviiPT_lS3_Pi
; %bb.0:
	s_load_dword s24, s[4:5], 0x4
	s_load_dwordx8 s[16:23], s[4:5], 0x8
	s_load_dword s10, s[4:5], 0x34
	s_ashr_i32 s0, s7, 31
	v_mov_b32_e32 v2, 0
	s_waitcnt lgkmcnt(0)
	s_ashr_i32 s25, s24, 31
	s_mul_i32 s1, s7, s19
	s_mul_hi_u32 s2, s7, s18
	s_add_i32 s1, s2, s1
	s_mul_i32 s0, s0, s18
	s_add_i32 s1, s1, s0
	s_mul_i32 s0, s7, s18
	s_lshl_b64 s[0:1], s[0:1], 3
	s_mul_i32 s36, s7, s24
	s_add_u32 s38, s16, s0
	s_mul_i32 s0, s36, 13
	s_addc_u32 s39, s17, s1
	s_ashr_i32 s1, s0, 31
	s_lshl_b64 s[0:1], s[0:1], 2
	s_add_u32 s2, s22, s0
	s_addc_u32 s3, s23, s1
	s_lshl_b32 s0, s24, 3
	s_ashr_i32 s1, s0, 31
	s_lshl_b64 s[0:1], s[0:1], 2
	s_add_u32 s40, s2, s0
	s_addc_u32 s41, s3, s1
	s_lshl_b64 s[0:1], s[24:25], 2
	s_sub_u32 s25, s40, s0
	s_subb_u32 s33, s41, s1
	s_mul_i32 s3, s24, 12
	s_mul_hi_i32 s2, s24, 12
	s_add_u32 s34, s25, s3
	s_addc_u32 s35, s33, s2
	s_mul_i32 s3, s24, 0xffffffec
	s_mul_hi_i32 s2, s24, 0xffffffec
	s_add_u32 s8, s34, s3
	s_addc_u32 s9, s35, s2
	s_ashr_i32 s7, s6, 31
	s_lshl_b64 s[18:19], s[6:7], 3
	s_add_u32 s4, s38, s18
	s_addc_u32 s5, s39, s19
	s_lshl_b64 s[2:3], s[6:7], 2
	s_add_u32 s8, s8, s2
	s_addc_u32 s9, s9, s3
	s_add_u32 s0, s8, s0
	s_addc_u32 s1, s9, s1
	s_and_b32 s37, s10, 0xffff
	s_lshl_b32 s42, s37, 3
	v_cvt_f32_u32_e32 v1, s42
	s_load_dword s43, s[8:9], 0x0
	s_load_dwordx2 s[22:23], s[4:5], 0x0
	s_load_dword s7, s[0:1], 0x0
	s_sub_i32 s4, 0, s42
	v_rcp_iflag_f32_e32 v1, v1
	s_waitcnt lgkmcnt(0)
	s_add_i32 s0, s43, -1
	s_ashr_i32 s1, s0, 31
	v_mul_f32_e32 v1, 0x4f7ffffe, v1
	v_cvt_u32_f32_e32 v1, v1
	s_abs_i32 s0, s0
	v_readfirstlane_b32 s5, v1
	s_mul_i32 s4, s4, s5
	s_mul_hi_u32 s4, s5, s4
	s_add_i32 s5, s5, s4
	s_mul_hi_u32 s4, s0, s5
	s_mul_i32 s5, s4, s42
	s_sub_i32 s0, s0, s5
	s_add_i32 s5, s4, 1
	s_sub_i32 s8, s0, s42
	s_cmp_ge_u32 s0, s42
	s_cselect_b32 s4, s5, s4
	s_cselect_b32 s0, s8, s0
	s_add_i32 s5, s4, 1
	s_cmp_ge_u32 s0, s42
	s_cselect_b32 s0, s5, s4
	s_xor_b32 s0, s0, s1
	s_sub_i32 s4, s0, s1
	s_cmp_lt_i32 s4, 0
	s_mov_b64 s[0:1], -1
	v_mov_b32_e32 v1, 0
	s_cbranch_scc1 .LBB90_68
; %bb.1:
	s_add_u32 s0, s40, s2
	s_addc_u32 s1, s41, s3
	s_load_dword s44, s[0:1], 0x0
	s_lshl_b32 s0, s37, 1
	s_add_i32 s46, s7, s0
	s_mul_i32 s0, s37, 3
	s_add_i32 s47, s7, s0
	s_lshl_b32 s0, s37, 2
	s_add_i32 s48, s7, s0
	s_mul_i32 s0, s37, 5
	s_add_i32 s49, s7, s0
	s_mul_i32 s0, s37, 6
	;; [unrolled: 2-line block ×3, first 2 shown]
	s_add_i32 s45, s4, 1
	s_add_i32 s51, s7, s0
	;; [unrolled: 1-line block ×3, first 2 shown]
	v_mov_b32_e32 v1, 0
	v_mov_b32_e32 v26, v0
	;; [unrolled: 1-line block ×5, first 2 shown]
                                        ; implicit-def: $vgpr2_vgpr3_vgpr4_vgpr5_vgpr6_vgpr7_vgpr8_vgpr9_vgpr10_vgpr11_vgpr12_vgpr13_vgpr14_vgpr15_vgpr16_vgpr17
                                        ; implicit-def: $vgpr18_vgpr19_vgpr20_vgpr21_vgpr22_vgpr23_vgpr24_vgpr25
	s_branch .LBB90_4
.LBB90_2:                               ;   in Loop: Header=BB90_4 Depth=1
	s_or_b64 exec, exec, s[8:9]
	v_cmp_u_f64_e32 vcc, v[16:17], v[16:17]
	v_cndmask_b32_e64 v30, 0, 1, s[4:5]
	v_addc_co_u32_e32 v27, vcc, 0, v27, vcc
	v_add_u32_e32 v29, v29, v30
	v_cmp_lt_i32_e32 vcc, 0, v25
	v_cndmask_b32_e64 v30, 0, 1, s[0:1]
	v_addc_co_u32_e32 v1, vcc, 0, v1, vcc
	v_add_u32_e32 v28, v28, v30
.LBB90_3:                               ;   in Loop: Header=BB90_4 Depth=1
	s_or_b64 exec, exec, s[2:3]
	s_add_i32 s45, s45, -1
	s_cmp_eq_u32 s45, 0
	v_add_u32_e32 v26, s42, v26
	s_cbranch_scc1 .LBB90_67
.LBB90_4:                               ; =>This Inner Loop Header: Depth=1
	v_cmp_gt_i32_e64 s[14:15], s43, v26
	s_and_saveexec_b64 s[0:1], s[14:15]
	s_cbranch_execz .LBB90_6
; %bb.5:                                ;   in Loop: Header=BB90_4 Depth=1
	s_waitcnt vmcnt(1)
	v_add_u32_e32 v2, s7, v26
	v_ashrrev_i32_e32 v3, 31, v2
	v_lshlrev_b64 v[30:31], 2, v[2:3]
	s_waitcnt vmcnt(0)
	v_mov_b32_e32 v18, s41
	v_add_co_u32_e32 v30, vcc, s40, v30
	v_addc_co_u32_e32 v31, vcc, v18, v31, vcc
	v_lshlrev_b64 v[2:3], 3, v[2:3]
	v_mov_b32_e32 v18, s39
	v_add_co_u32_e32 v32, vcc, s38, v2
	v_addc_co_u32_e32 v33, vcc, v18, v3, vcc
	global_load_dwordx2 v[2:3], v[32:33], off
	global_load_dword v18, v[30:31], off
.LBB90_6:                               ;   in Loop: Header=BB90_4 Depth=1
	s_or_b64 exec, exec, s[0:1]
	v_add_u32_e32 v30, s37, v26
	v_cmp_gt_i32_e64 s[12:13], s43, v30
	s_and_saveexec_b64 s[0:1], s[12:13]
	s_cbranch_execz .LBB90_8
; %bb.7:                                ;   in Loop: Header=BB90_4 Depth=1
	s_waitcnt vmcnt(1)
	v_add_u32_e32 v4, s52, v26
	v_ashrrev_i32_e32 v5, 31, v4
	v_lshlrev_b64 v[32:33], 2, v[4:5]
	s_waitcnt vmcnt(0)
	v_mov_b32_e32 v19, s41
	v_add_co_u32_e32 v32, vcc, s40, v32
	v_addc_co_u32_e32 v33, vcc, v19, v33, vcc
	v_lshlrev_b64 v[4:5], 3, v[4:5]
	v_mov_b32_e32 v19, s39
	v_add_co_u32_e32 v34, vcc, s38, v4
	v_addc_co_u32_e32 v35, vcc, v19, v5, vcc
	global_load_dwordx2 v[4:5], v[34:35], off
	global_load_dword v19, v[32:33], off
.LBB90_8:                               ;   in Loop: Header=BB90_4 Depth=1
	s_or_b64 exec, exec, s[0:1]
	v_add_u32_e32 v30, s37, v30
	v_cmp_gt_i32_e64 s[10:11], s43, v30
	s_and_saveexec_b64 s[0:1], s[10:11]
	s_cbranch_execz .LBB90_10
; %bb.9:                                ;   in Loop: Header=BB90_4 Depth=1
	s_waitcnt vmcnt(1)
	v_add_u32_e32 v6, s46, v26
	v_ashrrev_i32_e32 v7, 31, v6
	v_lshlrev_b64 v[32:33], 2, v[6:7]
	s_waitcnt vmcnt(0)
	v_mov_b32_e32 v20, s41
	v_add_co_u32_e32 v32, vcc, s40, v32
	v_addc_co_u32_e32 v33, vcc, v20, v33, vcc
	v_lshlrev_b64 v[6:7], 3, v[6:7]
	v_mov_b32_e32 v20, s39
	v_add_co_u32_e32 v34, vcc, s38, v6
	v_addc_co_u32_e32 v35, vcc, v20, v7, vcc
	global_load_dwordx2 v[6:7], v[34:35], off
	global_load_dword v20, v[32:33], off
.LBB90_10:                              ;   in Loop: Header=BB90_4 Depth=1
	s_or_b64 exec, exec, s[0:1]
	v_add_u32_e32 v30, s37, v30
	v_cmp_gt_i32_e64 s[8:9], s43, v30
	s_and_saveexec_b64 s[0:1], s[8:9]
	s_cbranch_execz .LBB90_12
; %bb.11:                               ;   in Loop: Header=BB90_4 Depth=1
	s_waitcnt vmcnt(1)
	v_add_u32_e32 v8, s47, v26
	v_ashrrev_i32_e32 v9, 31, v8
	v_lshlrev_b64 v[32:33], 2, v[8:9]
	s_waitcnt vmcnt(0)
	v_mov_b32_e32 v21, s41
	v_add_co_u32_e32 v32, vcc, s40, v32
	v_addc_co_u32_e32 v33, vcc, v21, v33, vcc
	v_lshlrev_b64 v[8:9], 3, v[8:9]
	v_mov_b32_e32 v21, s39
	v_add_co_u32_e32 v34, vcc, s38, v8
	v_addc_co_u32_e32 v35, vcc, v21, v9, vcc
	global_load_dwordx2 v[8:9], v[34:35], off
	global_load_dword v21, v[32:33], off
.LBB90_12:                              ;   in Loop: Header=BB90_4 Depth=1
	s_or_b64 exec, exec, s[0:1]
	v_add_u32_e32 v30, s37, v30
	v_cmp_gt_i32_e64 s[4:5], s43, v30
	s_and_saveexec_b64 s[0:1], s[4:5]
	s_cbranch_execz .LBB90_14
; %bb.13:                               ;   in Loop: Header=BB90_4 Depth=1
	s_waitcnt vmcnt(1)
	v_add_u32_e32 v10, s48, v26
	v_ashrrev_i32_e32 v11, 31, v10
	v_lshlrev_b64 v[32:33], 2, v[10:11]
	s_waitcnt vmcnt(0)
	v_mov_b32_e32 v22, s41
	v_add_co_u32_e32 v32, vcc, s40, v32
	v_addc_co_u32_e32 v33, vcc, v22, v33, vcc
	v_lshlrev_b64 v[10:11], 3, v[10:11]
	v_mov_b32_e32 v22, s39
	v_add_co_u32_e32 v34, vcc, s38, v10
	v_addc_co_u32_e32 v35, vcc, v22, v11, vcc
	global_load_dwordx2 v[10:11], v[34:35], off
	global_load_dword v22, v[32:33], off
.LBB90_14:                              ;   in Loop: Header=BB90_4 Depth=1
	;; [unrolled: 21-line block ×4, first 2 shown]
	s_or_b64 exec, exec, s[16:17]
	v_add_u32_e32 v30, s37, v30
	v_cmp_gt_i32_e32 vcc, s43, v30
	s_and_saveexec_b64 s[26:27], vcc
	s_cbranch_execnz .LBB90_27
; %bb.19:                               ;   in Loop: Header=BB90_4 Depth=1
	s_or_b64 exec, exec, s[26:27]
	s_and_saveexec_b64 s[26:27], s[14:15]
	s_cbranch_execnz .LBB90_28
.LBB90_20:                              ;   in Loop: Header=BB90_4 Depth=1
	s_or_b64 exec, exec, s[26:27]
	s_and_saveexec_b64 s[16:17], s[12:13]
	s_cbranch_execnz .LBB90_33
.LBB90_21:                              ;   in Loop: Header=BB90_4 Depth=1
	s_or_b64 exec, exec, s[16:17]
	s_and_saveexec_b64 s[14:15], s[10:11]
	s_cbranch_execnz .LBB90_38
.LBB90_22:                              ;   in Loop: Header=BB90_4 Depth=1
	s_or_b64 exec, exec, s[14:15]
	s_and_saveexec_b64 s[12:13], s[8:9]
	s_cbranch_execnz .LBB90_43
.LBB90_23:                              ;   in Loop: Header=BB90_4 Depth=1
	s_or_b64 exec, exec, s[12:13]
	s_and_saveexec_b64 s[10:11], s[4:5]
	s_cbranch_execnz .LBB90_48
.LBB90_24:                              ;   in Loop: Header=BB90_4 Depth=1
	s_or_b64 exec, exec, s[10:11]
	s_and_saveexec_b64 s[8:9], s[2:3]
	s_cbranch_execnz .LBB90_53
.LBB90_25:                              ;   in Loop: Header=BB90_4 Depth=1
	s_or_b64 exec, exec, s[8:9]
	s_and_saveexec_b64 s[4:5], s[0:1]
	s_cbranch_execnz .LBB90_58
.LBB90_26:                              ;   in Loop: Header=BB90_4 Depth=1
	s_or_b64 exec, exec, s[4:5]
	s_and_saveexec_b64 s[2:3], vcc
	s_cbranch_execz .LBB90_3
	s_branch .LBB90_63
.LBB90_27:                              ;   in Loop: Header=BB90_4 Depth=1
	s_waitcnt vmcnt(1)
	v_add_u32_e32 v16, s51, v26
	v_ashrrev_i32_e32 v17, 31, v16
	v_lshlrev_b64 v[30:31], 2, v[16:17]
	s_waitcnt vmcnt(0)
	v_mov_b32_e32 v25, s41
	v_add_co_u32_e64 v30, s[16:17], s40, v30
	v_addc_co_u32_e64 v31, s[16:17], v25, v31, s[16:17]
	v_lshlrev_b64 v[16:17], 3, v[16:17]
	v_mov_b32_e32 v25, s39
	v_add_co_u32_e64 v16, s[16:17], s38, v16
	v_addc_co_u32_e64 v17, s[16:17], v25, v17, s[16:17]
	global_load_dwordx2 v[16:17], v[16:17], off
	s_nop 0
	global_load_dword v25, v[30:31], off
	s_or_b64 exec, exec, s[26:27]
	s_and_saveexec_b64 s[26:27], s[14:15]
	s_cbranch_execz .LBB90_20
.LBB90_28:                              ;   in Loop: Header=BB90_4 Depth=1
	s_waitcnt vmcnt(0) lgkmcnt(0)
	v_cmp_ge_i32_e64 s[14:15], s44, v18
	s_mov_b64 s[28:29], -1
	s_and_saveexec_b64 s[30:31], s[14:15]
; %bb.29:                               ;   in Loop: Header=BB90_4 Depth=1
	v_cmp_eq_u32_e64 s[14:15], s44, v18
	v_cmp_gt_f64_e64 s[16:17], s[22:23], v[2:3]
	s_and_b64 s[14:15], s[14:15], s[16:17]
	s_orn2_b64 s[28:29], s[14:15], exec
; %bb.30:                               ;   in Loop: Header=BB90_4 Depth=1
	s_or_b64 exec, exec, s[30:31]
	v_cmp_eq_u32_e64 s[14:15], s44, v18
	v_cmp_eq_f64_e64 s[16:17], s[22:23], v[2:3]
	s_and_b64 s[14:15], s[14:15], s[16:17]
	s_mov_b64 s[16:17], 0
	s_and_saveexec_b64 s[30:31], s[14:15]
; %bb.31:                               ;   in Loop: Header=BB90_4 Depth=1
	v_add_u32_e32 v30, s7, v26
	v_cmp_gt_i32_e64 s[14:15], s6, v30
	s_and_b64 s[16:17], s[14:15], exec
; %bb.32:                               ;   in Loop: Header=BB90_4 Depth=1
	s_or_b64 exec, exec, s[30:31]
	v_cmp_u_f64_e64 s[14:15], v[2:3], v[2:3]
	v_cndmask_b32_e64 v30, 0, 1, s[28:29]
	v_addc_co_u32_e64 v27, s[14:15], 0, v27, s[14:15]
	v_add_u32_e32 v29, v29, v30
	v_cmp_lt_i32_e64 s[14:15], 0, v18
	v_cndmask_b32_e64 v30, 0, 1, s[16:17]
	v_addc_co_u32_e64 v1, s[14:15], 0, v1, s[14:15]
	v_add_u32_e32 v28, v28, v30
	s_or_b64 exec, exec, s[26:27]
	s_and_saveexec_b64 s[16:17], s[12:13]
	s_cbranch_execz .LBB90_21
.LBB90_33:                              ;   in Loop: Header=BB90_4 Depth=1
	s_waitcnt vmcnt(0) lgkmcnt(0)
	v_cmp_ge_i32_e64 s[12:13], s44, v19
	s_mov_b64 s[26:27], -1
	s_and_saveexec_b64 s[28:29], s[12:13]
; %bb.34:                               ;   in Loop: Header=BB90_4 Depth=1
	v_cmp_eq_u32_e64 s[12:13], s44, v19
	v_cmp_gt_f64_e64 s[14:15], s[22:23], v[4:5]
	s_and_b64 s[12:13], s[12:13], s[14:15]
	s_orn2_b64 s[26:27], s[12:13], exec
; %bb.35:                               ;   in Loop: Header=BB90_4 Depth=1
	s_or_b64 exec, exec, s[28:29]
	v_cmp_eq_u32_e64 s[12:13], s44, v19
	v_cmp_eq_f64_e64 s[14:15], s[22:23], v[4:5]
	s_and_b64 s[12:13], s[12:13], s[14:15]
	s_mov_b64 s[14:15], 0
	s_and_saveexec_b64 s[28:29], s[12:13]
; %bb.36:                               ;   in Loop: Header=BB90_4 Depth=1
	v_add_u32_e32 v30, s52, v26
	v_cmp_gt_i32_e64 s[12:13], s6, v30
	s_and_b64 s[14:15], s[12:13], exec
; %bb.37:                               ;   in Loop: Header=BB90_4 Depth=1
	s_or_b64 exec, exec, s[28:29]
	v_cmp_u_f64_e64 s[12:13], v[4:5], v[4:5]
	v_cndmask_b32_e64 v30, 0, 1, s[26:27]
	v_addc_co_u32_e64 v27, s[12:13], 0, v27, s[12:13]
	v_add_u32_e32 v29, v29, v30
	v_cmp_lt_i32_e64 s[12:13], 0, v19
	v_cndmask_b32_e64 v30, 0, 1, s[14:15]
	v_addc_co_u32_e64 v1, s[12:13], 0, v1, s[12:13]
	v_add_u32_e32 v28, v28, v30
	s_or_b64 exec, exec, s[16:17]
	s_and_saveexec_b64 s[14:15], s[10:11]
	s_cbranch_execz .LBB90_22
.LBB90_38:                              ;   in Loop: Header=BB90_4 Depth=1
	s_waitcnt vmcnt(0) lgkmcnt(0)
	v_cmp_ge_i32_e64 s[10:11], s44, v20
	s_mov_b64 s[16:17], -1
	s_and_saveexec_b64 s[26:27], s[10:11]
; %bb.39:                               ;   in Loop: Header=BB90_4 Depth=1
	v_cmp_eq_u32_e64 s[10:11], s44, v20
	v_cmp_gt_f64_e64 s[12:13], s[22:23], v[6:7]
	s_and_b64 s[10:11], s[10:11], s[12:13]
	s_orn2_b64 s[16:17], s[10:11], exec
; %bb.40:                               ;   in Loop: Header=BB90_4 Depth=1
	s_or_b64 exec, exec, s[26:27]
	v_cmp_eq_u32_e64 s[10:11], s44, v20
	v_cmp_eq_f64_e64 s[12:13], s[22:23], v[6:7]
	s_and_b64 s[10:11], s[10:11], s[12:13]
	s_mov_b64 s[12:13], 0
	s_and_saveexec_b64 s[26:27], s[10:11]
; %bb.41:                               ;   in Loop: Header=BB90_4 Depth=1
	v_add_u32_e32 v30, s46, v26
	v_cmp_gt_i32_e64 s[10:11], s6, v30
	s_and_b64 s[12:13], s[10:11], exec
; %bb.42:                               ;   in Loop: Header=BB90_4 Depth=1
	s_or_b64 exec, exec, s[26:27]
	v_cmp_u_f64_e64 s[10:11], v[6:7], v[6:7]
	v_cndmask_b32_e64 v30, 0, 1, s[16:17]
	v_addc_co_u32_e64 v27, s[10:11], 0, v27, s[10:11]
	v_add_u32_e32 v29, v29, v30
	v_cmp_lt_i32_e64 s[10:11], 0, v20
	v_cndmask_b32_e64 v30, 0, 1, s[12:13]
	v_addc_co_u32_e64 v1, s[10:11], 0, v1, s[10:11]
	v_add_u32_e32 v28, v28, v30
	s_or_b64 exec, exec, s[14:15]
	s_and_saveexec_b64 s[12:13], s[8:9]
	s_cbranch_execz .LBB90_23
.LBB90_43:                              ;   in Loop: Header=BB90_4 Depth=1
	s_waitcnt vmcnt(0) lgkmcnt(0)
	v_cmp_ge_i32_e64 s[8:9], s44, v21
	s_mov_b64 s[14:15], -1
	s_and_saveexec_b64 s[16:17], s[8:9]
; %bb.44:                               ;   in Loop: Header=BB90_4 Depth=1
	v_cmp_eq_u32_e64 s[8:9], s44, v21
	v_cmp_gt_f64_e64 s[10:11], s[22:23], v[8:9]
	s_and_b64 s[8:9], s[8:9], s[10:11]
	s_orn2_b64 s[14:15], s[8:9], exec
; %bb.45:                               ;   in Loop: Header=BB90_4 Depth=1
	s_or_b64 exec, exec, s[16:17]
	v_cmp_eq_u32_e64 s[8:9], s44, v21
	v_cmp_eq_f64_e64 s[10:11], s[22:23], v[8:9]
	s_and_b64 s[8:9], s[8:9], s[10:11]
	s_mov_b64 s[10:11], 0
	s_and_saveexec_b64 s[16:17], s[8:9]
; %bb.46:                               ;   in Loop: Header=BB90_4 Depth=1
	v_add_u32_e32 v30, s47, v26
	v_cmp_gt_i32_e64 s[8:9], s6, v30
	s_and_b64 s[10:11], s[8:9], exec
; %bb.47:                               ;   in Loop: Header=BB90_4 Depth=1
	s_or_b64 exec, exec, s[16:17]
	v_cmp_u_f64_e64 s[8:9], v[8:9], v[8:9]
	v_cndmask_b32_e64 v30, 0, 1, s[14:15]
	v_addc_co_u32_e64 v27, s[8:9], 0, v27, s[8:9]
	v_add_u32_e32 v29, v29, v30
	v_cmp_lt_i32_e64 s[8:9], 0, v21
	v_cndmask_b32_e64 v30, 0, 1, s[10:11]
	v_addc_co_u32_e64 v1, s[8:9], 0, v1, s[8:9]
	v_add_u32_e32 v28, v28, v30
	s_or_b64 exec, exec, s[12:13]
	s_and_saveexec_b64 s[10:11], s[4:5]
	s_cbranch_execz .LBB90_24
.LBB90_48:                              ;   in Loop: Header=BB90_4 Depth=1
	s_waitcnt vmcnt(0) lgkmcnt(0)
	v_cmp_ge_i32_e64 s[4:5], s44, v22
	s_mov_b64 s[12:13], -1
	s_and_saveexec_b64 s[14:15], s[4:5]
; %bb.49:                               ;   in Loop: Header=BB90_4 Depth=1
	v_cmp_eq_u32_e64 s[4:5], s44, v22
	v_cmp_gt_f64_e64 s[8:9], s[22:23], v[10:11]
	s_and_b64 s[4:5], s[4:5], s[8:9]
	s_orn2_b64 s[12:13], s[4:5], exec
; %bb.50:                               ;   in Loop: Header=BB90_4 Depth=1
	s_or_b64 exec, exec, s[14:15]
	v_cmp_eq_u32_e64 s[4:5], s44, v22
	v_cmp_eq_f64_e64 s[8:9], s[22:23], v[10:11]
	s_and_b64 s[4:5], s[4:5], s[8:9]
	s_mov_b64 s[8:9], 0
	s_and_saveexec_b64 s[14:15], s[4:5]
; %bb.51:                               ;   in Loop: Header=BB90_4 Depth=1
	v_add_u32_e32 v30, s48, v26
	v_cmp_gt_i32_e64 s[4:5], s6, v30
	s_and_b64 s[8:9], s[4:5], exec
; %bb.52:                               ;   in Loop: Header=BB90_4 Depth=1
	s_or_b64 exec, exec, s[14:15]
	v_cmp_u_f64_e64 s[4:5], v[10:11], v[10:11]
	v_cndmask_b32_e64 v30, 0, 1, s[12:13]
	v_addc_co_u32_e64 v27, s[4:5], 0, v27, s[4:5]
	v_add_u32_e32 v29, v29, v30
	v_cmp_lt_i32_e64 s[4:5], 0, v22
	v_cndmask_b32_e64 v30, 0, 1, s[8:9]
	v_addc_co_u32_e64 v1, s[4:5], 0, v1, s[4:5]
	v_add_u32_e32 v28, v28, v30
	s_or_b64 exec, exec, s[10:11]
	s_and_saveexec_b64 s[8:9], s[2:3]
	s_cbranch_execz .LBB90_25
.LBB90_53:                              ;   in Loop: Header=BB90_4 Depth=1
	s_waitcnt vmcnt(0) lgkmcnt(0)
	v_cmp_ge_i32_e64 s[2:3], s44, v23
	s_mov_b64 s[10:11], -1
	s_and_saveexec_b64 s[12:13], s[2:3]
; %bb.54:                               ;   in Loop: Header=BB90_4 Depth=1
	v_cmp_eq_u32_e64 s[2:3], s44, v23
	v_cmp_gt_f64_e64 s[4:5], s[22:23], v[12:13]
	s_and_b64 s[2:3], s[2:3], s[4:5]
	s_orn2_b64 s[10:11], s[2:3], exec
; %bb.55:                               ;   in Loop: Header=BB90_4 Depth=1
	s_or_b64 exec, exec, s[12:13]
	v_cmp_eq_u32_e64 s[2:3], s44, v23
	v_cmp_eq_f64_e64 s[4:5], s[22:23], v[12:13]
	s_and_b64 s[2:3], s[2:3], s[4:5]
	s_mov_b64 s[4:5], 0
	s_and_saveexec_b64 s[12:13], s[2:3]
; %bb.56:                               ;   in Loop: Header=BB90_4 Depth=1
	v_add_u32_e32 v30, s49, v26
	v_cmp_gt_i32_e64 s[2:3], s6, v30
	s_and_b64 s[4:5], s[2:3], exec
; %bb.57:                               ;   in Loop: Header=BB90_4 Depth=1
	s_or_b64 exec, exec, s[12:13]
	v_cmp_u_f64_e64 s[2:3], v[12:13], v[12:13]
	v_cndmask_b32_e64 v30, 0, 1, s[10:11]
	v_addc_co_u32_e64 v27, s[2:3], 0, v27, s[2:3]
	v_add_u32_e32 v29, v29, v30
	v_cmp_lt_i32_e64 s[2:3], 0, v23
	v_cndmask_b32_e64 v30, 0, 1, s[4:5]
	v_addc_co_u32_e64 v1, s[2:3], 0, v1, s[2:3]
	v_add_u32_e32 v28, v28, v30
	s_or_b64 exec, exec, s[8:9]
	s_and_saveexec_b64 s[4:5], s[0:1]
	s_cbranch_execz .LBB90_26
.LBB90_58:                              ;   in Loop: Header=BB90_4 Depth=1
	s_waitcnt vmcnt(0) lgkmcnt(0)
	v_cmp_ge_i32_e64 s[0:1], s44, v24
	s_mov_b64 s[8:9], -1
	s_and_saveexec_b64 s[10:11], s[0:1]
; %bb.59:                               ;   in Loop: Header=BB90_4 Depth=1
	v_cmp_eq_u32_e64 s[0:1], s44, v24
	v_cmp_gt_f64_e64 s[2:3], s[22:23], v[14:15]
	s_and_b64 s[0:1], s[0:1], s[2:3]
	s_orn2_b64 s[8:9], s[0:1], exec
; %bb.60:                               ;   in Loop: Header=BB90_4 Depth=1
	s_or_b64 exec, exec, s[10:11]
	v_cmp_eq_u32_e64 s[0:1], s44, v24
	v_cmp_eq_f64_e64 s[2:3], s[22:23], v[14:15]
	s_and_b64 s[0:1], s[0:1], s[2:3]
	s_mov_b64 s[2:3], 0
	s_and_saveexec_b64 s[10:11], s[0:1]
; %bb.61:                               ;   in Loop: Header=BB90_4 Depth=1
	v_add_u32_e32 v30, s50, v26
	v_cmp_gt_i32_e64 s[0:1], s6, v30
	s_and_b64 s[2:3], s[0:1], exec
; %bb.62:                               ;   in Loop: Header=BB90_4 Depth=1
	s_or_b64 exec, exec, s[10:11]
	v_cmp_u_f64_e64 s[0:1], v[14:15], v[14:15]
	v_cndmask_b32_e64 v30, 0, 1, s[8:9]
	v_addc_co_u32_e64 v27, s[0:1], 0, v27, s[0:1]
	v_add_u32_e32 v29, v29, v30
	v_cmp_lt_i32_e64 s[0:1], 0, v24
	v_cndmask_b32_e64 v30, 0, 1, s[2:3]
	v_addc_co_u32_e64 v1, s[0:1], 0, v1, s[0:1]
	v_add_u32_e32 v28, v28, v30
	s_or_b64 exec, exec, s[4:5]
	s_and_saveexec_b64 s[2:3], vcc
	s_cbranch_execz .LBB90_3
.LBB90_63:                              ;   in Loop: Header=BB90_4 Depth=1
	s_waitcnt vmcnt(0) lgkmcnt(0)
	v_cmp_ge_i32_e32 vcc, s44, v25
	s_mov_b64 s[4:5], -1
	s_and_saveexec_b64 s[8:9], vcc
; %bb.64:                               ;   in Loop: Header=BB90_4 Depth=1
	v_cmp_eq_u32_e32 vcc, s44, v25
	v_cmp_gt_f64_e64 s[0:1], s[22:23], v[16:17]
	s_and_b64 s[0:1], vcc, s[0:1]
	s_orn2_b64 s[4:5], s[0:1], exec
; %bb.65:                               ;   in Loop: Header=BB90_4 Depth=1
	s_or_b64 exec, exec, s[8:9]
	v_cmp_eq_u32_e32 vcc, s44, v25
	v_cmp_eq_f64_e64 s[0:1], s[22:23], v[16:17]
	s_and_b64 s[10:11], vcc, s[0:1]
	s_mov_b64 s[0:1], 0
	s_and_saveexec_b64 s[8:9], s[10:11]
	s_cbranch_execz .LBB90_2
; %bb.66:                               ;   in Loop: Header=BB90_4 Depth=1
	v_add_u32_e32 v30, s51, v26
	v_cmp_gt_i32_e32 vcc, s6, v30
	s_and_b64 s[0:1], vcc, exec
	s_branch .LBB90_2
.LBB90_67:
	s_waitcnt vmcnt(1)
	v_add_u32_e32 v2, v28, v29
	v_cmp_eq_u32_e64 s[0:1], 0, v27
.LBB90_68:
	v_lshlrev_b32_e32 v3, 2, v0
	s_cmp_lt_u32 s37, 2
	ds_write2st64_b32 v3, v1, v2 offset1:8
	s_cbranch_scc1 .LBB90_74
; %bb.69:
	v_or_b32_e32 v4, 0x800, v3
.LBB90_70:                              ; =>This Inner Loop Header: Depth=1
	s_lshr_b32 s4, s37, 1
	v_cmp_gt_u32_e32 vcc, s4, v0
	s_waitcnt lgkmcnt(0)
	s_barrier
	s_and_saveexec_b64 s[2:3], vcc
	s_cbranch_execz .LBB90_72
; %bb.71:                               ;   in Loop: Header=BB90_70 Depth=1
	s_lshl_b32 s5, s4, 2
	v_add_u32_e32 v5, s5, v4
	v_add_u32_e32 v6, s5, v3
	ds_read_b32 v5, v5
	ds_read_b32 v6, v6
	s_waitcnt lgkmcnt(1)
	v_add_u32_e32 v2, v5, v2
	s_waitcnt lgkmcnt(0)
	v_add_u32_e32 v1, v6, v1
	ds_write_b32 v4, v2
	ds_write_b32 v3, v1
.LBB90_72:                              ;   in Loop: Header=BB90_70 Depth=1
	s_or_b64 exec, exec, s[2:3]
	s_cmp_lt_u32 s37, 4
	s_cbranch_scc1 .LBB90_74
; %bb.73:                               ;   in Loop: Header=BB90_70 Depth=1
	s_mov_b32 s37, s4
	s_branch .LBB90_70
.LBB90_74:
	s_mul_i32 s4, s36, 10
	s_mul_i32 s2, s24, 6
	s_ashr_i32 s5, s4, 31
	s_xor_b64 s[0:1], s[0:1], -1
	s_ashr_i32 s3, s2, 31
	s_lshl_b64 s[4:5], s[4:5], 3
	s_add_u32 s4, s20, s4
	s_addc_u32 s5, s21, s5
	s_lshl_b64 s[2:3], s[2:3], 3
	s_add_u32 s4, s4, s2
	s_addc_u32 s5, s5, s3
	v_cmp_eq_u32_e32 vcc, 0, v0
	s_and_saveexec_b64 s[2:3], vcc
	s_cbranch_execz .LBB90_76
; %bb.75:
	v_add_u32_e32 v2, s7, v2
	v_ashrrev_i32_e32 v3, 31, v2
	v_lshlrev_b64 v[4:5], 3, v[2:3]
	v_mov_b32_e32 v0, s5
	v_add_co_u32_e32 v4, vcc, s4, v4
	v_addc_co_u32_e32 v5, vcc, v0, v5, vcc
	v_lshlrev_b64 v[2:3], 2, v[2:3]
	v_mov_b32_e32 v0, s35
	v_add_co_u32_e32 v6, vcc, s34, v2
	v_addc_co_u32_e32 v7, vcc, v0, v3, vcc
	v_mov_b32_e32 v0, s33
	v_add_co_u32_e32 v2, vcc, s25, v2
	v_addc_co_u32_e32 v3, vcc, v0, v3, vcc
	v_mov_b32_e32 v0, s6
	global_store_dword v[2:3], v1, off
	global_store_dword v[6:7], v0, off
	v_pk_mov_b32 v[0:1], s[22:23], s[22:23] op_sel:[0,1]
	global_store_dwordx2 v[4:5], v[0:1], off
.LBB90_76:
	s_or_b64 exec, exec, s[2:3]
	s_waitcnt lgkmcnt(0)
	s_barrier
	s_and_saveexec_b64 s[2:3], s[0:1]
	s_cbranch_execz .LBB90_78
; %bb.77:
	s_add_u32 s0, s4, s18
	s_addc_u32 s1, s5, s19
	v_mov_b32_e32 v0, 0
	v_mov_b32_e32 v1, 0x7ff80000
	global_store_dwordx2 v0, v[0:1], s[0:1]
.LBB90_78:
	s_endpgm
	.section	.rodata,"a",@progbits
	.p2align	6, 0x0
	.amdhsa_kernel _ZN9rocsolver6v33100L31stedc_mergePrepare_SortD_kernelIdEEviiPT_lS3_Pi
		.amdhsa_group_segment_fixed_size 4096
		.amdhsa_private_segment_fixed_size 0
		.amdhsa_kernarg_size 296
		.amdhsa_user_sgpr_count 6
		.amdhsa_user_sgpr_private_segment_buffer 1
		.amdhsa_user_sgpr_dispatch_ptr 0
		.amdhsa_user_sgpr_queue_ptr 0
		.amdhsa_user_sgpr_kernarg_segment_ptr 1
		.amdhsa_user_sgpr_dispatch_id 0
		.amdhsa_user_sgpr_flat_scratch_init 0
		.amdhsa_user_sgpr_kernarg_preload_length 0
		.amdhsa_user_sgpr_kernarg_preload_offset 0
		.amdhsa_user_sgpr_private_segment_size 0
		.amdhsa_uses_dynamic_stack 0
		.amdhsa_system_sgpr_private_segment_wavefront_offset 0
		.amdhsa_system_sgpr_workgroup_id_x 1
		.amdhsa_system_sgpr_workgroup_id_y 1
		.amdhsa_system_sgpr_workgroup_id_z 0
		.amdhsa_system_sgpr_workgroup_info 0
		.amdhsa_system_vgpr_workitem_id 0
		.amdhsa_next_free_vgpr 36
		.amdhsa_next_free_sgpr 53
		.amdhsa_accum_offset 36
		.amdhsa_reserve_vcc 1
		.amdhsa_reserve_flat_scratch 0
		.amdhsa_float_round_mode_32 0
		.amdhsa_float_round_mode_16_64 0
		.amdhsa_float_denorm_mode_32 3
		.amdhsa_float_denorm_mode_16_64 3
		.amdhsa_dx10_clamp 1
		.amdhsa_ieee_mode 1
		.amdhsa_fp16_overflow 0
		.amdhsa_tg_split 0
		.amdhsa_exception_fp_ieee_invalid_op 0
		.amdhsa_exception_fp_denorm_src 0
		.amdhsa_exception_fp_ieee_div_zero 0
		.amdhsa_exception_fp_ieee_overflow 0
		.amdhsa_exception_fp_ieee_underflow 0
		.amdhsa_exception_fp_ieee_inexact 0
		.amdhsa_exception_int_div_zero 0
	.end_amdhsa_kernel
	.section	.text._ZN9rocsolver6v33100L31stedc_mergePrepare_SortD_kernelIdEEviiPT_lS3_Pi,"axG",@progbits,_ZN9rocsolver6v33100L31stedc_mergePrepare_SortD_kernelIdEEviiPT_lS3_Pi,comdat
.Lfunc_end90:
	.size	_ZN9rocsolver6v33100L31stedc_mergePrepare_SortD_kernelIdEEviiPT_lS3_Pi, .Lfunc_end90-_ZN9rocsolver6v33100L31stedc_mergePrepare_SortD_kernelIdEEviiPT_lS3_Pi
                                        ; -- End function
	.section	.AMDGPU.csdata,"",@progbits
; Kernel info:
; codeLenInByte = 3000
; NumSgprs: 57
; NumVgprs: 36
; NumAgprs: 0
; TotalNumVgprs: 36
; ScratchSize: 0
; MemoryBound: 0
; FloatMode: 240
; IeeeMode: 1
; LDSByteSize: 4096 bytes/workgroup (compile time only)
; SGPRBlocks: 7
; VGPRBlocks: 4
; NumSGPRsForWavesPerEU: 57
; NumVGPRsForWavesPerEU: 36
; AccumOffset: 36
; Occupancy: 8
; WaveLimiterHint : 1
; COMPUTE_PGM_RSRC2:SCRATCH_EN: 0
; COMPUTE_PGM_RSRC2:USER_SGPR: 6
; COMPUTE_PGM_RSRC2:TRAP_HANDLER: 0
; COMPUTE_PGM_RSRC2:TGID_X_EN: 1
; COMPUTE_PGM_RSRC2:TGID_Y_EN: 1
; COMPUTE_PGM_RSRC2:TGID_Z_EN: 0
; COMPUTE_PGM_RSRC2:TIDIG_COMP_CNT: 0
; COMPUTE_PGM_RSRC3_GFX90A:ACCUM_OFFSET: 8
; COMPUTE_PGM_RSRC3_GFX90A:TG_SPLIT: 0
	.section	.text._ZN9rocsolver6v33100L38stedc_mergePrepare_SetCandFlags_kernelIdEEviiPT_lS3_Pi,"axG",@progbits,_ZN9rocsolver6v33100L38stedc_mergePrepare_SetCandFlags_kernelIdEEviiPT_lS3_Pi,comdat
	.globl	_ZN9rocsolver6v33100L38stedc_mergePrepare_SetCandFlags_kernelIdEEviiPT_lS3_Pi ; -- Begin function _ZN9rocsolver6v33100L38stedc_mergePrepare_SetCandFlags_kernelIdEEviiPT_lS3_Pi
	.p2align	8
	.type	_ZN9rocsolver6v33100L38stedc_mergePrepare_SetCandFlags_kernelIdEEviiPT_lS3_Pi,@function
_ZN9rocsolver6v33100L38stedc_mergePrepare_SetCandFlags_kernelIdEEviiPT_lS3_Pi: ; @_ZN9rocsolver6v33100L38stedc_mergePrepare_SetCandFlags_kernelIdEEviiPT_lS3_Pi
; %bb.0:
	s_load_dword s0, s[4:5], 0x34
	s_load_dword s8, s[4:5], 0x4
	s_waitcnt lgkmcnt(0)
	s_and_b32 s0, s0, 0xffff
	s_mul_i32 s6, s6, s0
	v_add_u32_e32 v0, s6, v0
	v_cmp_gt_i32_e32 vcc, s8, v0
	s_and_saveexec_b64 s[0:1], vcc
	s_cbranch_execz .LBB91_6
; %bb.1:
	s_load_dwordx4 s[0:3], s[4:5], 0x18
	s_mul_i32 s10, s7, s8
	s_mul_i32 s4, s10, 13
	s_ashr_i32 s5, s4, 31
	s_lshl_b64 s[4:5], s[4:5], 2
	s_waitcnt lgkmcnt(0)
	s_add_u32 s4, s2, s4
	s_mul_i32 s2, s8, 6
	s_addc_u32 s5, s3, s5
	s_ashr_i32 s3, s2, 31
	s_lshl_b64 s[2:3], s[2:3], 2
	s_add_u32 s2, s4, s2
	s_addc_u32 s3, s5, s3
	s_ashr_i32 s9, s8, 31
	s_mul_i32 s5, s8, 20
	s_mul_hi_i32 s4, s8, 20
	s_add_u32 s6, s2, s5
	s_addc_u32 s7, s3, s4
	s_mul_i32 s4, s10, 10
	s_ashr_i32 s5, s4, 31
	s_lshl_b64 s[4:5], s[4:5], 3
	s_add_u32 s4, s0, s4
	s_addc_u32 s5, s1, s5
	s_lshl_b32 s0, s8, 2
	s_ashr_i32 s1, s0, 31
	s_lshl_b64 s[0:1], s[0:1], 3
	s_add_u32 s4, s4, s0
	s_addc_u32 s5, s5, s1
	s_lshl_b64 s[0:1], s[8:9], 4
	s_add_u32 s9, s4, s0
	v_add_u32_e32 v1, -1, v0
	v_cmp_lt_i32_e32 vcc, 0, v0
	s_addc_u32 s10, s5, s1
	v_cndmask_b32_e32 v12, 0, v1, vcc
	v_ashrrev_i32_e32 v1, 31, v0
	s_sub_u32 s11, s6, s0
	v_lshlrev_b64 v[2:3], 3, v[0:1]
	s_subb_u32 s12, s7, s1
	v_mov_b32_e32 v4, s5
	v_add_co_u32_e64 v10, s[0:1], s4, v2
	v_addc_co_u32_e64 v11, s[0:1], v4, v3, s[0:1]
	v_mov_b32_e32 v4, s10
	v_add_co_u32_e64 v2, s[0:1], s9, v2
	v_ashrrev_i32_e32 v13, 31, v12
	v_addc_co_u32_e64 v3, s[0:1], v4, v3, s[0:1]
	v_lshlrev_b64 v[4:5], 3, v[12:13]
	v_mov_b32_e32 v6, s10
	v_add_co_u32_e64 v14, s[0:1], s9, v4
	v_addc_co_u32_e64 v15, s[0:1], v6, v5, s[0:1]
	global_load_dwordx2 v[4:5], v[10:11], off
	global_load_dwordx2 v[6:7], v[2:3], off
	global_load_dwordx2 v[8:9], v[14:15], off
	v_lshlrev_b64 v[2:3], 2, v[0:1]
	v_mov_b32_e32 v1, s12
	v_add_co_u32_e64 v14, s[0:1], s11, v2
	v_addc_co_u32_e64 v15, s[0:1], v1, v3, s[0:1]
	v_mov_b32_e32 v1, s3
	v_add_co_u32_e64 v16, s[0:1], s2, v2
	v_addc_co_u32_e64 v17, s[0:1], v1, v3, s[0:1]
	v_lshlrev_b64 v[12:13], 2, v[12:13]
	global_load_dword v1, v[14:15], off
	global_load_dword v10, v[16:17], off
	v_mov_b32_e32 v11, s3
	v_add_co_u32_e64 v12, s[0:1], s2, v12
	v_addc_co_u32_e64 v13, s[0:1], v11, v13, s[0:1]
	global_load_dword v11, v[12:13], off
	v_mov_b32_e32 v13, 0
	s_waitcnt vmcnt(2)
	v_add_u32_e32 v14, -1, v1
	s_waitcnt vmcnt(1)
	v_sub_u32_e32 v12, v0, v10
	v_cmp_lt_i32_e64 s[0:1], v12, v14
	s_and_saveexec_b64 s[4:5], s[0:1]
	s_cbranch_execz .LBB91_5
; %bb.2:
	v_add_u32_e32 v13, 1, v0
	v_cmp_gt_i32_e64 s[0:1], s8, v13
	v_cndmask_b32_e64 v14, v0, v13, s[0:1]
	v_ashrrev_i32_e32 v15, 31, v14
	v_lshlrev_b64 v[16:17], 3, v[14:15]
	v_mov_b32_e32 v13, s10
	v_add_co_u32_e64 v16, s[0:1], s9, v16
	v_addc_co_u32_e64 v17, s[0:1], v13, v17, s[0:1]
	v_lshlrev_b64 v[14:15], 2, v[14:15]
	v_mov_b32_e32 v13, s3
	v_add_co_u32_e64 v14, s[0:1], s2, v14
	v_addc_co_u32_e64 v15, s[0:1], v13, v15, s[0:1]
	global_load_dword v13, v[14:15], off
	global_load_dwordx2 v[18:19], v[16:17], off
	s_waitcnt vmcnt(1)
	v_cmp_eq_u32_e64 s[0:1], v10, v13
	s_waitcnt vmcnt(0)
	v_add_f64 v[14:15], v[6:7], -v[18:19]
	v_and_b32_e32 v15, 0x7fffffff, v15
	v_cmp_le_f64_e64 s[2:3], v[14:15], v[4:5]
	s_and_b64 s[0:1], s[0:1], s[2:3]
	v_mov_b32_e32 v13, 0
	s_and_saveexec_b64 s[2:3], s[0:1]
; %bb.3:
	s_add_i32 s0, s8, -1
	v_cmp_ne_u32_e64 s[0:1], s0, v0
	v_cndmask_b32_e64 v13, 0, 1, s[0:1]
; %bb.4:
	s_or_b64 exec, exec, s[2:3]
.LBB91_5:
	s_or_b64 exec, exec, s[4:5]
	v_cmp_ge_i32_e64 s[0:1], v12, v1
	v_add_f64 v[0:1], v[6:7], -v[8:9]
	s_waitcnt vmcnt(0)
	v_cmp_ne_u32_e64 s[2:3], v10, v11
	v_and_b32_e32 v1, 0x7fffffff, v1
	s_or_b64 s[2:3], s[0:1], s[2:3]
	v_cmp_nle_f64_e64 s[0:1], v[0:1], v[4:5]
	v_cndmask_b32_e64 v0, 0, 2, vcc
	s_or_b64 s[0:1], s[2:3], s[0:1]
	v_cndmask_b32_e64 v0, v0, 0, s[0:1]
	v_or_b32_e32 v4, v13, v0
	v_mov_b32_e32 v1, s7
	v_add_co_u32_e32 v0, vcc, s6, v2
	v_addc_co_u32_e32 v1, vcc, v1, v3, vcc
	global_store_dword v[0:1], v4, off
.LBB91_6:
	s_endpgm
	.section	.rodata,"a",@progbits
	.p2align	6, 0x0
	.amdhsa_kernel _ZN9rocsolver6v33100L38stedc_mergePrepare_SetCandFlags_kernelIdEEviiPT_lS3_Pi
		.amdhsa_group_segment_fixed_size 0
		.amdhsa_private_segment_fixed_size 0
		.amdhsa_kernarg_size 296
		.amdhsa_user_sgpr_count 6
		.amdhsa_user_sgpr_private_segment_buffer 1
		.amdhsa_user_sgpr_dispatch_ptr 0
		.amdhsa_user_sgpr_queue_ptr 0
		.amdhsa_user_sgpr_kernarg_segment_ptr 1
		.amdhsa_user_sgpr_dispatch_id 0
		.amdhsa_user_sgpr_flat_scratch_init 0
		.amdhsa_user_sgpr_kernarg_preload_length 0
		.amdhsa_user_sgpr_kernarg_preload_offset 0
		.amdhsa_user_sgpr_private_segment_size 0
		.amdhsa_uses_dynamic_stack 0
		.amdhsa_system_sgpr_private_segment_wavefront_offset 0
		.amdhsa_system_sgpr_workgroup_id_x 1
		.amdhsa_system_sgpr_workgroup_id_y 1
		.amdhsa_system_sgpr_workgroup_id_z 0
		.amdhsa_system_sgpr_workgroup_info 0
		.amdhsa_system_vgpr_workitem_id 0
		.amdhsa_next_free_vgpr 20
		.amdhsa_next_free_sgpr 13
		.amdhsa_accum_offset 20
		.amdhsa_reserve_vcc 1
		.amdhsa_reserve_flat_scratch 0
		.amdhsa_float_round_mode_32 0
		.amdhsa_float_round_mode_16_64 0
		.amdhsa_float_denorm_mode_32 3
		.amdhsa_float_denorm_mode_16_64 3
		.amdhsa_dx10_clamp 1
		.amdhsa_ieee_mode 1
		.amdhsa_fp16_overflow 0
		.amdhsa_tg_split 0
		.amdhsa_exception_fp_ieee_invalid_op 0
		.amdhsa_exception_fp_denorm_src 0
		.amdhsa_exception_fp_ieee_div_zero 0
		.amdhsa_exception_fp_ieee_overflow 0
		.amdhsa_exception_fp_ieee_underflow 0
		.amdhsa_exception_fp_ieee_inexact 0
		.amdhsa_exception_int_div_zero 0
	.end_amdhsa_kernel
	.section	.text._ZN9rocsolver6v33100L38stedc_mergePrepare_SetCandFlags_kernelIdEEviiPT_lS3_Pi,"axG",@progbits,_ZN9rocsolver6v33100L38stedc_mergePrepare_SetCandFlags_kernelIdEEviiPT_lS3_Pi,comdat
.Lfunc_end91:
	.size	_ZN9rocsolver6v33100L38stedc_mergePrepare_SetCandFlags_kernelIdEEviiPT_lS3_Pi, .Lfunc_end91-_ZN9rocsolver6v33100L38stedc_mergePrepare_SetCandFlags_kernelIdEEviiPT_lS3_Pi
                                        ; -- End function
	.section	.AMDGPU.csdata,"",@progbits
; Kernel info:
; codeLenInByte = 712
; NumSgprs: 17
; NumVgprs: 20
; NumAgprs: 0
; TotalNumVgprs: 20
; ScratchSize: 0
; MemoryBound: 0
; FloatMode: 240
; IeeeMode: 1
; LDSByteSize: 0 bytes/workgroup (compile time only)
; SGPRBlocks: 2
; VGPRBlocks: 2
; NumSGPRsForWavesPerEU: 17
; NumVGPRsForWavesPerEU: 20
; AccumOffset: 20
; Occupancy: 8
; WaveLimiterHint : 0
; COMPUTE_PGM_RSRC2:SCRATCH_EN: 0
; COMPUTE_PGM_RSRC2:USER_SGPR: 6
; COMPUTE_PGM_RSRC2:TRAP_HANDLER: 0
; COMPUTE_PGM_RSRC2:TGID_X_EN: 1
; COMPUTE_PGM_RSRC2:TGID_Y_EN: 1
; COMPUTE_PGM_RSRC2:TGID_Z_EN: 0
; COMPUTE_PGM_RSRC2:TIDIG_COMP_CNT: 0
; COMPUTE_PGM_RSRC3_GFX90A:ACCUM_OFFSET: 4
; COMPUTE_PGM_RSRC3_GFX90A:TG_SPLIT: 0
	.section	.text._ZN9rocsolver6v33100L38stedc_mergePrepare_DeflateCount_kernelIdEEviiPT_lS3_Pi,"axG",@progbits,_ZN9rocsolver6v33100L38stedc_mergePrepare_DeflateCount_kernelIdEEviiPT_lS3_Pi,comdat
	.globl	_ZN9rocsolver6v33100L38stedc_mergePrepare_DeflateCount_kernelIdEEviiPT_lS3_Pi ; -- Begin function _ZN9rocsolver6v33100L38stedc_mergePrepare_DeflateCount_kernelIdEEviiPT_lS3_Pi
	.p2align	8
	.type	_ZN9rocsolver6v33100L38stedc_mergePrepare_DeflateCount_kernelIdEEviiPT_lS3_Pi,@function
_ZN9rocsolver6v33100L38stedc_mergePrepare_DeflateCount_kernelIdEEviiPT_lS3_Pi: ; @_ZN9rocsolver6v33100L38stedc_mergePrepare_DeflateCount_kernelIdEEviiPT_lS3_Pi
; %bb.0:
	s_load_dword s12, s[4:5], 0x4
	s_load_dwordx4 s[8:11], s[4:5], 0x18
	s_load_dword s2, s[4:5], 0x34
	s_waitcnt lgkmcnt(0)
	s_mul_i32 s20, s7, s12
	s_mul_i32 s0, s20, 13
	s_ashr_i32 s1, s0, 31
	s_lshl_b64 s[14:15], s[0:1], 2
	s_add_u32 s3, s10, s14
	s_mul_i32 s0, s12, 9
	s_addc_u32 s4, s11, s15
	s_ashr_i32 s1, s0, 31
	s_lshl_b64 s[16:17], s[0:1], 2
	s_add_u32 s24, s3, s16
	s_addc_u32 s25, s4, s17
	s_ashr_i32 s13, s12, 31
	s_lshl_b64 s[18:19], s[12:13], 3
	s_add_u32 s21, s24, s18
	s_addc_u32 s22, s25, s19
	s_and_b32 s27, s2, 0xffff
	s_mul_i32 s26, s6, s27
	v_add_u32_e32 v2, s26, v0
	v_add_u32_e32 v1, -1, v2
	v_cmp_lt_i32_e32 vcc, 0, v2
	v_cndmask_b32_e32 v4, 0, v1, vcc
	v_cmp_gt_i32_e32 vcc, s12, v4
	s_mov_b64 s[4:5], -1
	s_and_saveexec_b64 s[0:1], vcc
	s_cbranch_execz .LBB92_2
; %bb.1:
	v_ashrrev_i32_e32 v5, 31, v4
	v_lshlrev_b64 v[4:5], 2, v[4:5]
	v_mov_b32_e32 v1, s22
	v_add_co_u32_e32 v4, vcc, s21, v4
	v_addc_co_u32_e32 v5, vcc, v1, v5, vcc
	global_load_dword v1, v[4:5], off
	s_waitcnt vmcnt(0)
	v_and_b32_e32 v1, 1, v1
	v_cmp_eq_u32_e32 vcc, 0, v1
	s_orn2_b64 s[4:5], vcc, exec
.LBB92_2:
	s_or_b64 exec, exec, s[0:1]
	v_cmp_le_i32_e32 vcc, s12, v2
	v_cmp_gt_i32_e64 s[0:1], s12, v2
	s_mov_b64 s[2:3], 0
	v_ashrrev_i32_e32 v3, 31, v2
	s_and_saveexec_b64 s[6:7], s[0:1]
	s_cbranch_execz .LBB92_4
; %bb.3:
	v_lshlrev_b64 v[4:5], 2, v[2:3]
	v_mov_b32_e32 v1, s22
	v_add_co_u32_e64 v4, s[2:3], s21, v4
	v_addc_co_u32_e64 v5, s[2:3], v1, v5, s[2:3]
	global_load_dword v1, v[4:5], off
	s_waitcnt vmcnt(0)
	v_and_b32_e32 v1, 1, v1
	v_cmp_eq_u32_e64 s[2:3], 1, v1
	s_and_b64 s[2:3], s[2:3], exec
.LBB92_4:
	s_or_b64 exec, exec, s[6:7]
	s_mul_i32 s6, s20, 10
	s_ashr_i32 s7, s6, 31
	s_lshl_b64 s[6:7], s[6:7], 3
	s_add_u32 s22, s8, s6
	s_mul_i32 s20, s12, 6
	s_addc_u32 s23, s9, s7
	s_ashr_i32 s21, s20, 31
	s_lshl_b64 s[20:21], s[20:21], 3
	s_add_u32 s28, s22, s20
	s_addc_u32 s29, s23, s21
	v_pk_mov_b32 v[4:5], 0, 0
	s_and_saveexec_b64 s[22:23], s[0:1]
	s_cbranch_execz .LBB92_6
; %bb.5:
	v_lshlrev_b64 v[4:5], 3, v[2:3]
	v_mov_b32_e32 v1, s29
	v_add_co_u32_e64 v4, s[0:1], s28, v4
	v_addc_co_u32_e64 v5, s[0:1], v1, v5, s[0:1]
	global_load_dwordx2 v[4:5], v[4:5], off
.LBB92_6:
	s_or_b64 exec, exec, s[22:23]
                                        ; implicit-def: $sgpr22_sgpr23
	s_and_saveexec_b64 s[0:1], vcc
	s_xor_b64 s[0:1], exec, s[0:1]
	s_cbranch_execz .LBB92_8
; %bb.7:
	s_mov_b64 s[22:23], 0
	s_or_saveexec_b64 s[0:1], s[0:1]
	v_pk_mov_b32 v[6:7], s[22:23], s[22:23] op_sel:[0,1]
	s_xor_b64 exec, exec, s[0:1]
	s_cbranch_execnz .LBB92_9
	s_branch .LBB92_10
.LBB92_8:
	s_or_saveexec_b64 s[0:1], s[0:1]
	v_pk_mov_b32 v[6:7], s[22:23], s[22:23] op_sel:[0,1]
	s_xor_b64 exec, exec, s[0:1]
	s_cbranch_execz .LBB92_10
.LBB92_9:
	s_lshl_b64 s[22:23], s[12:13], 4
	s_sub_u32 s13, s28, s22
	s_subb_u32 s22, s29, s23
	v_lshlrev_b64 v[6:7], 3, v[2:3]
	v_mov_b32_e32 v1, s22
	v_add_co_u32_e32 v6, vcc, s13, v6
	v_addc_co_u32_e32 v7, vcc, v1, v7, vcc
	global_load_dwordx2 v[6:7], v[6:7], off
.LBB92_10:
	s_or_b64 exec, exec, s[0:1]
	s_lshl_b32 s22, s27, 3
	s_add_u32 s0, s18, s14
	s_addc_u32 s1, s19, s15
	s_add_u32 s13, s0, s16
	s_addc_u32 s14, s1, s17
	;; [unrolled: 2-line block ×3, first 2 shown]
	s_lshl_b32 s17, s27, 2
	s_add_u32 s15, s6, s20
	v_lshlrev_b64 v[8:9], 2, v[2:3]
	s_addc_u32 s16, s7, s21
	v_mov_b32_e32 v1, s1
	v_add_co_u32_e32 v8, vcc, s0, v8
	s_add_u32 s0, s8, s15
	v_addc_co_u32_e32 v9, vcc, v1, v9, vcc
	v_lshlrev_b64 v[10:11], 3, v[2:3]
	s_addc_u32 s1, s9, s16
	v_lshlrev_b32_e32 v14, 3, v0
	s_mov_b32 s18, 0
	v_mov_b32_e32 v1, s1
	v_add_co_u32_e32 v10, vcc, s0, v10
	v_lshlrev_b32_e32 v15, 2, v0
	v_addc_co_u32_e32 v11, vcc, v1, v11, vcc
	v_or_b32_e32 v1, 0x8000, v15
	s_mov_b64 s[0:1], 0
	v_mov_b32_e32 v16, s18
	v_mov_b32_e32 v17, s18
	s_movk_i32 s18, 0xfff
	v_mov_b32_e32 v18, v14
	v_mov_b32_e32 v19, v0
	s_branch .LBB92_12
.LBB92_11:                              ;   in Loop: Header=BB92_12 Depth=1
	s_or_b64 exec, exec, s[6:7]
	v_add_co_u32_e32 v8, vcc, s17, v8
	v_addc_co_u32_e32 v9, vcc, v9, v16, vcc
	v_add_co_u32_e32 v10, vcc, s22, v10
	v_add_u32_e32 v19, s27, v19
	v_addc_co_u32_e32 v11, vcc, v11, v17, vcc
	v_cmp_lt_u32_e32 vcc, s18, v19
	s_waitcnt vmcnt(1)
	ds_write_b64 v18, v[12:13]
	s_waitcnt vmcnt(0)
	ds_write_b32 v1, v20
	v_add_u32_e32 v18, s22, v18
	s_or_b64 s[0:1], vcc, s[0:1]
	v_add_u32_e32 v1, s17, v1
	s_andn2_b64 exec, exec, s[0:1]
	s_cbranch_execz .LBB92_14
.LBB92_12:                              ; =>This Inner Loop Header: Depth=1
	v_add_u32_e32 v12, s26, v19
	v_cmp_gt_i32_e32 vcc, s12, v12
	v_pk_mov_b32 v[12:13], 0, 0
	v_mov_b32_e32 v20, 0
	s_and_saveexec_b64 s[6:7], vcc
	s_cbranch_execz .LBB92_11
; %bb.13:                               ;   in Loop: Header=BB92_12 Depth=1
	global_load_dwordx2 v[12:13], v[10:11], off
	global_load_dword v20, v[8:9], off
	s_branch .LBB92_11
.LBB92_14:
	s_or_b64 exec, exec, s[0:1]
	v_cmp_eq_u32_e32 vcc, 0, v2
	s_or_b64 s[0:1], vcc, s[4:5]
	s_and_b64 s[0:1], s[2:3], s[0:1]
	s_waitcnt lgkmcnt(0)
	s_barrier
	s_and_saveexec_b64 s[2:3], s[0:1]
	s_cbranch_execz .LBB92_22
; %bb.15:
	ds_read_b32 v1, v15 offset:32776
	v_add_u32_e32 v10, 2, v2
	v_cmp_gt_i32_e32 vcc, s12, v10
	s_waitcnt lgkmcnt(0)
	v_and_b32_e32 v1, 2, v1
	v_cmp_ne_u32_e64 s[0:1], 0, v1
	s_and_b64 s[0:1], vcc, s[0:1]
	s_and_saveexec_b64 s[2:3], s[0:1]
	s_cbranch_execz .LBB92_21
; %bb.16:
	v_ashrrev_i32_e32 v11, 31, v10
	s_add_u32 s0, s10, s13
	v_lshlrev_b64 v[8:9], 2, v[10:11]
	s_addc_u32 s1, s11, s14
	v_mov_b32_e32 v1, s1
	v_add_co_u32_e32 v3, vcc, s0, v8
	v_addc_co_u32_e32 v1, vcc, v1, v9, vcc
	v_add_co_u32_e32 v8, vcc, 4, v3
	s_add_u32 s0, s8, s15
	v_addc_co_u32_e32 v1, vcc, 0, v1, vcc
	v_lshlrev_b64 v[10:11], 3, v[10:11]
	s_addc_u32 s1, s9, s16
	v_mov_b32_e32 v3, s1
	v_add_co_u32_e32 v10, vcc, s0, v10
	s_mov_b64 s[0:1], src_shared_base
	v_addc_co_u32_e32 v9, vcc, v3, v11, vcc
	v_add_u32_e32 v11, 0x800c, v15
	v_add_u32_e32 v14, 16, v14
	s_mov_b64 s[4:5], 0
	s_movk_i32 s6, 0x1000
	v_mov_b32_e32 v15, s1
	s_branch .LBB92_18
.LBB92_17:                              ;   in Loop: Header=BB92_18 Depth=1
	s_or_b64 exec, exec, s[0:1]
	v_add_u32_e32 v3, 3, v0
	v_cmp_gt_i32_e32 vcc, s6, v3
	v_cndmask_b32_e32 v13, v1, v15, vcc
	v_cndmask_b32_e32 v12, v8, v11, vcc
	flat_load_dword v3, v[12:13]
	v_add_co_u32_e32 v10, vcc, 8, v10
	v_add_co_u32_e64 v8, s[0:1], 4, v8
	v_add_u32_e32 v12, 3, v16
	v_addc_co_u32_e32 v9, vcc, 0, v9, vcc
	v_addc_co_u32_e64 v1, s[0:1], 0, v1, s[0:1]
	v_cmp_le_i32_e32 vcc, s12, v12
	v_add_u32_e32 v0, 1, v0
	v_add_u32_e32 v11, 4, v11
	;; [unrolled: 1-line block ×3, first 2 shown]
	s_waitcnt vmcnt(0) lgkmcnt(0)
	v_and_b32_e32 v3, 2, v3
	v_cmp_eq_u32_e64 s[0:1], 0, v3
	s_or_b64 s[0:1], vcc, s[0:1]
	s_and_b64 s[0:1], exec, s[0:1]
	s_or_b64 s[4:5], s[0:1], s[4:5]
	s_andn2_b64 exec, exec, s[4:5]
	s_cbranch_execz .LBB92_20
.LBB92_18:                              ; =>This Inner Loop Header: Depth=1
	v_add_u32_e32 v3, 2, v0
	v_cmp_gt_i32_e32 vcc, s6, v3
	v_cndmask_b32_e32 v13, v9, v15, vcc
	v_cndmask_b32_e32 v12, v10, v14, vcc
	flat_load_dwordx2 v[12:13], v[12:13]
	v_add_u32_e32 v16, s26, v0
	s_waitcnt vmcnt(0) lgkmcnt(0)
	v_add_f64 v[18:19], v[12:13], -v[4:5]
	v_cmp_gt_f64_e32 vcc, v[18:19], v[6:7]
	s_and_saveexec_b64 s[0:1], vcc
	s_cbranch_execz .LBB92_17
; %bb.19:                               ;   in Loop: Header=BB92_18 Depth=1
	v_ashrrev_i32_e32 v3, 31, v2
	v_lshlrev_b64 v[4:5], 2, v[2:3]
	v_mov_b32_e32 v3, s25
	v_add_co_u32_e32 v4, vcc, s24, v4
	v_sub_u32_e32 v2, v16, v2
	v_add_u32_e32 v17, 2, v16
	v_addc_co_u32_e32 v5, vcc, v3, v5, vcc
	v_add_u32_e32 v2, 1, v2
	global_store_dword v[4:5], v2, off
	v_pk_mov_b32 v[4:5], v[12:13], v[12:13] op_sel:[0,1]
	v_mov_b32_e32 v2, v17
	s_branch .LBB92_17
.LBB92_20:
	s_or_b64 exec, exec, s[4:5]
	v_add3_u32 v10, s26, v0, 2
	v_ashrrev_i32_e32 v3, 31, v2
.LBB92_21:
	s_or_b64 exec, exec, s[2:3]
	v_lshlrev_b64 v[0:1], 2, v[2:3]
	v_xad_u32 v4, v2, -1, v10
	v_mov_b32_e32 v2, s25
	v_add_co_u32_e32 v0, vcc, s24, v0
	v_addc_co_u32_e32 v1, vcc, v2, v1, vcc
	global_store_dword v[0:1], v4, off
.LBB92_22:
	s_endpgm
	.section	.rodata,"a",@progbits
	.p2align	6, 0x0
	.amdhsa_kernel _ZN9rocsolver6v33100L38stedc_mergePrepare_DeflateCount_kernelIdEEviiPT_lS3_Pi
		.amdhsa_group_segment_fixed_size 49152
		.amdhsa_private_segment_fixed_size 0
		.amdhsa_kernarg_size 296
		.amdhsa_user_sgpr_count 6
		.amdhsa_user_sgpr_private_segment_buffer 1
		.amdhsa_user_sgpr_dispatch_ptr 0
		.amdhsa_user_sgpr_queue_ptr 0
		.amdhsa_user_sgpr_kernarg_segment_ptr 1
		.amdhsa_user_sgpr_dispatch_id 0
		.amdhsa_user_sgpr_flat_scratch_init 0
		.amdhsa_user_sgpr_kernarg_preload_length 0
		.amdhsa_user_sgpr_kernarg_preload_offset 0
		.amdhsa_user_sgpr_private_segment_size 0
		.amdhsa_uses_dynamic_stack 0
		.amdhsa_system_sgpr_private_segment_wavefront_offset 0
		.amdhsa_system_sgpr_workgroup_id_x 1
		.amdhsa_system_sgpr_workgroup_id_y 1
		.amdhsa_system_sgpr_workgroup_id_z 0
		.amdhsa_system_sgpr_workgroup_info 0
		.amdhsa_system_vgpr_workitem_id 0
		.amdhsa_next_free_vgpr 21
		.amdhsa_next_free_sgpr 30
		.amdhsa_accum_offset 24
		.amdhsa_reserve_vcc 1
		.amdhsa_reserve_flat_scratch 0
		.amdhsa_float_round_mode_32 0
		.amdhsa_float_round_mode_16_64 0
		.amdhsa_float_denorm_mode_32 3
		.amdhsa_float_denorm_mode_16_64 3
		.amdhsa_dx10_clamp 1
		.amdhsa_ieee_mode 1
		.amdhsa_fp16_overflow 0
		.amdhsa_tg_split 0
		.amdhsa_exception_fp_ieee_invalid_op 0
		.amdhsa_exception_fp_denorm_src 0
		.amdhsa_exception_fp_ieee_div_zero 0
		.amdhsa_exception_fp_ieee_overflow 0
		.amdhsa_exception_fp_ieee_underflow 0
		.amdhsa_exception_fp_ieee_inexact 0
		.amdhsa_exception_int_div_zero 0
	.end_amdhsa_kernel
	.section	.text._ZN9rocsolver6v33100L38stedc_mergePrepare_DeflateCount_kernelIdEEviiPT_lS3_Pi,"axG",@progbits,_ZN9rocsolver6v33100L38stedc_mergePrepare_DeflateCount_kernelIdEEviiPT_lS3_Pi,comdat
.Lfunc_end92:
	.size	_ZN9rocsolver6v33100L38stedc_mergePrepare_DeflateCount_kernelIdEEviiPT_lS3_Pi, .Lfunc_end92-_ZN9rocsolver6v33100L38stedc_mergePrepare_DeflateCount_kernelIdEEviiPT_lS3_Pi
                                        ; -- End function
	.section	.AMDGPU.csdata,"",@progbits
; Kernel info:
; codeLenInByte = 1184
; NumSgprs: 34
; NumVgprs: 21
; NumAgprs: 0
; TotalNumVgprs: 21
; ScratchSize: 0
; MemoryBound: 0
; FloatMode: 240
; IeeeMode: 1
; LDSByteSize: 49152 bytes/workgroup (compile time only)
; SGPRBlocks: 4
; VGPRBlocks: 2
; NumSGPRsForWavesPerEU: 34
; NumVGPRsForWavesPerEU: 21
; AccumOffset: 24
; Occupancy: 2
; WaveLimiterHint : 0
; COMPUTE_PGM_RSRC2:SCRATCH_EN: 0
; COMPUTE_PGM_RSRC2:USER_SGPR: 6
; COMPUTE_PGM_RSRC2:TRAP_HANDLER: 0
; COMPUTE_PGM_RSRC2:TGID_X_EN: 1
; COMPUTE_PGM_RSRC2:TGID_Y_EN: 1
; COMPUTE_PGM_RSRC2:TGID_Z_EN: 0
; COMPUTE_PGM_RSRC2:TIDIG_COMP_CNT: 0
; COMPUTE_PGM_RSRC3_GFX90A:ACCUM_OFFSET: 5
; COMPUTE_PGM_RSRC3_GFX90A:TG_SPLIT: 0
	.section	.text._ZN9rocsolver6v33100L38stedc_mergePrepare_DeflateApply_kernelIdEEviiPT_lS3_Pi,"axG",@progbits,_ZN9rocsolver6v33100L38stedc_mergePrepare_DeflateApply_kernelIdEEviiPT_lS3_Pi,comdat
	.globl	_ZN9rocsolver6v33100L38stedc_mergePrepare_DeflateApply_kernelIdEEviiPT_lS3_Pi ; -- Begin function _ZN9rocsolver6v33100L38stedc_mergePrepare_DeflateApply_kernelIdEEviiPT_lS3_Pi
	.p2align	8
	.type	_ZN9rocsolver6v33100L38stedc_mergePrepare_DeflateApply_kernelIdEEviiPT_lS3_Pi,@function
_ZN9rocsolver6v33100L38stedc_mergePrepare_DeflateApply_kernelIdEEviiPT_lS3_Pi: ; @_ZN9rocsolver6v33100L38stedc_mergePrepare_DeflateApply_kernelIdEEviiPT_lS3_Pi
; %bb.0:
	s_load_dword s8, s[4:5], 0x4
	s_load_dwordx4 s[0:3], s[4:5], 0x18
	s_load_dword s16, s[4:5], 0x34
                                        ; implicit-def: $sgpr18
	s_waitcnt lgkmcnt(0)
	s_mul_i32 s17, s7, s8
	s_mul_i32 s4, s17, 13
	s_ashr_i32 s5, s4, 31
	s_lshl_b64 s[10:11], s[4:5], 2
	s_add_u32 s7, s2, s10
	s_addc_u32 s9, s3, s11
	s_lshl_b32 s4, s8, 3
	s_ashr_i32 s5, s4, 31
	s_lshl_b64 s[12:13], s[4:5], 2
	s_add_u32 s14, s7, s12
	s_addc_u32 s20, s9, s13
	s_ashr_i32 s9, s8, 31
	s_lshl_b64 s[4:5], s[8:9], 3
	s_add_u32 s15, s14, s4
	s_addc_u32 s21, s20, s5
	s_and_b32 s19, s16, 0xffff
	s_mul_i32 s16, s6, s19
	v_add_u32_e32 v2, s16, v0
	v_cmp_le_i32_e32 vcc, s8, v2
	v_ashrrev_i32_e32 v3, 31, v2
	s_and_saveexec_b64 s[6:7], vcc
	s_xor_b64 s[6:7], exec, s[6:7]
; %bb.1:
	s_mov_b32 s18, 0
; %bb.2:
	s_or_saveexec_b64 s[6:7], s[6:7]
	v_mov_b32_e32 v16, s18
	s_xor_b64 exec, exec, s[6:7]
	s_cbranch_execz .LBB93_4
; %bb.3:
	s_lshl_b64 s[22:23], s[8:9], 2
	s_sub_u32 s9, s15, s22
	s_subb_u32 s18, s21, s23
	v_lshlrev_b64 v[4:5], 2, v[2:3]
	v_mov_b32_e32 v1, s18
	v_add_co_u32_e32 v4, vcc, s9, v4
	v_addc_co_u32_e32 v5, vcc, v1, v5, vcc
	global_load_dword v16, v[4:5], off
.LBB93_4:
	s_or_b64 exec, exec, s[6:7]
	s_mul_i32 s6, s17, 10
	s_ashr_i32 s7, s6, 31
	s_lshl_b64 s[6:7], s[6:7], 3
	s_add_u32 s17, s0, s6
	s_addc_u32 s18, s1, s7
	s_lshl_b32 s6, s19, 2
	s_add_u32 s0, s4, s10
	s_addc_u32 s1, s5, s11
	s_add_u32 s0, s0, s12
	s_addc_u32 s1, s1, s13
	s_add_u32 s0, s2, s0
	v_lshlrev_b64 v[2:3], 2, v[2:3]
	s_addc_u32 s1, s3, s1
	v_mov_b32_e32 v1, s1
	v_add_co_u32_e32 v2, vcc, s0, v2
	v_lshlrev_b32_e32 v17, 2, v0
	v_addc_co_u32_e32 v3, vcc, v1, v3, vcc
	s_mov_b32 s2, 0
	v_lshlrev_b32_e32 v1, 3, v0
	v_or_b32_e32 v8, 0x8000, v17
	s_lshl_b32 s7, s19, 3
	s_mov_b64 s[0:1], 0
	v_mov_b32_e32 v9, s2
	s_movk_i32 s9, 0xfff
	v_mov_b32_e32 v10, v1
	v_mov_b32_e32 v11, v0
	s_branch .LBB93_6
.LBB93_5:                               ;   in Loop: Header=BB93_6 Depth=1
	s_or_b64 exec, exec, s[2:3]
	v_add_co_u32_e32 v2, vcc, s6, v2
	v_add_u32_e32 v11, s19, v11
	v_addc_co_u32_e32 v3, vcc, v3, v9, vcc
	v_cmp_lt_u32_e32 vcc, s9, v11
	ds_write_b32 v8, v4
	s_waitcnt vmcnt(0)
	ds_write_b64 v10, v[6:7]
	v_add_u32_e32 v8, s6, v8
	s_or_b64 s[0:1], vcc, s[0:1]
	v_add_u32_e32 v10, s7, v10
	s_andn2_b64 exec, exec, s[0:1]
	s_cbranch_execz .LBB93_8
.LBB93_6:                               ; =>This Inner Loop Header: Depth=1
	v_add_u32_e32 v4, s16, v11
	v_cmp_gt_i32_e32 vcc, s8, v4
	v_mov_b32_e32 v4, 0
	v_pk_mov_b32 v[6:7], 0, 0
	s_and_saveexec_b64 s[2:3], vcc
	s_cbranch_execz .LBB93_5
; %bb.7:                                ;   in Loop: Header=BB93_6 Depth=1
	global_load_dword v4, v[2:3], off
	v_mov_b32_e32 v12, s18
	s_waitcnt vmcnt(0)
	v_ashrrev_i32_e32 v5, 31, v4
	v_lshlrev_b64 v[6:7], 3, v[4:5]
	v_add_co_u32_e32 v6, vcc, s17, v6
	v_addc_co_u32_e32 v7, vcc, v12, v7, vcc
	global_load_dwordx2 v[6:7], v[6:7], off
	s_branch .LBB93_5
.LBB93_8:
	s_or_b64 exec, exec, s[0:1]
	v_cmp_ne_u32_e32 vcc, 0, v16
	s_waitcnt lgkmcnt(0)
	s_barrier
	s_and_saveexec_b64 s[0:1], vcc
	s_cbranch_execz .LBB93_24
; %bb.9:
	v_lshlrev_b32_e32 v2, 3, v0
	ds_read_b64 v[2:3], v2
	v_cmp_lt_i32_e32 vcc, 0, v16
	s_and_saveexec_b64 s[2:3], vcc
	s_cbranch_execz .LBB93_23
; %bb.10:
	s_lshl_b32 s0, s8, 1
	s_ashr_i32 s1, s0, 31
	s_lshl_b64 s[0:1], s[0:1], 3
	s_add_u32 s12, s17, s0
	s_addc_u32 s8, s18, s1
	s_add_u32 s13, s12, s4
	s_addc_u32 s9, s8, s5
	v_add_u32_e32 v20, 1, v0
	s_mov_b64 s[0:1], src_shared_base
	s_mov_b32 s6, 0
	v_mov_b32_e32 v0, 0
	v_add_u32_e32 v18, 8, v1
	v_add_u32_e32 v19, 0x8004, v17
	s_mov_b64 s[4:5], 0
	s_movk_i32 s19, 0x1000
	v_mov_b32_e32 v21, s21
	v_mov_b32_e32 v22, s1
	;; [unrolled: 1-line block ×3, first 2 shown]
	s_brev_b32 s7, 8
	v_mov_b32_e32 v24, 0x260
	v_mov_b32_e32 v25, s20
	;; [unrolled: 1-line block ×6, first 2 shown]
	s_branch .LBB93_13
.LBB93_11:                              ;   in Loop: Header=BB93_13 Depth=1
	s_or_b64 exec, exec, s[8:9]
.LBB93_12:                              ;   in Loop: Header=BB93_13 Depth=1
	s_or_b64 exec, exec, s[0:1]
	v_lshlrev_b64 v[8:9], 2, v[8:9]
	v_add_co_u32_e32 v8, vcc, s14, v8
	v_addc_co_u32_e32 v9, vcc, v25, v9, vcc
	global_store_dword v[8:9], v0, off
	global_store_dwordx2 v[6:7], v[0:1], off
	v_add_co_u32_e32 v6, vcc, s12, v4
	v_addc_co_u32_e32 v7, vcc, v26, v5, vcc
	v_add_co_u32_e32 v4, vcc, s13, v4
	v_addc_co_u32_e32 v5, vcc, v27, v5, vcc
	v_add_u32_e32 v16, -1, v16
	v_cmp_eq_u32_e32 vcc, 0, v16
	v_add_u32_e32 v18, 8, v18
	v_add_u32_e32 v19, 4, v19
	s_or_b64 s[4:5], vcc, s[4:5]
	v_add_u32_e32 v20, 1, v20
	global_store_dwordx2 v[6:7], v[14:15], off
	global_store_dwordx2 v[4:5], v[12:13], off
	s_andn2_b64 exec, exec, s[4:5]
	s_cbranch_execz .LBB93_22
.LBB93_13:                              ; =>This Inner Loop Header: Depth=1
	v_add_u32_e32 v4, s16, v20
	v_ashrrev_i32_e32 v5, 31, v4
	v_lshlrev_b64 v[4:5], 2, v[4:5]
	v_add_co_u32_e32 v4, vcc, s15, v4
	v_addc_co_u32_e32 v5, vcc, v21, v5, vcc
	v_cmp_gt_i32_e32 vcc, s19, v20
	v_cndmask_b32_e32 v5, v5, v22, vcc
	v_cndmask_b32_e32 v4, v4, v19, vcc
	flat_load_dword v8, v[4:5]
	v_mov_b32_e32 v14, 0
	v_pk_mov_b32 v[12:13], 0, 0
	v_mov_b32_e32 v15, 0x3ff00000
	s_waitcnt vmcnt(0) lgkmcnt(0)
	v_ashrrev_i32_e32 v9, 31, v8
	v_lshlrev_b64 v[4:5], 3, v[8:9]
	v_add_co_u32_e64 v6, s[0:1], s17, v4
	v_addc_co_u32_e64 v7, s[0:1], v23, v5, s[0:1]
	v_cndmask_b32_e32 v11, v7, v22, vcc
	v_cndmask_b32_e32 v10, v6, v18, vcc
	flat_load_dwordx2 v[10:11], v[10:11]
	s_waitcnt vmcnt(0) lgkmcnt(0)
	v_cmp_neq_f64_e32 vcc, 0, v[10:11]
	s_and_saveexec_b64 s[0:1], vcc
	s_cbranch_execz .LBB93_12
; %bb.14:                               ;   in Loop: Header=BB93_13 Depth=1
	v_cmp_neq_f64_e32 vcc, 0, v[2:3]
                                        ; implicit-def: $vgpr14_vgpr15
                                        ; implicit-def: $vgpr12_vgpr13
	s_and_saveexec_b64 s[8:9], vcc
	s_xor_b64 s[8:9], exec, s[8:9]
	s_cbranch_execz .LBB93_20
; %bb.15:                               ;   in Loop: Header=BB93_13 Depth=1
	v_cmp_ngt_f64_e64 s[10:11], |v[10:11]|, |v[2:3]|
                                        ; implicit-def: $vgpr14_vgpr15
                                        ; implicit-def: $vgpr12_vgpr13
	s_and_saveexec_b64 s[20:21], s[10:11]
	s_xor_b64 s[10:11], exec, s[20:21]
	s_cbranch_execz .LBB93_17
; %bb.16:                               ;   in Loop: Header=BB93_13 Depth=1
	v_div_scale_f64 v[12:13], s[20:21], v[2:3], v[2:3], -v[10:11]
	v_rcp_f64_e32 v[14:15], v[12:13]
	v_div_scale_f64 v[30:31], vcc, -v[10:11], v[2:3], -v[10:11]
	v_fma_f64 v[32:33], -v[12:13], v[14:15], 1.0
	v_fmac_f64_e32 v[14:15], v[14:15], v[32:33]
	v_fma_f64 v[32:33], -v[12:13], v[14:15], 1.0
	v_fmac_f64_e32 v[14:15], v[14:15], v[32:33]
	v_mul_f64 v[32:33], v[30:31], v[14:15]
	v_fma_f64 v[12:13], -v[12:13], v[32:33], v[30:31]
	v_div_fmas_f64 v[12:13], v[12:13], v[14:15], v[32:33]
	v_div_fixup_f64 v[12:13], v[12:13], v[2:3], -v[10:11]
	v_fma_f64 v[14:15], v[12:13], v[12:13], 1.0
	v_cmp_gt_f64_e32 vcc, s[6:7], v[14:15]
	v_cndmask_b32_e64 v29, 0, 1, vcc
	v_lshlrev_b32_e32 v29, 8, v29
	v_ldexp_f64 v[14:15], v[14:15], v29
	v_rsq_f64_e32 v[30:31], v[14:15]
	v_cndmask_b32_e32 v29, 0, v28, vcc
	v_cmp_class_f64_e32 vcc, v[14:15], v24
	v_mul_f64 v[32:33], v[14:15], v[30:31]
	v_mul_f64 v[30:31], v[30:31], 0.5
	v_fma_f64 v[34:35], -v[30:31], v[32:33], 0.5
	v_fmac_f64_e32 v[32:33], v[32:33], v[34:35]
	v_fma_f64 v[36:37], -v[32:33], v[32:33], v[14:15]
	v_fmac_f64_e32 v[30:31], v[30:31], v[34:35]
	v_fmac_f64_e32 v[32:33], v[36:37], v[30:31]
	v_fma_f64 v[34:35], -v[32:33], v[32:33], v[14:15]
	v_fmac_f64_e32 v[32:33], v[34:35], v[30:31]
	v_ldexp_f64 v[30:31], v[32:33], v29
	v_cndmask_b32_e32 v15, v31, v15, vcc
	v_cndmask_b32_e32 v14, v30, v14, vcc
	v_div_scale_f64 v[30:31], s[20:21], v[14:15], v[14:15], 1.0
	v_rcp_f64_e32 v[32:33], v[30:31]
	v_fma_f64 v[34:35], -v[30:31], v[32:33], 1.0
	v_fmac_f64_e32 v[32:33], v[32:33], v[34:35]
	v_fma_f64 v[34:35], -v[30:31], v[32:33], 1.0
	v_fmac_f64_e32 v[32:33], v[32:33], v[34:35]
	v_div_scale_f64 v[34:35], vcc, 1.0, v[14:15], 1.0
	v_mul_f64 v[36:37], v[34:35], v[32:33]
	v_fma_f64 v[30:31], -v[30:31], v[36:37], v[34:35]
	s_nop 1
	v_div_fmas_f64 v[30:31], v[30:31], v[32:33], v[36:37]
	v_div_fixup_f64 v[14:15], v[30:31], v[14:15], 1.0
	v_mul_f64 v[12:13], v[12:13], v[14:15]
.LBB93_17:                              ;   in Loop: Header=BB93_13 Depth=1
	s_andn2_saveexec_b64 s[10:11], s[10:11]
	s_cbranch_execz .LBB93_19
; %bb.18:                               ;   in Loop: Header=BB93_13 Depth=1
	v_div_scale_f64 v[12:13], s[20:21], v[10:11], v[10:11], -v[2:3]
	v_rcp_f64_e32 v[14:15], v[12:13]
	v_div_scale_f64 v[30:31], vcc, -v[2:3], v[10:11], -v[2:3]
	v_fma_f64 v[32:33], -v[12:13], v[14:15], 1.0
	v_fmac_f64_e32 v[14:15], v[14:15], v[32:33]
	v_fma_f64 v[32:33], -v[12:13], v[14:15], 1.0
	v_fmac_f64_e32 v[14:15], v[14:15], v[32:33]
	v_mul_f64 v[32:33], v[30:31], v[14:15]
	v_fma_f64 v[12:13], -v[12:13], v[32:33], v[30:31]
	v_div_fmas_f64 v[12:13], v[12:13], v[14:15], v[32:33]
	v_div_fixup_f64 v[14:15], v[12:13], v[10:11], -v[2:3]
	v_fma_f64 v[12:13], v[14:15], v[14:15], 1.0
	v_cmp_gt_f64_e32 vcc, s[6:7], v[12:13]
	v_cndmask_b32_e64 v29, 0, 1, vcc
	v_lshlrev_b32_e32 v29, 8, v29
	v_ldexp_f64 v[12:13], v[12:13], v29
	v_rsq_f64_e32 v[30:31], v[12:13]
	v_cndmask_b32_e32 v29, 0, v28, vcc
	v_cmp_class_f64_e32 vcc, v[12:13], v24
	v_mul_f64 v[32:33], v[12:13], v[30:31]
	v_mul_f64 v[30:31], v[30:31], 0.5
	v_fma_f64 v[34:35], -v[30:31], v[32:33], 0.5
	v_fmac_f64_e32 v[32:33], v[32:33], v[34:35]
	v_fma_f64 v[36:37], -v[32:33], v[32:33], v[12:13]
	v_fmac_f64_e32 v[30:31], v[30:31], v[34:35]
	v_fmac_f64_e32 v[32:33], v[36:37], v[30:31]
	v_fma_f64 v[34:35], -v[32:33], v[32:33], v[12:13]
	v_fmac_f64_e32 v[32:33], v[34:35], v[30:31]
	v_ldexp_f64 v[30:31], v[32:33], v29
	v_cndmask_b32_e32 v13, v31, v13, vcc
	v_cndmask_b32_e32 v12, v30, v12, vcc
	v_div_scale_f64 v[30:31], s[20:21], v[12:13], v[12:13], 1.0
	v_rcp_f64_e32 v[32:33], v[30:31]
	v_fma_f64 v[34:35], -v[30:31], v[32:33], 1.0
	v_fmac_f64_e32 v[32:33], v[32:33], v[34:35]
	v_fma_f64 v[34:35], -v[30:31], v[32:33], 1.0
	v_fmac_f64_e32 v[32:33], v[32:33], v[34:35]
	v_div_scale_f64 v[34:35], vcc, 1.0, v[12:13], 1.0
	v_mul_f64 v[36:37], v[34:35], v[32:33]
	v_fma_f64 v[30:31], -v[30:31], v[36:37], v[34:35]
	s_nop 1
	v_div_fmas_f64 v[30:31], v[30:31], v[32:33], v[36:37]
	v_div_fixup_f64 v[12:13], v[30:31], v[12:13], 1.0
	v_mul_f64 v[14:15], v[14:15], v[12:13]
.LBB93_19:                              ;   in Loop: Header=BB93_13 Depth=1
	s_or_b64 exec, exec, s[10:11]
	v_mul_f64 v[10:11], v[10:11], v[12:13]
	v_fma_f64 v[2:3], v[2:3], v[14:15], -v[10:11]
                                        ; implicit-def: $vgpr10_vgpr11
.LBB93_20:                              ;   in Loop: Header=BB93_13 Depth=1
	s_andn2_saveexec_b64 s[8:9], s[8:9]
	s_cbranch_execz .LBB93_11
; %bb.21:                               ;   in Loop: Header=BB93_13 Depth=1
	v_xor_b32_e32 v11, 0x80000000, v11
	v_mov_b32_e32 v12, 0
	v_pk_mov_b32 v[14:15], 0, 0
	v_mov_b32_e32 v13, 0x3ff00000
	v_pk_mov_b32 v[2:3], v[10:11], v[10:11] op_sel:[0,1]
	s_branch .LBB93_11
.LBB93_22:
	s_or_b64 exec, exec, s[4:5]
.LBB93_23:
	s_or_b64 exec, exec, s[2:3]
	ds_read_b32 v0, v17 offset:32768
	v_mov_b32_e32 v4, s18
	s_waitcnt lgkmcnt(0)
	v_ashrrev_i32_e32 v1, 31, v0
	v_lshlrev_b64 v[0:1], 3, v[0:1]
	v_add_co_u32_e32 v0, vcc, s17, v0
	v_addc_co_u32_e32 v1, vcc, v4, v1, vcc
	global_store_dwordx2 v[0:1], v[2:3], off
.LBB93_24:
	s_endpgm
	.section	.rodata,"a",@progbits
	.p2align	6, 0x0
	.amdhsa_kernel _ZN9rocsolver6v33100L38stedc_mergePrepare_DeflateApply_kernelIdEEviiPT_lS3_Pi
		.amdhsa_group_segment_fixed_size 49152
		.amdhsa_private_segment_fixed_size 0
		.amdhsa_kernarg_size 296
		.amdhsa_user_sgpr_count 6
		.amdhsa_user_sgpr_private_segment_buffer 1
		.amdhsa_user_sgpr_dispatch_ptr 0
		.amdhsa_user_sgpr_queue_ptr 0
		.amdhsa_user_sgpr_kernarg_segment_ptr 1
		.amdhsa_user_sgpr_dispatch_id 0
		.amdhsa_user_sgpr_flat_scratch_init 0
		.amdhsa_user_sgpr_kernarg_preload_length 0
		.amdhsa_user_sgpr_kernarg_preload_offset 0
		.amdhsa_user_sgpr_private_segment_size 0
		.amdhsa_uses_dynamic_stack 0
		.amdhsa_system_sgpr_private_segment_wavefront_offset 0
		.amdhsa_system_sgpr_workgroup_id_x 1
		.amdhsa_system_sgpr_workgroup_id_y 1
		.amdhsa_system_sgpr_workgroup_id_z 0
		.amdhsa_system_sgpr_workgroup_info 0
		.amdhsa_system_vgpr_workitem_id 0
		.amdhsa_next_free_vgpr 38
		.amdhsa_next_free_sgpr 24
		.amdhsa_accum_offset 40
		.amdhsa_reserve_vcc 1
		.amdhsa_reserve_flat_scratch 0
		.amdhsa_float_round_mode_32 0
		.amdhsa_float_round_mode_16_64 0
		.amdhsa_float_denorm_mode_32 3
		.amdhsa_float_denorm_mode_16_64 3
		.amdhsa_dx10_clamp 1
		.amdhsa_ieee_mode 1
		.amdhsa_fp16_overflow 0
		.amdhsa_tg_split 0
		.amdhsa_exception_fp_ieee_invalid_op 0
		.amdhsa_exception_fp_denorm_src 0
		.amdhsa_exception_fp_ieee_div_zero 0
		.amdhsa_exception_fp_ieee_overflow 0
		.amdhsa_exception_fp_ieee_underflow 0
		.amdhsa_exception_fp_ieee_inexact 0
		.amdhsa_exception_int_div_zero 0
	.end_amdhsa_kernel
	.section	.text._ZN9rocsolver6v33100L38stedc_mergePrepare_DeflateApply_kernelIdEEviiPT_lS3_Pi,"axG",@progbits,_ZN9rocsolver6v33100L38stedc_mergePrepare_DeflateApply_kernelIdEEviiPT_lS3_Pi,comdat
.Lfunc_end93:
	.size	_ZN9rocsolver6v33100L38stedc_mergePrepare_DeflateApply_kernelIdEEviiPT_lS3_Pi, .Lfunc_end93-_ZN9rocsolver6v33100L38stedc_mergePrepare_DeflateApply_kernelIdEEviiPT_lS3_Pi
                                        ; -- End function
	.section	.AMDGPU.csdata,"",@progbits
; Kernel info:
; codeLenInByte = 1560
; NumSgprs: 28
; NumVgprs: 38
; NumAgprs: 0
; TotalNumVgprs: 38
; ScratchSize: 0
; MemoryBound: 0
; FloatMode: 240
; IeeeMode: 1
; LDSByteSize: 49152 bytes/workgroup (compile time only)
; SGPRBlocks: 3
; VGPRBlocks: 4
; NumSGPRsForWavesPerEU: 28
; NumVGPRsForWavesPerEU: 38
; AccumOffset: 40
; Occupancy: 2
; WaveLimiterHint : 1
; COMPUTE_PGM_RSRC2:SCRATCH_EN: 0
; COMPUTE_PGM_RSRC2:USER_SGPR: 6
; COMPUTE_PGM_RSRC2:TRAP_HANDLER: 0
; COMPUTE_PGM_RSRC2:TGID_X_EN: 1
; COMPUTE_PGM_RSRC2:TGID_Y_EN: 1
; COMPUTE_PGM_RSRC2:TGID_Z_EN: 0
; COMPUTE_PGM_RSRC2:TIDIG_COMP_CNT: 0
; COMPUTE_PGM_RSRC3_GFX90A:ACCUM_OFFSET: 9
; COMPUTE_PGM_RSRC3_GFX90A:TG_SPLIT: 0
	.section	.text._ZN9rocsolver6v33100L24stedc_mergeRotate_kernelIdEEviiPT_iilS3_Pi,"axG",@progbits,_ZN9rocsolver6v33100L24stedc_mergeRotate_kernelIdEEviiPT_iilS3_Pi,comdat
	.globl	_ZN9rocsolver6v33100L24stedc_mergeRotate_kernelIdEEviiPT_iilS3_Pi ; -- Begin function _ZN9rocsolver6v33100L24stedc_mergeRotate_kernelIdEEviiPT_iilS3_Pi
	.p2align	8
	.type	_ZN9rocsolver6v33100L24stedc_mergeRotate_kernelIdEEviiPT_iilS3_Pi,@function
_ZN9rocsolver6v33100L24stedc_mergeRotate_kernelIdEEviiPT_iilS3_Pi: ; @_ZN9rocsolver6v33100L24stedc_mergeRotate_kernelIdEEviiPT_iilS3_Pi
; %bb.0:
	s_load_dword s34, s[4:5], 0x4
	s_load_dwordx2 s[2:3], s[4:5], 0x28
	s_load_dword s1, s[4:5], 0x3c
	s_mov_b32 s0, s6
	s_waitcnt lgkmcnt(0)
	s_mul_i32 s6, s7, s34
	s_mul_i32 s8, s6, 13
	s_ashr_i32 s9, s8, 31
	s_lshl_b64 s[8:9], s[8:9], 2
	s_add_u32 s6, s2, s8
	s_mul_i32 s2, s34, 10
	s_addc_u32 s10, s3, s9
	s_ashr_i32 s3, s2, 31
	s_lshl_b64 s[8:9], s[2:3], 2
	s_add_u32 s3, s6, s8
	s_addc_u32 s6, s10, s9
	s_ashr_i32 s35, s34, 31
	s_lshl_b64 s[8:9], s[34:35], 2
	s_sub_u32 s8, s3, s8
	s_subb_u32 s9, s6, s9
	s_and_b32 s33, s1, 0xffff
	s_lshl_b32 s46, s33, 4
	v_cvt_f32_u32_e32 v1, s46
	s_ashr_i32 s1, s0, 31
	s_lshl_b64 s[0:1], s[0:1], 2
	s_add_u32 s8, s8, s0
	v_rcp_iflag_f32_e32 v1, v1
	s_addc_u32 s9, s9, s1
	s_load_dword s47, s[8:9], 0x0
	v_mul_f32_e32 v1, 0x4f7ffffe, v1
	v_cvt_u32_f32_e32 v1, v1
	s_waitcnt lgkmcnt(0)
	s_cmp_eq_u32 s47, 0
	v_readfirstlane_b32 s8, v1
	s_cbranch_scc1 .LBB94_136
; %bb.1:
	s_sub_i32 s11, 0, s46
	s_mul_i32 s11, s11, s8
	s_add_i32 s9, s34, -1
	s_mul_hi_u32 s11, s8, s11
	s_ashr_i32 s10, s9, 31
	s_abs_i32 s9, s9
	s_add_i32 s8, s8, s11
	s_mul_hi_u32 s8, s9, s8
	s_mul_i32 s11, s8, s46
	s_sub_i32 s9, s9, s11
	s_add_i32 s11, s8, 1
	s_sub_i32 s12, s9, s46
	s_cmp_ge_u32 s9, s46
	s_cselect_b32 s8, s11, s8
	s_cselect_b32 s9, s12, s9
	s_add_i32 s11, s8, 1
	s_cmp_ge_u32 s9, s46
	s_cselect_b32 s8, s11, s8
	s_xor_b32 s8, s8, s10
	s_sub_i32 s48, s8, s10
	s_cmp_lt_i32 s48, 0
	s_cbranch_scc1 .LBB94_136
; %bb.2:
	s_load_dwordx8 s[36:43], s[4:5], 0x8
	s_ashr_i32 s8, s7, 31
	s_mul_i32 s2, s2, s7
	s_mov_b32 s55, 0
                                        ; implicit-def: $vgpr34_vgpr35_vgpr36_vgpr37_vgpr38_vgpr39_vgpr40_vgpr41_vgpr42_vgpr43_vgpr44_vgpr45_vgpr46_vgpr47_vgpr48_vgpr49_vgpr50_vgpr51_vgpr52_vgpr53_vgpr54_vgpr55_vgpr56_vgpr57_vgpr58_vgpr59_vgpr60_vgpr61_vgpr62_vgpr63_vgpr64_vgpr65
                                        ; implicit-def: $vgpr2_vgpr3_vgpr4_vgpr5_vgpr6_vgpr7_vgpr8_vgpr9_vgpr10_vgpr11_vgpr12_vgpr13_vgpr14_vgpr15_vgpr16_vgpr17_vgpr18_vgpr19_vgpr20_vgpr21_vgpr22_vgpr23_vgpr24_vgpr25_vgpr26_vgpr27_vgpr28_vgpr29_vgpr30_vgpr31_vgpr32_vgpr33
	s_waitcnt lgkmcnt(0)
	s_mul_i32 s9, s7, s41
	s_mul_hi_u32 s10, s7, s40
	s_add_i32 s9, s10, s9
	s_mul_i32 s8, s8, s40
	s_add_i32 s9, s9, s8
	s_mul_i32 s8, s7, s40
	s_ashr_i32 s5, s38, 31
	s_lshl_b64 s[8:9], s[8:9], 3
	s_mov_b32 s4, s38
	s_add_u32 s8, s36, s8
	s_addc_u32 s9, s37, s9
	s_lshl_b64 s[4:5], s[4:5], 3
	s_add_u32 s38, s8, s4
	s_addc_u32 s49, s9, s5
	s_add_u32 s0, s3, s0
	s_addc_u32 s1, s6, s1
	s_load_dword s3, s[0:1], 0x0
	s_waitcnt lgkmcnt(0)
	s_mul_i32 s4, s3, s39
	s_ashr_i32 s5, s4, 31
	s_lshl_b64 s[4:5], s[4:5], 3
	s_add_u32 s50, s38, s4
	s_addc_u32 s51, s49, s5
	s_ashr_i32 s3, s2, 31
	s_lshl_b64 s[2:3], s[2:3], 3
	s_add_u32 s4, s42, s2
	s_addc_u32 s5, s43, s3
	s_lshl_b32 s2, s34, 1
	s_ashr_i32 s3, s2, 31
	s_lshl_b64 s[2:3], s[2:3], 3
	s_add_u32 s52, s4, s2
	s_addc_u32 s53, s5, s3
	s_lshl_b64 s[2:3], s[34:35], 3
	s_add_u32 s35, s52, s2
	s_addc_u32 s54, s53, s3
	s_cmp_gt_i32 s47, 0
	s_cselect_b64 s[36:37], -1, 0
	s_add_u32 s40, s0, 4
	s_addc_u32 s41, s1, 0
	s_branch .LBB94_4
.LBB94_3:                               ;   in Loop: Header=BB94_4 Depth=1
	s_or_b64 exec, exec, s[0:1]
	s_add_i32 s0, s55, 1
	s_cmp_lg_u32 s55, s48
	s_mov_b32 s55, s0
	s_cbranch_scc0 .LBB94_136
.LBB94_4:                               ; =>This Loop Header: Depth=1
                                        ;     Child Loop BB94_39 Depth 2
	s_mul_i32 s0, s55, s46
	v_add_u32_e32 v98, s0, v0
	v_cmp_gt_i32_e64 s[0:1], s34, v98
	v_ashrrev_i32_e32 v99, 31, v98
	s_and_saveexec_b64 s[2:3], s[0:1]
	s_cbranch_execz .LBB94_6
; %bb.5:                                ;   in Loop: Header=BB94_4 Depth=1
	s_waitcnt vmcnt(0)
	v_lshlrev_b64 v[2:3], 3, v[98:99]
	v_mov_b32_e32 v1, s51
	v_add_co_u32_e32 v2, vcc, s50, v2
	v_addc_co_u32_e32 v3, vcc, v1, v3, vcc
	global_load_dwordx2 v[2:3], v[2:3], off
.LBB94_6:                               ;   in Loop: Header=BB94_4 Depth=1
	s_or_b64 exec, exec, s[2:3]
	v_add_u32_e32 v100, s33, v98
	v_cmp_gt_i32_e64 s[2:3], s34, v100
	v_ashrrev_i32_e32 v101, 31, v100
	s_and_saveexec_b64 s[4:5], s[2:3]
	s_cbranch_execz .LBB94_8
; %bb.7:                                ;   in Loop: Header=BB94_4 Depth=1
	s_waitcnt vmcnt(0)
	v_lshlrev_b64 v[4:5], 3, v[100:101]
	v_mov_b32_e32 v1, s51
	v_add_co_u32_e32 v4, vcc, s50, v4
	v_addc_co_u32_e32 v5, vcc, v1, v5, vcc
	global_load_dwordx2 v[4:5], v[4:5], off
.LBB94_8:                               ;   in Loop: Header=BB94_4 Depth=1
	s_or_b64 exec, exec, s[4:5]
	v_add_u32_e32 v102, s33, v100
	v_cmp_gt_i32_e64 s[4:5], s34, v102
	v_ashrrev_i32_e32 v103, 31, v102
	s_and_saveexec_b64 s[6:7], s[4:5]
	s_cbranch_execz .LBB94_10
; %bb.9:                                ;   in Loop: Header=BB94_4 Depth=1
	s_waitcnt vmcnt(0)
	v_lshlrev_b64 v[6:7], 3, v[102:103]
	v_mov_b32_e32 v1, s51
	v_add_co_u32_e32 v6, vcc, s50, v6
	v_addc_co_u32_e32 v7, vcc, v1, v7, vcc
	global_load_dwordx2 v[6:7], v[6:7], off
.LBB94_10:                              ;   in Loop: Header=BB94_4 Depth=1
	s_or_b64 exec, exec, s[6:7]
	v_add_u32_e32 v104, s33, v102
	v_cmp_gt_i32_e64 s[6:7], s34, v104
	v_ashrrev_i32_e32 v105, 31, v104
	s_and_saveexec_b64 s[8:9], s[6:7]
	s_cbranch_execz .LBB94_12
; %bb.11:                               ;   in Loop: Header=BB94_4 Depth=1
	s_waitcnt vmcnt(0)
	v_lshlrev_b64 v[8:9], 3, v[104:105]
	v_mov_b32_e32 v1, s51
	v_add_co_u32_e32 v8, vcc, s50, v8
	v_addc_co_u32_e32 v9, vcc, v1, v9, vcc
	global_load_dwordx2 v[8:9], v[8:9], off
.LBB94_12:                              ;   in Loop: Header=BB94_4 Depth=1
	s_or_b64 exec, exec, s[8:9]
	v_add_u32_e32 v106, s33, v104
	v_cmp_gt_i32_e64 s[8:9], s34, v106
	v_ashrrev_i32_e32 v107, 31, v106
	s_and_saveexec_b64 s[10:11], s[8:9]
	s_cbranch_execz .LBB94_14
; %bb.13:                               ;   in Loop: Header=BB94_4 Depth=1
	s_waitcnt vmcnt(0)
	v_lshlrev_b64 v[10:11], 3, v[106:107]
	v_mov_b32_e32 v1, s51
	v_add_co_u32_e32 v10, vcc, s50, v10
	v_addc_co_u32_e32 v11, vcc, v1, v11, vcc
	global_load_dwordx2 v[10:11], v[10:11], off
.LBB94_14:                              ;   in Loop: Header=BB94_4 Depth=1
	;; [unrolled: 14-line block ×13, first 2 shown]
	s_or_b64 exec, exec, s[42:43]
	s_and_b64 vcc, exec, s[36:37]
	s_cbranch_vccz .LBB94_104
; %bb.37:                               ;   in Loop: Header=BB94_4 Depth=1
	v_lshlrev_b64 v[130:131], 3, v[98:99]
	v_lshlrev_b64 v[132:133], 3, v[100:101]
	;; [unrolled: 1-line block ×16, first 2 shown]
	s_mov_b32 s56, s47
	s_mov_b64 s[42:43], s[40:41]
	s_branch .LBB94_39
.LBB94_38:                              ;   in Loop: Header=BB94_39 Depth=2
	s_or_b64 exec, exec, s[44:45]
	v_mul_f64 v[34:35], v[164:165], v[34:35]
	v_fma_f64 v[2:3], v[162:163], v[2:3], -v[34:35]
	v_mul_f64 v[34:35], v[164:165], v[36:37]
	v_fma_f64 v[4:5], v[162:163], v[4:5], -v[34:35]
	;; [unrolled: 2-line block ×15, first 2 shown]
	v_mul_f64 v[34:35], v[164:165], v[64:65]
	s_add_u32 s42, s42, 4
	v_fma_f64 v[32:33], v[162:163], v[32:33], -v[34:35]
	s_addc_u32 s43, s43, 0
	s_add_i32 s56, s56, -1
	v_pk_mov_b32 v[34:35], v[66:67], v[66:67] op_sel:[0,1]
	s_cmp_eq_u32 s56, 0
	v_pk_mov_b32 v[36:37], v[68:69], v[68:69] op_sel:[0,1]
	v_pk_mov_b32 v[38:39], v[70:71], v[70:71] op_sel:[0,1]
	;; [unrolled: 1-line block ×15, first 2 shown]
	s_barrier
	s_cbranch_scc1 .LBB94_103
.LBB94_39:                              ;   Parent Loop BB94_4 Depth=1
                                        ; =>  This Inner Loop Header: Depth=2
	v_mov_b32_e32 v1, 0
	global_load_dword v66, v1, s[42:43]
	v_mov_b32_e32 v1, s53
	v_mov_b32_e32 v72, s54
	s_waitcnt vmcnt(0)
	v_ashrrev_i32_e32 v67, 31, v66
	v_lshlrev_b64 v[68:69], 3, v[66:67]
	v_add_co_u32_e32 v70, vcc, s52, v68
	v_addc_co_u32_e32 v71, vcc, v1, v69, vcc
	v_add_co_u32_e32 v68, vcc, s35, v68
	v_addc_co_u32_e32 v69, vcc, v72, v69, vcc
	global_load_dwordx2 v[162:163], v[70:71], off
	global_load_dwordx2 v[164:165], v[68:69], off
	v_readfirstlane_b32 s44, v66
	s_mul_i32 s44, s44, s39
	s_ashr_i32 s45, s44, 31
	s_lshl_b64 s[44:45], s[44:45], 3
	s_add_u32 s57, s38, s44
	s_addc_u32 s58, s49, s45
	s_and_saveexec_b64 s[44:45], s[0:1]
	s_cbranch_execnz .LBB94_88
; %bb.40:                               ;   in Loop: Header=BB94_39 Depth=2
	s_or_b64 exec, exec, s[44:45]
	s_and_saveexec_b64 s[44:45], s[2:3]
	s_cbranch_execnz .LBB94_89
.LBB94_41:                              ;   in Loop: Header=BB94_39 Depth=2
	s_or_b64 exec, exec, s[44:45]
	s_and_saveexec_b64 s[44:45], s[4:5]
	s_cbranch_execnz .LBB94_90
.LBB94_42:                              ;   in Loop: Header=BB94_39 Depth=2
	s_or_b64 exec, exec, s[44:45]
	s_and_saveexec_b64 s[44:45], s[6:7]
	s_cbranch_execnz .LBB94_91
.LBB94_43:                              ;   in Loop: Header=BB94_39 Depth=2
	s_or_b64 exec, exec, s[44:45]
	s_and_saveexec_b64 s[44:45], s[8:9]
	s_cbranch_execnz .LBB94_92
.LBB94_44:                              ;   in Loop: Header=BB94_39 Depth=2
	s_or_b64 exec, exec, s[44:45]
	s_and_saveexec_b64 s[44:45], s[10:11]
	s_cbranch_execnz .LBB94_93
.LBB94_45:                              ;   in Loop: Header=BB94_39 Depth=2
	s_or_b64 exec, exec, s[44:45]
	s_and_saveexec_b64 s[44:45], s[12:13]
	s_cbranch_execnz .LBB94_94
.LBB94_46:                              ;   in Loop: Header=BB94_39 Depth=2
	s_or_b64 exec, exec, s[44:45]
	s_and_saveexec_b64 s[44:45], s[14:15]
	s_cbranch_execnz .LBB94_95
.LBB94_47:                              ;   in Loop: Header=BB94_39 Depth=2
	s_or_b64 exec, exec, s[44:45]
	s_and_saveexec_b64 s[44:45], s[16:17]
	s_cbranch_execnz .LBB94_96
.LBB94_48:                              ;   in Loop: Header=BB94_39 Depth=2
	s_or_b64 exec, exec, s[44:45]
	s_and_saveexec_b64 s[44:45], s[18:19]
	s_cbranch_execnz .LBB94_97
.LBB94_49:                              ;   in Loop: Header=BB94_39 Depth=2
	s_or_b64 exec, exec, s[44:45]
	s_and_saveexec_b64 s[44:45], s[20:21]
	s_cbranch_execnz .LBB94_98
.LBB94_50:                              ;   in Loop: Header=BB94_39 Depth=2
	s_or_b64 exec, exec, s[44:45]
	s_and_saveexec_b64 s[44:45], s[22:23]
	s_cbranch_execnz .LBB94_99
.LBB94_51:                              ;   in Loop: Header=BB94_39 Depth=2
	s_or_b64 exec, exec, s[44:45]
	s_and_saveexec_b64 s[44:45], s[24:25]
	s_cbranch_execnz .LBB94_100
.LBB94_52:                              ;   in Loop: Header=BB94_39 Depth=2
	s_or_b64 exec, exec, s[44:45]
	s_and_saveexec_b64 s[44:45], s[26:27]
	s_cbranch_execnz .LBB94_101
.LBB94_53:                              ;   in Loop: Header=BB94_39 Depth=2
	s_or_b64 exec, exec, s[44:45]
	s_and_saveexec_b64 s[44:45], s[28:29]
	s_cbranch_execnz .LBB94_102
.LBB94_54:                              ;   in Loop: Header=BB94_39 Depth=2
	s_or_b64 exec, exec, s[44:45]
	s_and_saveexec_b64 s[44:45], s[30:31]
	s_cbranch_execz .LBB94_56
.LBB94_55:                              ;   in Loop: Header=BB94_39 Depth=2
	v_mov_b32_e32 v1, s58
	v_add_co_u32_e32 v64, vcc, s57, v160
	v_addc_co_u32_e32 v65, vcc, v1, v161, vcc
	global_load_dwordx2 v[64:65], v[64:65], off
.LBB94_56:                              ;   in Loop: Header=BB94_39 Depth=2
	s_or_b64 exec, exec, s[44:45]
	s_waitcnt vmcnt(0)
	v_mul_f64 v[66:67], v[162:163], v[34:35]
	v_fmac_f64_e32 v[66:67], v[164:165], v[2:3]
	s_and_saveexec_b64 s[44:45], s[0:1]
	s_cbranch_execz .LBB94_58
; %bb.57:                               ;   in Loop: Header=BB94_39 Depth=2
	v_mov_b32_e32 v1, s58
	v_add_co_u32_e32 v68, vcc, s57, v130
	v_addc_co_u32_e32 v69, vcc, v1, v131, vcc
	global_store_dwordx2 v[68:69], v[66:67], off
.LBB94_58:                              ;   in Loop: Header=BB94_39 Depth=2
	s_or_b64 exec, exec, s[44:45]
	v_mul_f64 v[68:69], v[162:163], v[36:37]
	v_fmac_f64_e32 v[68:69], v[164:165], v[4:5]
	s_and_saveexec_b64 s[44:45], s[2:3]
	s_cbranch_execz .LBB94_60
; %bb.59:                               ;   in Loop: Header=BB94_39 Depth=2
	v_mov_b32_e32 v1, s58
	v_add_co_u32_e32 v70, vcc, s57, v132
	v_addc_co_u32_e32 v71, vcc, v1, v133, vcc
	global_store_dwordx2 v[70:71], v[68:69], off
.LBB94_60:                              ;   in Loop: Header=BB94_39 Depth=2
	s_or_b64 exec, exec, s[44:45]
	v_mul_f64 v[70:71], v[162:163], v[38:39]
	v_fmac_f64_e32 v[70:71], v[164:165], v[6:7]
	s_and_saveexec_b64 s[44:45], s[4:5]
	s_cbranch_execz .LBB94_62
; %bb.61:                               ;   in Loop: Header=BB94_39 Depth=2
	v_mov_b32_e32 v1, s58
	v_add_co_u32_e32 v72, vcc, s57, v134
	v_addc_co_u32_e32 v73, vcc, v1, v135, vcc
	global_store_dwordx2 v[72:73], v[70:71], off
.LBB94_62:                              ;   in Loop: Header=BB94_39 Depth=2
	s_or_b64 exec, exec, s[44:45]
	v_mul_f64 v[72:73], v[162:163], v[40:41]
	v_fmac_f64_e32 v[72:73], v[164:165], v[8:9]
	s_and_saveexec_b64 s[44:45], s[6:7]
	s_cbranch_execz .LBB94_64
; %bb.63:                               ;   in Loop: Header=BB94_39 Depth=2
	v_mov_b32_e32 v1, s58
	v_add_co_u32_e32 v74, vcc, s57, v136
	v_addc_co_u32_e32 v75, vcc, v1, v137, vcc
	global_store_dwordx2 v[74:75], v[72:73], off
.LBB94_64:                              ;   in Loop: Header=BB94_39 Depth=2
	s_or_b64 exec, exec, s[44:45]
	v_mul_f64 v[74:75], v[162:163], v[42:43]
	v_fmac_f64_e32 v[74:75], v[164:165], v[10:11]
	s_and_saveexec_b64 s[44:45], s[8:9]
	s_cbranch_execz .LBB94_66
; %bb.65:                               ;   in Loop: Header=BB94_39 Depth=2
	v_mov_b32_e32 v1, s58
	v_add_co_u32_e32 v76, vcc, s57, v138
	v_addc_co_u32_e32 v77, vcc, v1, v139, vcc
	global_store_dwordx2 v[76:77], v[74:75], off
.LBB94_66:                              ;   in Loop: Header=BB94_39 Depth=2
	s_or_b64 exec, exec, s[44:45]
	v_mul_f64 v[76:77], v[162:163], v[44:45]
	v_fmac_f64_e32 v[76:77], v[164:165], v[12:13]
	s_and_saveexec_b64 s[44:45], s[10:11]
	s_cbranch_execz .LBB94_68
; %bb.67:                               ;   in Loop: Header=BB94_39 Depth=2
	v_mov_b32_e32 v1, s58
	v_add_co_u32_e32 v78, vcc, s57, v140
	v_addc_co_u32_e32 v79, vcc, v1, v141, vcc
	global_store_dwordx2 v[78:79], v[76:77], off
.LBB94_68:                              ;   in Loop: Header=BB94_39 Depth=2
	s_or_b64 exec, exec, s[44:45]
	v_mul_f64 v[78:79], v[162:163], v[46:47]
	v_fmac_f64_e32 v[78:79], v[164:165], v[14:15]
	s_and_saveexec_b64 s[44:45], s[12:13]
	s_cbranch_execz .LBB94_70
; %bb.69:                               ;   in Loop: Header=BB94_39 Depth=2
	v_mov_b32_e32 v1, s58
	v_add_co_u32_e32 v80, vcc, s57, v142
	v_addc_co_u32_e32 v81, vcc, v1, v143, vcc
	global_store_dwordx2 v[80:81], v[78:79], off
.LBB94_70:                              ;   in Loop: Header=BB94_39 Depth=2
	s_or_b64 exec, exec, s[44:45]
	v_mul_f64 v[80:81], v[162:163], v[48:49]
	v_fmac_f64_e32 v[80:81], v[164:165], v[16:17]
	s_and_saveexec_b64 s[44:45], s[14:15]
	s_cbranch_execz .LBB94_72
; %bb.71:                               ;   in Loop: Header=BB94_39 Depth=2
	v_mov_b32_e32 v1, s58
	v_add_co_u32_e32 v82, vcc, s57, v144
	v_addc_co_u32_e32 v83, vcc, v1, v145, vcc
	global_store_dwordx2 v[82:83], v[80:81], off
.LBB94_72:                              ;   in Loop: Header=BB94_39 Depth=2
	s_or_b64 exec, exec, s[44:45]
	v_mul_f64 v[82:83], v[162:163], v[50:51]
	v_fmac_f64_e32 v[82:83], v[164:165], v[18:19]
	s_and_saveexec_b64 s[44:45], s[16:17]
	s_cbranch_execz .LBB94_74
; %bb.73:                               ;   in Loop: Header=BB94_39 Depth=2
	v_mov_b32_e32 v1, s58
	v_add_co_u32_e32 v84, vcc, s57, v146
	v_addc_co_u32_e32 v85, vcc, v1, v147, vcc
	global_store_dwordx2 v[84:85], v[82:83], off
.LBB94_74:                              ;   in Loop: Header=BB94_39 Depth=2
	s_or_b64 exec, exec, s[44:45]
	v_mul_f64 v[84:85], v[162:163], v[52:53]
	v_fmac_f64_e32 v[84:85], v[164:165], v[20:21]
	s_and_saveexec_b64 s[44:45], s[18:19]
	s_cbranch_execz .LBB94_76
; %bb.75:                               ;   in Loop: Header=BB94_39 Depth=2
	v_mov_b32_e32 v1, s58
	v_add_co_u32_e32 v86, vcc, s57, v148
	v_addc_co_u32_e32 v87, vcc, v1, v149, vcc
	global_store_dwordx2 v[86:87], v[84:85], off
.LBB94_76:                              ;   in Loop: Header=BB94_39 Depth=2
	s_or_b64 exec, exec, s[44:45]
	v_mul_f64 v[86:87], v[162:163], v[54:55]
	v_fmac_f64_e32 v[86:87], v[164:165], v[22:23]
	s_and_saveexec_b64 s[44:45], s[20:21]
	s_cbranch_execz .LBB94_78
; %bb.77:                               ;   in Loop: Header=BB94_39 Depth=2
	v_mov_b32_e32 v1, s58
	v_add_co_u32_e32 v88, vcc, s57, v150
	v_addc_co_u32_e32 v89, vcc, v1, v151, vcc
	global_store_dwordx2 v[88:89], v[86:87], off
.LBB94_78:                              ;   in Loop: Header=BB94_39 Depth=2
	s_or_b64 exec, exec, s[44:45]
	v_mul_f64 v[88:89], v[162:163], v[56:57]
	v_fmac_f64_e32 v[88:89], v[164:165], v[24:25]
	s_and_saveexec_b64 s[44:45], s[22:23]
	s_cbranch_execz .LBB94_80
; %bb.79:                               ;   in Loop: Header=BB94_39 Depth=2
	v_mov_b32_e32 v1, s58
	v_add_co_u32_e32 v90, vcc, s57, v152
	v_addc_co_u32_e32 v91, vcc, v1, v153, vcc
	global_store_dwordx2 v[90:91], v[88:89], off
.LBB94_80:                              ;   in Loop: Header=BB94_39 Depth=2
	s_or_b64 exec, exec, s[44:45]
	v_mul_f64 v[90:91], v[162:163], v[58:59]
	v_fmac_f64_e32 v[90:91], v[164:165], v[26:27]
	s_and_saveexec_b64 s[44:45], s[24:25]
	s_cbranch_execz .LBB94_82
; %bb.81:                               ;   in Loop: Header=BB94_39 Depth=2
	v_mov_b32_e32 v1, s58
	v_add_co_u32_e32 v92, vcc, s57, v154
	v_addc_co_u32_e32 v93, vcc, v1, v155, vcc
	global_store_dwordx2 v[92:93], v[90:91], off
.LBB94_82:                              ;   in Loop: Header=BB94_39 Depth=2
	s_or_b64 exec, exec, s[44:45]
	v_mul_f64 v[92:93], v[162:163], v[60:61]
	v_fmac_f64_e32 v[92:93], v[164:165], v[28:29]
	s_and_saveexec_b64 s[44:45], s[26:27]
	s_cbranch_execz .LBB94_84
; %bb.83:                               ;   in Loop: Header=BB94_39 Depth=2
	v_mov_b32_e32 v1, s58
	v_add_co_u32_e32 v94, vcc, s57, v156
	v_addc_co_u32_e32 v95, vcc, v1, v157, vcc
	global_store_dwordx2 v[94:95], v[92:93], off
.LBB94_84:                              ;   in Loop: Header=BB94_39 Depth=2
	s_or_b64 exec, exec, s[44:45]
	v_mul_f64 v[94:95], v[162:163], v[62:63]
	v_fmac_f64_e32 v[94:95], v[164:165], v[30:31]
	s_and_saveexec_b64 s[44:45], s[28:29]
	s_cbranch_execz .LBB94_86
; %bb.85:                               ;   in Loop: Header=BB94_39 Depth=2
	v_mov_b32_e32 v1, s58
	v_add_co_u32_e32 v96, vcc, s57, v158
	v_addc_co_u32_e32 v97, vcc, v1, v159, vcc
	global_store_dwordx2 v[96:97], v[94:95], off
.LBB94_86:                              ;   in Loop: Header=BB94_39 Depth=2
	s_or_b64 exec, exec, s[44:45]
	v_mul_f64 v[96:97], v[162:163], v[64:65]
	v_fmac_f64_e32 v[96:97], v[164:165], v[32:33]
	s_and_saveexec_b64 s[44:45], s[30:31]
	s_cbranch_execz .LBB94_38
; %bb.87:                               ;   in Loop: Header=BB94_39 Depth=2
	v_mov_b32_e32 v1, s58
	v_add_co_u32_e32 v166, vcc, s57, v160
	v_addc_co_u32_e32 v167, vcc, v1, v161, vcc
	global_store_dwordx2 v[166:167], v[96:97], off
	s_branch .LBB94_38
.LBB94_88:                              ;   in Loop: Header=BB94_39 Depth=2
	v_mov_b32_e32 v1, s58
	v_add_co_u32_e32 v34, vcc, s57, v130
	v_addc_co_u32_e32 v35, vcc, v1, v131, vcc
	global_load_dwordx2 v[34:35], v[34:35], off
	s_or_b64 exec, exec, s[44:45]
	s_and_saveexec_b64 s[44:45], s[2:3]
	s_cbranch_execz .LBB94_41
.LBB94_89:                              ;   in Loop: Header=BB94_39 Depth=2
	v_mov_b32_e32 v1, s58
	v_add_co_u32_e32 v36, vcc, s57, v132
	v_addc_co_u32_e32 v37, vcc, v1, v133, vcc
	global_load_dwordx2 v[36:37], v[36:37], off
	s_or_b64 exec, exec, s[44:45]
	s_and_saveexec_b64 s[44:45], s[4:5]
	s_cbranch_execz .LBB94_42
.LBB94_90:                              ;   in Loop: Header=BB94_39 Depth=2
	v_mov_b32_e32 v1, s58
	v_add_co_u32_e32 v38, vcc, s57, v134
	v_addc_co_u32_e32 v39, vcc, v1, v135, vcc
	global_load_dwordx2 v[38:39], v[38:39], off
	s_or_b64 exec, exec, s[44:45]
	s_and_saveexec_b64 s[44:45], s[6:7]
	s_cbranch_execz .LBB94_43
.LBB94_91:                              ;   in Loop: Header=BB94_39 Depth=2
	v_mov_b32_e32 v1, s58
	v_add_co_u32_e32 v40, vcc, s57, v136
	v_addc_co_u32_e32 v41, vcc, v1, v137, vcc
	global_load_dwordx2 v[40:41], v[40:41], off
	s_or_b64 exec, exec, s[44:45]
	s_and_saveexec_b64 s[44:45], s[8:9]
	s_cbranch_execz .LBB94_44
.LBB94_92:                              ;   in Loop: Header=BB94_39 Depth=2
	v_mov_b32_e32 v1, s58
	v_add_co_u32_e32 v42, vcc, s57, v138
	v_addc_co_u32_e32 v43, vcc, v1, v139, vcc
	global_load_dwordx2 v[42:43], v[42:43], off
	s_or_b64 exec, exec, s[44:45]
	s_and_saveexec_b64 s[44:45], s[10:11]
	s_cbranch_execz .LBB94_45
.LBB94_93:                              ;   in Loop: Header=BB94_39 Depth=2
	v_mov_b32_e32 v1, s58
	v_add_co_u32_e32 v44, vcc, s57, v140
	v_addc_co_u32_e32 v45, vcc, v1, v141, vcc
	global_load_dwordx2 v[44:45], v[44:45], off
	s_or_b64 exec, exec, s[44:45]
	s_and_saveexec_b64 s[44:45], s[12:13]
	s_cbranch_execz .LBB94_46
.LBB94_94:                              ;   in Loop: Header=BB94_39 Depth=2
	v_mov_b32_e32 v1, s58
	v_add_co_u32_e32 v46, vcc, s57, v142
	v_addc_co_u32_e32 v47, vcc, v1, v143, vcc
	global_load_dwordx2 v[46:47], v[46:47], off
	s_or_b64 exec, exec, s[44:45]
	s_and_saveexec_b64 s[44:45], s[14:15]
	s_cbranch_execz .LBB94_47
.LBB94_95:                              ;   in Loop: Header=BB94_39 Depth=2
	v_mov_b32_e32 v1, s58
	v_add_co_u32_e32 v48, vcc, s57, v144
	v_addc_co_u32_e32 v49, vcc, v1, v145, vcc
	global_load_dwordx2 v[48:49], v[48:49], off
	s_or_b64 exec, exec, s[44:45]
	s_and_saveexec_b64 s[44:45], s[16:17]
	s_cbranch_execz .LBB94_48
.LBB94_96:                              ;   in Loop: Header=BB94_39 Depth=2
	v_mov_b32_e32 v1, s58
	v_add_co_u32_e32 v50, vcc, s57, v146
	v_addc_co_u32_e32 v51, vcc, v1, v147, vcc
	global_load_dwordx2 v[50:51], v[50:51], off
	s_or_b64 exec, exec, s[44:45]
	s_and_saveexec_b64 s[44:45], s[18:19]
	s_cbranch_execz .LBB94_49
.LBB94_97:                              ;   in Loop: Header=BB94_39 Depth=2
	v_mov_b32_e32 v1, s58
	v_add_co_u32_e32 v52, vcc, s57, v148
	v_addc_co_u32_e32 v53, vcc, v1, v149, vcc
	global_load_dwordx2 v[52:53], v[52:53], off
	s_or_b64 exec, exec, s[44:45]
	s_and_saveexec_b64 s[44:45], s[20:21]
	s_cbranch_execz .LBB94_50
.LBB94_98:                              ;   in Loop: Header=BB94_39 Depth=2
	v_mov_b32_e32 v1, s58
	v_add_co_u32_e32 v54, vcc, s57, v150
	v_addc_co_u32_e32 v55, vcc, v1, v151, vcc
	global_load_dwordx2 v[54:55], v[54:55], off
	s_or_b64 exec, exec, s[44:45]
	s_and_saveexec_b64 s[44:45], s[22:23]
	s_cbranch_execz .LBB94_51
.LBB94_99:                              ;   in Loop: Header=BB94_39 Depth=2
	v_mov_b32_e32 v1, s58
	v_add_co_u32_e32 v56, vcc, s57, v152
	v_addc_co_u32_e32 v57, vcc, v1, v153, vcc
	global_load_dwordx2 v[56:57], v[56:57], off
	s_or_b64 exec, exec, s[44:45]
	s_and_saveexec_b64 s[44:45], s[24:25]
	s_cbranch_execz .LBB94_52
.LBB94_100:                             ;   in Loop: Header=BB94_39 Depth=2
	v_mov_b32_e32 v1, s58
	v_add_co_u32_e32 v58, vcc, s57, v154
	v_addc_co_u32_e32 v59, vcc, v1, v155, vcc
	global_load_dwordx2 v[58:59], v[58:59], off
	s_or_b64 exec, exec, s[44:45]
	s_and_saveexec_b64 s[44:45], s[26:27]
	s_cbranch_execz .LBB94_53
.LBB94_101:                             ;   in Loop: Header=BB94_39 Depth=2
	v_mov_b32_e32 v1, s58
	v_add_co_u32_e32 v60, vcc, s57, v156
	v_addc_co_u32_e32 v61, vcc, v1, v157, vcc
	global_load_dwordx2 v[60:61], v[60:61], off
	s_or_b64 exec, exec, s[44:45]
	s_and_saveexec_b64 s[44:45], s[28:29]
	s_cbranch_execz .LBB94_54
.LBB94_102:                             ;   in Loop: Header=BB94_39 Depth=2
	v_mov_b32_e32 v1, s58
	v_add_co_u32_e32 v62, vcc, s57, v158
	v_addc_co_u32_e32 v63, vcc, v1, v159, vcc
	global_load_dwordx2 v[62:63], v[62:63], off
	s_or_b64 exec, exec, s[44:45]
	s_and_saveexec_b64 s[44:45], s[30:31]
	s_cbranch_execnz .LBB94_55
	s_branch .LBB94_56
.LBB94_103:                             ;   in Loop: Header=BB94_4 Depth=1
	v_pk_mov_b32 v[34:35], v[66:67], v[66:67] op_sel:[0,1]
	v_pk_mov_b32 v[36:37], v[68:69], v[68:69] op_sel:[0,1]
	;; [unrolled: 1-line block ×16, first 2 shown]
.LBB94_104:                             ;   in Loop: Header=BB94_4 Depth=1
	s_and_saveexec_b64 s[42:43], s[0:1]
	s_cbranch_execnz .LBB94_120
; %bb.105:                              ;   in Loop: Header=BB94_4 Depth=1
	s_or_b64 exec, exec, s[42:43]
	s_and_saveexec_b64 s[0:1], s[2:3]
	s_cbranch_execnz .LBB94_121
.LBB94_106:                             ;   in Loop: Header=BB94_4 Depth=1
	s_or_b64 exec, exec, s[0:1]
	s_and_saveexec_b64 s[0:1], s[4:5]
	s_cbranch_execnz .LBB94_122
.LBB94_107:                             ;   in Loop: Header=BB94_4 Depth=1
	s_or_b64 exec, exec, s[0:1]
	s_and_saveexec_b64 s[0:1], s[6:7]
	s_cbranch_execnz .LBB94_123
.LBB94_108:                             ;   in Loop: Header=BB94_4 Depth=1
	s_or_b64 exec, exec, s[0:1]
	s_and_saveexec_b64 s[0:1], s[8:9]
	s_cbranch_execnz .LBB94_124
.LBB94_109:                             ;   in Loop: Header=BB94_4 Depth=1
	s_or_b64 exec, exec, s[0:1]
	s_and_saveexec_b64 s[0:1], s[10:11]
	s_cbranch_execnz .LBB94_125
.LBB94_110:                             ;   in Loop: Header=BB94_4 Depth=1
	s_or_b64 exec, exec, s[0:1]
	s_and_saveexec_b64 s[0:1], s[12:13]
	s_cbranch_execnz .LBB94_126
.LBB94_111:                             ;   in Loop: Header=BB94_4 Depth=1
	s_or_b64 exec, exec, s[0:1]
	s_and_saveexec_b64 s[0:1], s[14:15]
	s_cbranch_execnz .LBB94_127
.LBB94_112:                             ;   in Loop: Header=BB94_4 Depth=1
	s_or_b64 exec, exec, s[0:1]
	s_and_saveexec_b64 s[0:1], s[16:17]
	s_cbranch_execnz .LBB94_128
.LBB94_113:                             ;   in Loop: Header=BB94_4 Depth=1
	s_or_b64 exec, exec, s[0:1]
	s_and_saveexec_b64 s[0:1], s[18:19]
	s_cbranch_execnz .LBB94_129
.LBB94_114:                             ;   in Loop: Header=BB94_4 Depth=1
	s_or_b64 exec, exec, s[0:1]
	s_and_saveexec_b64 s[0:1], s[20:21]
	s_cbranch_execnz .LBB94_130
.LBB94_115:                             ;   in Loop: Header=BB94_4 Depth=1
	s_or_b64 exec, exec, s[0:1]
	s_and_saveexec_b64 s[0:1], s[22:23]
	s_cbranch_execnz .LBB94_131
.LBB94_116:                             ;   in Loop: Header=BB94_4 Depth=1
	s_or_b64 exec, exec, s[0:1]
	s_and_saveexec_b64 s[0:1], s[24:25]
	s_cbranch_execnz .LBB94_132
.LBB94_117:                             ;   in Loop: Header=BB94_4 Depth=1
	s_or_b64 exec, exec, s[0:1]
	s_and_saveexec_b64 s[0:1], s[26:27]
	s_cbranch_execnz .LBB94_133
.LBB94_118:                             ;   in Loop: Header=BB94_4 Depth=1
	s_or_b64 exec, exec, s[0:1]
	s_and_saveexec_b64 s[0:1], s[28:29]
	s_cbranch_execnz .LBB94_134
.LBB94_119:                             ;   in Loop: Header=BB94_4 Depth=1
	s_or_b64 exec, exec, s[0:1]
	s_and_saveexec_b64 s[0:1], s[30:31]
	s_cbranch_execz .LBB94_3
	s_branch .LBB94_135
.LBB94_120:                             ;   in Loop: Header=BB94_4 Depth=1
	v_lshlrev_b64 v[66:67], 3, v[98:99]
	v_mov_b32_e32 v1, s51
	v_add_co_u32_e32 v66, vcc, s50, v66
	v_addc_co_u32_e32 v67, vcc, v1, v67, vcc
	s_waitcnt vmcnt(0)
	global_store_dwordx2 v[66:67], v[2:3], off
	s_or_b64 exec, exec, s[42:43]
	s_and_saveexec_b64 s[0:1], s[2:3]
	s_cbranch_execz .LBB94_106
.LBB94_121:                             ;   in Loop: Header=BB94_4 Depth=1
	v_lshlrev_b64 v[66:67], 3, v[100:101]
	v_mov_b32_e32 v1, s51
	v_add_co_u32_e32 v66, vcc, s50, v66
	v_addc_co_u32_e32 v67, vcc, v1, v67, vcc
	s_waitcnt vmcnt(0)
	global_store_dwordx2 v[66:67], v[4:5], off
	s_or_b64 exec, exec, s[0:1]
	s_and_saveexec_b64 s[0:1], s[4:5]
	s_cbranch_execz .LBB94_107
.LBB94_122:                             ;   in Loop: Header=BB94_4 Depth=1
	v_lshlrev_b64 v[66:67], 3, v[102:103]
	v_mov_b32_e32 v1, s51
	v_add_co_u32_e32 v66, vcc, s50, v66
	v_addc_co_u32_e32 v67, vcc, v1, v67, vcc
	s_waitcnt vmcnt(0)
	global_store_dwordx2 v[66:67], v[6:7], off
	s_or_b64 exec, exec, s[0:1]
	s_and_saveexec_b64 s[0:1], s[6:7]
	s_cbranch_execz .LBB94_108
.LBB94_123:                             ;   in Loop: Header=BB94_4 Depth=1
	v_lshlrev_b64 v[66:67], 3, v[104:105]
	v_mov_b32_e32 v1, s51
	v_add_co_u32_e32 v66, vcc, s50, v66
	v_addc_co_u32_e32 v67, vcc, v1, v67, vcc
	s_waitcnt vmcnt(0)
	global_store_dwordx2 v[66:67], v[8:9], off
	s_or_b64 exec, exec, s[0:1]
	s_and_saveexec_b64 s[0:1], s[8:9]
	s_cbranch_execz .LBB94_109
.LBB94_124:                             ;   in Loop: Header=BB94_4 Depth=1
	v_lshlrev_b64 v[66:67], 3, v[106:107]
	v_mov_b32_e32 v1, s51
	v_add_co_u32_e32 v66, vcc, s50, v66
	v_addc_co_u32_e32 v67, vcc, v1, v67, vcc
	s_waitcnt vmcnt(0)
	global_store_dwordx2 v[66:67], v[10:11], off
	s_or_b64 exec, exec, s[0:1]
	s_and_saveexec_b64 s[0:1], s[10:11]
	s_cbranch_execz .LBB94_110
.LBB94_125:                             ;   in Loop: Header=BB94_4 Depth=1
	v_lshlrev_b64 v[66:67], 3, v[108:109]
	v_mov_b32_e32 v1, s51
	v_add_co_u32_e32 v66, vcc, s50, v66
	v_addc_co_u32_e32 v67, vcc, v1, v67, vcc
	s_waitcnt vmcnt(0)
	global_store_dwordx2 v[66:67], v[12:13], off
	s_or_b64 exec, exec, s[0:1]
	s_and_saveexec_b64 s[0:1], s[12:13]
	s_cbranch_execz .LBB94_111
.LBB94_126:                             ;   in Loop: Header=BB94_4 Depth=1
	v_lshlrev_b64 v[66:67], 3, v[110:111]
	v_mov_b32_e32 v1, s51
	v_add_co_u32_e32 v66, vcc, s50, v66
	v_addc_co_u32_e32 v67, vcc, v1, v67, vcc
	s_waitcnt vmcnt(0)
	global_store_dwordx2 v[66:67], v[14:15], off
	s_or_b64 exec, exec, s[0:1]
	s_and_saveexec_b64 s[0:1], s[14:15]
	s_cbranch_execz .LBB94_112
.LBB94_127:                             ;   in Loop: Header=BB94_4 Depth=1
	v_lshlrev_b64 v[66:67], 3, v[112:113]
	v_mov_b32_e32 v1, s51
	v_add_co_u32_e32 v66, vcc, s50, v66
	v_addc_co_u32_e32 v67, vcc, v1, v67, vcc
	s_waitcnt vmcnt(0)
	global_store_dwordx2 v[66:67], v[16:17], off
	s_or_b64 exec, exec, s[0:1]
	s_and_saveexec_b64 s[0:1], s[16:17]
	s_cbranch_execz .LBB94_113
.LBB94_128:                             ;   in Loop: Header=BB94_4 Depth=1
	v_lshlrev_b64 v[66:67], 3, v[114:115]
	v_mov_b32_e32 v1, s51
	v_add_co_u32_e32 v66, vcc, s50, v66
	v_addc_co_u32_e32 v67, vcc, v1, v67, vcc
	s_waitcnt vmcnt(0)
	global_store_dwordx2 v[66:67], v[18:19], off
	s_or_b64 exec, exec, s[0:1]
	s_and_saveexec_b64 s[0:1], s[18:19]
	s_cbranch_execz .LBB94_114
.LBB94_129:                             ;   in Loop: Header=BB94_4 Depth=1
	v_lshlrev_b64 v[66:67], 3, v[116:117]
	v_mov_b32_e32 v1, s51
	v_add_co_u32_e32 v66, vcc, s50, v66
	v_addc_co_u32_e32 v67, vcc, v1, v67, vcc
	s_waitcnt vmcnt(0)
	global_store_dwordx2 v[66:67], v[20:21], off
	s_or_b64 exec, exec, s[0:1]
	s_and_saveexec_b64 s[0:1], s[20:21]
	s_cbranch_execz .LBB94_115
.LBB94_130:                             ;   in Loop: Header=BB94_4 Depth=1
	v_lshlrev_b64 v[66:67], 3, v[118:119]
	v_mov_b32_e32 v1, s51
	v_add_co_u32_e32 v66, vcc, s50, v66
	v_addc_co_u32_e32 v67, vcc, v1, v67, vcc
	s_waitcnt vmcnt(0)
	global_store_dwordx2 v[66:67], v[22:23], off
	s_or_b64 exec, exec, s[0:1]
	s_and_saveexec_b64 s[0:1], s[22:23]
	s_cbranch_execz .LBB94_116
.LBB94_131:                             ;   in Loop: Header=BB94_4 Depth=1
	v_lshlrev_b64 v[66:67], 3, v[120:121]
	v_mov_b32_e32 v1, s51
	v_add_co_u32_e32 v66, vcc, s50, v66
	v_addc_co_u32_e32 v67, vcc, v1, v67, vcc
	s_waitcnt vmcnt(0)
	global_store_dwordx2 v[66:67], v[24:25], off
	s_or_b64 exec, exec, s[0:1]
	s_and_saveexec_b64 s[0:1], s[24:25]
	s_cbranch_execz .LBB94_117
.LBB94_132:                             ;   in Loop: Header=BB94_4 Depth=1
	v_lshlrev_b64 v[66:67], 3, v[122:123]
	v_mov_b32_e32 v1, s51
	v_add_co_u32_e32 v66, vcc, s50, v66
	v_addc_co_u32_e32 v67, vcc, v1, v67, vcc
	s_waitcnt vmcnt(0)
	global_store_dwordx2 v[66:67], v[26:27], off
	s_or_b64 exec, exec, s[0:1]
	s_and_saveexec_b64 s[0:1], s[26:27]
	s_cbranch_execz .LBB94_118
.LBB94_133:                             ;   in Loop: Header=BB94_4 Depth=1
	v_lshlrev_b64 v[66:67], 3, v[124:125]
	v_mov_b32_e32 v1, s51
	v_add_co_u32_e32 v66, vcc, s50, v66
	v_addc_co_u32_e32 v67, vcc, v1, v67, vcc
	s_waitcnt vmcnt(0)
	global_store_dwordx2 v[66:67], v[28:29], off
	s_or_b64 exec, exec, s[0:1]
	s_and_saveexec_b64 s[0:1], s[28:29]
	s_cbranch_execz .LBB94_119
.LBB94_134:                             ;   in Loop: Header=BB94_4 Depth=1
	v_lshlrev_b64 v[66:67], 3, v[126:127]
	v_mov_b32_e32 v1, s51
	v_add_co_u32_e32 v66, vcc, s50, v66
	v_addc_co_u32_e32 v67, vcc, v1, v67, vcc
	s_waitcnt vmcnt(0)
	global_store_dwordx2 v[66:67], v[30:31], off
	s_or_b64 exec, exec, s[0:1]
	s_and_saveexec_b64 s[0:1], s[30:31]
	s_cbranch_execz .LBB94_3
.LBB94_135:                             ;   in Loop: Header=BB94_4 Depth=1
	v_lshlrev_b64 v[66:67], 3, v[128:129]
	v_mov_b32_e32 v1, s51
	v_add_co_u32_e32 v66, vcc, s50, v66
	v_addc_co_u32_e32 v67, vcc, v1, v67, vcc
	s_waitcnt vmcnt(0)
	global_store_dwordx2 v[66:67], v[32:33], off
	s_branch .LBB94_3
.LBB94_136:
	s_endpgm
	.section	.rodata,"a",@progbits
	.p2align	6, 0x0
	.amdhsa_kernel _ZN9rocsolver6v33100L24stedc_mergeRotate_kernelIdEEviiPT_iilS3_Pi
		.amdhsa_group_segment_fixed_size 0
		.amdhsa_private_segment_fixed_size 0
		.amdhsa_kernarg_size 304
		.amdhsa_user_sgpr_count 6
		.amdhsa_user_sgpr_private_segment_buffer 1
		.amdhsa_user_sgpr_dispatch_ptr 0
		.amdhsa_user_sgpr_queue_ptr 0
		.amdhsa_user_sgpr_kernarg_segment_ptr 1
		.amdhsa_user_sgpr_dispatch_id 0
		.amdhsa_user_sgpr_flat_scratch_init 0
		.amdhsa_user_sgpr_kernarg_preload_length 0
		.amdhsa_user_sgpr_kernarg_preload_offset 0
		.amdhsa_user_sgpr_private_segment_size 0
		.amdhsa_uses_dynamic_stack 0
		.amdhsa_system_sgpr_private_segment_wavefront_offset 0
		.amdhsa_system_sgpr_workgroup_id_x 1
		.amdhsa_system_sgpr_workgroup_id_y 1
		.amdhsa_system_sgpr_workgroup_id_z 0
		.amdhsa_system_sgpr_workgroup_info 0
		.amdhsa_system_vgpr_workitem_id 0
		.amdhsa_next_free_vgpr 168
		.amdhsa_next_free_sgpr 59
		.amdhsa_accum_offset 168
		.amdhsa_reserve_vcc 1
		.amdhsa_reserve_flat_scratch 0
		.amdhsa_float_round_mode_32 0
		.amdhsa_float_round_mode_16_64 0
		.amdhsa_float_denorm_mode_32 3
		.amdhsa_float_denorm_mode_16_64 3
		.amdhsa_dx10_clamp 1
		.amdhsa_ieee_mode 1
		.amdhsa_fp16_overflow 0
		.amdhsa_tg_split 0
		.amdhsa_exception_fp_ieee_invalid_op 0
		.amdhsa_exception_fp_denorm_src 0
		.amdhsa_exception_fp_ieee_div_zero 0
		.amdhsa_exception_fp_ieee_overflow 0
		.amdhsa_exception_fp_ieee_underflow 0
		.amdhsa_exception_fp_ieee_inexact 0
		.amdhsa_exception_int_div_zero 0
	.end_amdhsa_kernel
	.section	.text._ZN9rocsolver6v33100L24stedc_mergeRotate_kernelIdEEviiPT_iilS3_Pi,"axG",@progbits,_ZN9rocsolver6v33100L24stedc_mergeRotate_kernelIdEEviiPT_iilS3_Pi,comdat
.Lfunc_end94:
	.size	_ZN9rocsolver6v33100L24stedc_mergeRotate_kernelIdEEviiPT_iilS3_Pi, .Lfunc_end94-_ZN9rocsolver6v33100L24stedc_mergeRotate_kernelIdEEviiPT_iilS3_Pi
                                        ; -- End function
	.section	.AMDGPU.csdata,"",@progbits
; Kernel info:
; codeLenInByte = 4500
; NumSgprs: 63
; NumVgprs: 168
; NumAgprs: 0
; TotalNumVgprs: 168
; ScratchSize: 0
; MemoryBound: 0
; FloatMode: 240
; IeeeMode: 1
; LDSByteSize: 0 bytes/workgroup (compile time only)
; SGPRBlocks: 7
; VGPRBlocks: 20
; NumSGPRsForWavesPerEU: 63
; NumVGPRsForWavesPerEU: 168
; AccumOffset: 168
; Occupancy: 3
; WaveLimiterHint : 1
; COMPUTE_PGM_RSRC2:SCRATCH_EN: 0
; COMPUTE_PGM_RSRC2:USER_SGPR: 6
; COMPUTE_PGM_RSRC2:TRAP_HANDLER: 0
; COMPUTE_PGM_RSRC2:TGID_X_EN: 1
; COMPUTE_PGM_RSRC2:TGID_Y_EN: 1
; COMPUTE_PGM_RSRC2:TGID_Z_EN: 0
; COMPUTE_PGM_RSRC2:TIDIG_COMP_CNT: 0
; COMPUTE_PGM_RSRC3_GFX90A:ACCUM_OFFSET: 41
; COMPUTE_PGM_RSRC3_GFX90A:TG_SPLIT: 0
	.section	.text._ZN9rocsolver6v33100L31stedc_mergeValues_SortDZ_kernelIdEEviiPT_lS3_Pi,"axG",@progbits,_ZN9rocsolver6v33100L31stedc_mergeValues_SortDZ_kernelIdEEviiPT_lS3_Pi,comdat
	.globl	_ZN9rocsolver6v33100L31stedc_mergeValues_SortDZ_kernelIdEEviiPT_lS3_Pi ; -- Begin function _ZN9rocsolver6v33100L31stedc_mergeValues_SortDZ_kernelIdEEviiPT_lS3_Pi
	.p2align	8
	.type	_ZN9rocsolver6v33100L31stedc_mergeValues_SortDZ_kernelIdEEviiPT_lS3_Pi,@function
_ZN9rocsolver6v33100L31stedc_mergeValues_SortDZ_kernelIdEEviiPT_lS3_Pi: ; @_ZN9rocsolver6v33100L31stedc_mergeValues_SortDZ_kernelIdEEviiPT_lS3_Pi
; %bb.0:
	s_load_dword s18, s[4:5], 0x4
	s_load_dwordx8 s[8:15], s[4:5], 0x8
	s_ashr_i32 s0, s7, 31
	s_mov_b32 s28, 0
	s_waitcnt lgkmcnt(0)
	s_ashr_i32 s19, s18, 31
	s_mul_i32 s1, s7, s11
	s_mul_hi_u32 s2, s7, s10
	s_add_i32 s1, s2, s1
	s_mul_i32 s0, s0, s10
	s_add_i32 s1, s1, s0
	s_mul_i32 s0, s7, s10
	s_lshl_b64 s[0:1], s[0:1], 3
	s_mul_i32 s7, s18, s7
	s_add_u32 s47, s8, s0
	s_mul_i32 s0, s7, 13
	s_addc_u32 s48, s9, s1
	s_ashr_i32 s1, s0, 31
	s_lshl_b64 s[0:1], s[0:1], 2
	s_add_u32 s2, s14, s0
	s_addc_u32 s3, s15, s1
	s_lshl_b32 s0, s18, 3
	s_ashr_i32 s1, s0, 31
	s_lshl_b64 s[0:1], s[0:1], 2
	s_add_u32 s49, s2, s0
	s_addc_u32 s50, s3, s1
	s_lshl_b64 s[0:1], s[18:19], 3
	s_add_u32 s39, s49, s0
	s_addc_u32 s40, s50, s1
	s_mul_i32 s3, s18, 0xffffffec
	s_mul_hi_i32 s2, s18, 0xffffffec
	s_add_u32 s10, s39, s3
	s_addc_u32 s11, s40, s2
	s_lshl_b64 s[24:25], s[18:19], 2
	s_add_u32 s43, s10, s24
	s_mul_i32 s8, s7, 10
	s_addc_u32 s44, s11, s25
	s_mul_i32 s2, s18, 7
	s_ashr_i32 s9, s8, 31
	s_ashr_i32 s3, s2, 31
	s_lshl_b64 s[8:9], s[8:9], 3
	s_add_u32 s8, s12, s8
	s_addc_u32 s9, s13, s9
	s_lshl_b64 s[2:3], s[2:3], 3
	s_add_u32 s33, s8, s2
	s_addc_u32 s38, s9, s3
	s_add_u32 s41, s33, s0
	s_addc_u32 s42, s38, s1
	;; [unrolled: 2-line block ×3, first 2 shown]
	s_ashr_i32 s7, s6, 31
	s_lshl_b64 s[20:21], s[6:7], 3
	s_add_u32 s0, s45, s20
	s_addc_u32 s1, s46, s21
	s_load_dwordx2 s[2:3], s[0:1], 0x0
	s_load_dword s12, s[4:5], 0x34
	s_waitcnt lgkmcnt(0)
	v_cmp_lt_f64_e64 s[0:1], s[2:3], 0
	s_mov_b32 s2, 0xbff00000
	s_and_b64 s[0:1], s[0:1], exec
	s_cselect_b32 s29, s2, 0x3ff00000
	s_add_u32 s0, s47, s20
	s_addc_u32 s1, s48, s21
	s_load_dwordx2 s[22:23], s[0:1], 0x0
	s_add_u32 s0, s8, s20
	s_addc_u32 s1, s9, s21
	s_lshl_b64 s[2:3], s[6:7], 2
	s_add_u32 s4, s10, s2
	s_addc_u32 s5, s11, s3
	s_add_u32 s8, s43, s2
	s_addc_u32 s9, s44, s3
	s_and_b32 s51, s12, 0xffff
	s_lshl_b32 s52, s51, 3
	v_cvt_f32_u32_e32 v1, s52
	s_load_dword s53, s[4:5], 0x0
	s_sub_i32 s4, 0, s52
	s_load_dwordx2 s[26:27], s[0:1], 0x0
	s_load_dword s7, s[8:9], 0x0
	v_rcp_iflag_f32_e32 v1, v1
	v_pk_mov_b32 v[2:3], s[28:29], s[28:29] op_sel:[0,1]
	s_waitcnt lgkmcnt(0)
	s_add_i32 s0, s53, -1
	s_ashr_i32 s1, s0, 31
	v_mul_f32_e32 v1, 0x4f7ffffe, v1
	v_cvt_u32_f32_e32 v1, v1
	s_abs_i32 s0, s0
	v_mul_f64 v[26:27], s[22:23], v[2:3]
	v_mov_b32_e32 v2, 0
	v_readfirstlane_b32 s5, v1
	s_mul_i32 s4, s4, s5
	s_mul_hi_u32 s4, s5, s4
	s_add_i32 s5, s5, s4
	s_mul_hi_u32 s4, s0, s5
	s_mul_i32 s5, s4, s52
	s_sub_i32 s0, s0, s5
	s_add_i32 s5, s4, 1
	s_sub_i32 s8, s0, s52
	s_cmp_ge_u32 s0, s52
	s_cselect_b32 s4, s5, s4
	s_cselect_b32 s0, s8, s0
	s_add_i32 s5, s4, 1
	s_cmp_ge_u32 s0, s52
	s_cselect_b32 s0, s5, s4
	s_xor_b32 s0, s0, s1
	s_sub_i32 s4, s0, s1
	s_cmp_lt_i32 s4, 0
	s_mov_b64 s[0:1], -1
	v_mov_b32_e32 v1, 0
	s_cbranch_scc1 .LBB95_68
; %bb.1:
	s_add_u32 s0, s49, s2
	s_addc_u32 s1, s50, s3
	s_load_dword s54, s[0:1], 0x0
	s_lshl_b32 s0, s51, 1
	s_add_i32 s56, s7, s0
	s_mul_i32 s0, s51, 3
	s_add_i32 s57, s7, s0
	s_lshl_b32 s0, s51, 2
	s_add_i32 s58, s7, s0
	s_mul_i32 s0, s51, 5
	s_add_i32 s59, s7, s0
	s_mul_i32 s0, s51, 6
	;; [unrolled: 2-line block ×3, first 2 shown]
	s_add_i32 s55, s4, 1
	s_add_i32 s61, s7, s0
	;; [unrolled: 1-line block ×3, first 2 shown]
	v_mov_b32_e32 v28, 0
	v_mov_b32_e32 v29, v0
	;; [unrolled: 1-line block ×5, first 2 shown]
                                        ; implicit-def: $vgpr2_vgpr3_vgpr4_vgpr5_vgpr6_vgpr7_vgpr8_vgpr9_vgpr10_vgpr11_vgpr12_vgpr13_vgpr14_vgpr15_vgpr16_vgpr17
                                        ; implicit-def: $vgpr18_vgpr19_vgpr20_vgpr21_vgpr22_vgpr23_vgpr24_vgpr25
	s_branch .LBB95_4
.LBB95_2:                               ;   in Loop: Header=BB95_4 Depth=1
	s_or_b64 exec, exec, s[8:9]
	v_cmp_u_f64_e32 vcc, v[16:17], v[16:17]
	v_cndmask_b32_e64 v32, 0, 1, s[4:5]
	v_addc_co_u32_e32 v28, vcc, 0, v28, vcc
	v_add_u32_e32 v30, v30, v32
	v_cmp_lt_i32_e32 vcc, 0, v25
	v_cndmask_b32_e64 v32, 0, 1, s[0:1]
	v_addc_co_u32_e32 v1, vcc, 0, v1, vcc
	v_add_u32_e32 v31, v31, v32
.LBB95_3:                               ;   in Loop: Header=BB95_4 Depth=1
	s_or_b64 exec, exec, s[2:3]
	s_add_i32 s55, s55, -1
	s_cmp_eq_u32 s55, 0
	v_add_u32_e32 v29, s52, v29
	s_cbranch_scc1 .LBB95_67
.LBB95_4:                               ; =>This Inner Loop Header: Depth=1
	v_cmp_gt_i32_e64 s[14:15], s53, v29
	s_and_saveexec_b64 s[0:1], s[14:15]
	s_cbranch_execz .LBB95_6
; %bb.5:                                ;   in Loop: Header=BB95_4 Depth=1
	v_add_u32_e32 v2, s7, v29
	v_ashrrev_i32_e32 v3, 31, v2
	v_lshlrev_b64 v[32:33], 3, v[2:3]
	s_waitcnt vmcnt(0)
	v_mov_b32_e32 v18, s48
	v_add_co_u32_e32 v32, vcc, s47, v32
	v_addc_co_u32_e32 v33, vcc, v18, v33, vcc
	v_lshlrev_b64 v[2:3], 2, v[2:3]
	v_mov_b32_e32 v18, s50
	v_add_co_u32_e32 v2, vcc, s49, v2
	global_load_dwordx2 v[32:33], v[32:33], off
	v_addc_co_u32_e32 v3, vcc, v18, v3, vcc
	global_load_dword v18, v[2:3], off
	s_waitcnt vmcnt(1)
	v_mul_f64 v[2:3], s[28:29], v[32:33]
.LBB95_6:                               ;   in Loop: Header=BB95_4 Depth=1
	s_or_b64 exec, exec, s[0:1]
	v_add_u32_e32 v32, s51, v29
	v_cmp_gt_i32_e64 s[12:13], s53, v32
	s_and_saveexec_b64 s[0:1], s[12:13]
	s_cbranch_execz .LBB95_8
; %bb.7:                                ;   in Loop: Header=BB95_4 Depth=1
	v_add_u32_e32 v4, s62, v29
	v_ashrrev_i32_e32 v5, 31, v4
	v_lshlrev_b64 v[34:35], 3, v[4:5]
	s_waitcnt vmcnt(0)
	v_mov_b32_e32 v19, s48
	v_add_co_u32_e32 v34, vcc, s47, v34
	v_addc_co_u32_e32 v35, vcc, v19, v35, vcc
	v_lshlrev_b64 v[4:5], 2, v[4:5]
	v_mov_b32_e32 v19, s50
	v_add_co_u32_e32 v4, vcc, s49, v4
	global_load_dwordx2 v[34:35], v[34:35], off
	v_addc_co_u32_e32 v5, vcc, v19, v5, vcc
	global_load_dword v19, v[4:5], off
	s_waitcnt vmcnt(1)
	v_mul_f64 v[4:5], s[28:29], v[34:35]
.LBB95_8:                               ;   in Loop: Header=BB95_4 Depth=1
	s_or_b64 exec, exec, s[0:1]
	v_add_u32_e32 v32, s51, v32
	v_cmp_gt_i32_e64 s[10:11], s53, v32
	s_and_saveexec_b64 s[0:1], s[10:11]
	s_cbranch_execz .LBB95_10
; %bb.9:                                ;   in Loop: Header=BB95_4 Depth=1
	v_add_u32_e32 v6, s56, v29
	v_ashrrev_i32_e32 v7, 31, v6
	v_lshlrev_b64 v[34:35], 3, v[6:7]
	s_waitcnt vmcnt(0)
	v_mov_b32_e32 v20, s48
	v_add_co_u32_e32 v34, vcc, s47, v34
	v_addc_co_u32_e32 v35, vcc, v20, v35, vcc
	v_lshlrev_b64 v[6:7], 2, v[6:7]
	v_mov_b32_e32 v20, s50
	v_add_co_u32_e32 v6, vcc, s49, v6
	global_load_dwordx2 v[34:35], v[34:35], off
	v_addc_co_u32_e32 v7, vcc, v20, v7, vcc
	global_load_dword v20, v[6:7], off
	s_waitcnt vmcnt(1)
	v_mul_f64 v[6:7], s[28:29], v[34:35]
.LBB95_10:                              ;   in Loop: Header=BB95_4 Depth=1
	s_or_b64 exec, exec, s[0:1]
	v_add_u32_e32 v32, s51, v32
	v_cmp_gt_i32_e64 s[8:9], s53, v32
	s_and_saveexec_b64 s[0:1], s[8:9]
	s_cbranch_execz .LBB95_12
; %bb.11:                               ;   in Loop: Header=BB95_4 Depth=1
	v_add_u32_e32 v8, s57, v29
	v_ashrrev_i32_e32 v9, 31, v8
	v_lshlrev_b64 v[34:35], 3, v[8:9]
	s_waitcnt vmcnt(0)
	v_mov_b32_e32 v21, s48
	v_add_co_u32_e32 v34, vcc, s47, v34
	v_addc_co_u32_e32 v35, vcc, v21, v35, vcc
	v_lshlrev_b64 v[8:9], 2, v[8:9]
	v_mov_b32_e32 v21, s50
	v_add_co_u32_e32 v8, vcc, s49, v8
	global_load_dwordx2 v[34:35], v[34:35], off
	v_addc_co_u32_e32 v9, vcc, v21, v9, vcc
	global_load_dword v21, v[8:9], off
	s_waitcnt vmcnt(1)
	v_mul_f64 v[8:9], s[28:29], v[34:35]
.LBB95_12:                              ;   in Loop: Header=BB95_4 Depth=1
	s_or_b64 exec, exec, s[0:1]
	v_add_u32_e32 v32, s51, v32
	v_cmp_gt_i32_e64 s[4:5], s53, v32
	s_and_saveexec_b64 s[0:1], s[4:5]
	s_cbranch_execz .LBB95_14
; %bb.13:                               ;   in Loop: Header=BB95_4 Depth=1
	v_add_u32_e32 v10, s58, v29
	v_ashrrev_i32_e32 v11, 31, v10
	v_lshlrev_b64 v[34:35], 3, v[10:11]
	s_waitcnt vmcnt(0)
	v_mov_b32_e32 v22, s48
	v_add_co_u32_e32 v34, vcc, s47, v34
	v_addc_co_u32_e32 v35, vcc, v22, v35, vcc
	v_lshlrev_b64 v[10:11], 2, v[10:11]
	v_mov_b32_e32 v22, s50
	v_add_co_u32_e32 v10, vcc, s49, v10
	global_load_dwordx2 v[34:35], v[34:35], off
	v_addc_co_u32_e32 v11, vcc, v22, v11, vcc
	global_load_dword v22, v[10:11], off
	s_waitcnt vmcnt(1)
	v_mul_f64 v[10:11], s[28:29], v[34:35]
.LBB95_14:                              ;   in Loop: Header=BB95_4 Depth=1
	s_or_b64 exec, exec, s[0:1]
	v_add_u32_e32 v32, s51, v32
	v_cmp_gt_i32_e64 s[2:3], s53, v32
	s_and_saveexec_b64 s[0:1], s[2:3]
	s_cbranch_execz .LBB95_16
; %bb.15:                               ;   in Loop: Header=BB95_4 Depth=1
	v_add_u32_e32 v12, s59, v29
	v_ashrrev_i32_e32 v13, 31, v12
	v_lshlrev_b64 v[34:35], 3, v[12:13]
	s_waitcnt vmcnt(0)
	v_mov_b32_e32 v23, s48
	v_add_co_u32_e32 v34, vcc, s47, v34
	v_addc_co_u32_e32 v35, vcc, v23, v35, vcc
	v_lshlrev_b64 v[12:13], 2, v[12:13]
	v_mov_b32_e32 v23, s50
	v_add_co_u32_e32 v12, vcc, s49, v12
	global_load_dwordx2 v[34:35], v[34:35], off
	v_addc_co_u32_e32 v13, vcc, v23, v13, vcc
	global_load_dword v23, v[12:13], off
	s_waitcnt vmcnt(1)
	v_mul_f64 v[12:13], s[28:29], v[34:35]
.LBB95_16:                              ;   in Loop: Header=BB95_4 Depth=1
	s_or_b64 exec, exec, s[0:1]
	v_add_u32_e32 v32, s51, v32
	v_cmp_gt_i32_e64 s[0:1], s53, v32
	s_and_saveexec_b64 s[16:17], s[0:1]
	s_cbranch_execz .LBB95_18
; %bb.17:                               ;   in Loop: Header=BB95_4 Depth=1
	v_add_u32_e32 v14, s60, v29
	v_ashrrev_i32_e32 v15, 31, v14
	v_lshlrev_b64 v[34:35], 3, v[14:15]
	s_waitcnt vmcnt(0)
	v_mov_b32_e32 v24, s48
	v_add_co_u32_e32 v34, vcc, s47, v34
	v_addc_co_u32_e32 v35, vcc, v24, v35, vcc
	v_lshlrev_b64 v[14:15], 2, v[14:15]
	v_mov_b32_e32 v24, s50
	v_add_co_u32_e32 v14, vcc, s49, v14
	global_load_dwordx2 v[34:35], v[34:35], off
	v_addc_co_u32_e32 v15, vcc, v24, v15, vcc
	global_load_dword v24, v[14:15], off
	s_waitcnt vmcnt(1)
	v_mul_f64 v[14:15], s[28:29], v[34:35]
.LBB95_18:                              ;   in Loop: Header=BB95_4 Depth=1
	s_or_b64 exec, exec, s[16:17]
	v_add_u32_e32 v32, s51, v32
	v_cmp_gt_i32_e32 vcc, s53, v32
	s_and_saveexec_b64 s[30:31], vcc
	s_cbranch_execnz .LBB95_27
; %bb.19:                               ;   in Loop: Header=BB95_4 Depth=1
	s_or_b64 exec, exec, s[30:31]
	s_and_saveexec_b64 s[30:31], s[14:15]
	s_cbranch_execnz .LBB95_28
.LBB95_20:                              ;   in Loop: Header=BB95_4 Depth=1
	s_or_b64 exec, exec, s[30:31]
	s_and_saveexec_b64 s[16:17], s[12:13]
	s_cbranch_execnz .LBB95_33
.LBB95_21:                              ;   in Loop: Header=BB95_4 Depth=1
	s_or_b64 exec, exec, s[16:17]
	s_and_saveexec_b64 s[14:15], s[10:11]
	s_cbranch_execnz .LBB95_38
.LBB95_22:                              ;   in Loop: Header=BB95_4 Depth=1
	s_or_b64 exec, exec, s[14:15]
	s_and_saveexec_b64 s[12:13], s[8:9]
	s_cbranch_execnz .LBB95_43
.LBB95_23:                              ;   in Loop: Header=BB95_4 Depth=1
	s_or_b64 exec, exec, s[12:13]
	s_and_saveexec_b64 s[10:11], s[4:5]
	s_cbranch_execnz .LBB95_48
.LBB95_24:                              ;   in Loop: Header=BB95_4 Depth=1
	s_or_b64 exec, exec, s[10:11]
	s_and_saveexec_b64 s[8:9], s[2:3]
	s_cbranch_execnz .LBB95_53
.LBB95_25:                              ;   in Loop: Header=BB95_4 Depth=1
	s_or_b64 exec, exec, s[8:9]
	s_and_saveexec_b64 s[4:5], s[0:1]
	s_cbranch_execnz .LBB95_58
.LBB95_26:                              ;   in Loop: Header=BB95_4 Depth=1
	s_or_b64 exec, exec, s[4:5]
	s_and_saveexec_b64 s[2:3], vcc
	s_cbranch_execz .LBB95_3
	s_branch .LBB95_63
.LBB95_27:                              ;   in Loop: Header=BB95_4 Depth=1
	v_add_u32_e32 v16, s61, v29
	v_ashrrev_i32_e32 v17, 31, v16
	v_lshlrev_b64 v[32:33], 3, v[16:17]
	s_waitcnt vmcnt(0)
	v_mov_b32_e32 v25, s48
	v_add_co_u32_e64 v32, s[16:17], s47, v32
	v_addc_co_u32_e64 v33, s[16:17], v25, v33, s[16:17]
	v_lshlrev_b64 v[16:17], 2, v[16:17]
	v_mov_b32_e32 v25, s50
	v_add_co_u32_e64 v16, s[16:17], s49, v16
	global_load_dwordx2 v[32:33], v[32:33], off
	v_addc_co_u32_e64 v17, s[16:17], v25, v17, s[16:17]
	global_load_dword v25, v[16:17], off
	s_waitcnt vmcnt(1)
	v_mul_f64 v[16:17], s[28:29], v[32:33]
	s_or_b64 exec, exec, s[30:31]
	s_and_saveexec_b64 s[30:31], s[14:15]
	s_cbranch_execz .LBB95_20
.LBB95_28:                              ;   in Loop: Header=BB95_4 Depth=1
	s_waitcnt vmcnt(0) lgkmcnt(0)
	v_cmp_ge_i32_e64 s[14:15], s54, v18
	s_mov_b64 s[34:35], -1
	s_and_saveexec_b64 s[36:37], s[14:15]
; %bb.29:                               ;   in Loop: Header=BB95_4 Depth=1
	v_cmp_eq_u32_e64 s[14:15], s54, v18
	v_cmp_lt_f64_e64 s[16:17], v[2:3], v[26:27]
	s_and_b64 s[14:15], s[14:15], s[16:17]
	s_orn2_b64 s[34:35], s[14:15], exec
; %bb.30:                               ;   in Loop: Header=BB95_4 Depth=1
	s_or_b64 exec, exec, s[36:37]
	v_cmp_eq_u32_e64 s[14:15], s54, v18
	v_cmp_eq_f64_e64 s[16:17], v[2:3], v[26:27]
	s_and_b64 s[14:15], s[14:15], s[16:17]
	s_mov_b64 s[16:17], 0
	s_and_saveexec_b64 s[36:37], s[14:15]
; %bb.31:                               ;   in Loop: Header=BB95_4 Depth=1
	v_add_u32_e32 v32, s7, v29
	v_cmp_gt_i32_e64 s[14:15], s6, v32
	s_and_b64 s[16:17], s[14:15], exec
; %bb.32:                               ;   in Loop: Header=BB95_4 Depth=1
	s_or_b64 exec, exec, s[36:37]
	v_cmp_u_f64_e64 s[14:15], v[2:3], v[2:3]
	v_cndmask_b32_e64 v32, 0, 1, s[34:35]
	v_addc_co_u32_e64 v28, s[14:15], 0, v28, s[14:15]
	v_add_u32_e32 v30, v30, v32
	v_cmp_lt_i32_e64 s[14:15], 0, v18
	v_cndmask_b32_e64 v32, 0, 1, s[16:17]
	v_addc_co_u32_e64 v1, s[14:15], 0, v1, s[14:15]
	v_add_u32_e32 v31, v31, v32
	s_or_b64 exec, exec, s[30:31]
	s_and_saveexec_b64 s[16:17], s[12:13]
	s_cbranch_execz .LBB95_21
.LBB95_33:                              ;   in Loop: Header=BB95_4 Depth=1
	s_waitcnt vmcnt(0) lgkmcnt(0)
	v_cmp_ge_i32_e64 s[12:13], s54, v19
	s_mov_b64 s[30:31], -1
	s_and_saveexec_b64 s[34:35], s[12:13]
; %bb.34:                               ;   in Loop: Header=BB95_4 Depth=1
	v_cmp_eq_u32_e64 s[12:13], s54, v19
	v_cmp_lt_f64_e64 s[14:15], v[4:5], v[26:27]
	s_and_b64 s[12:13], s[12:13], s[14:15]
	s_orn2_b64 s[30:31], s[12:13], exec
; %bb.35:                               ;   in Loop: Header=BB95_4 Depth=1
	s_or_b64 exec, exec, s[34:35]
	v_cmp_eq_u32_e64 s[12:13], s54, v19
	v_cmp_eq_f64_e64 s[14:15], v[4:5], v[26:27]
	s_and_b64 s[12:13], s[12:13], s[14:15]
	s_mov_b64 s[14:15], 0
	s_and_saveexec_b64 s[34:35], s[12:13]
; %bb.36:                               ;   in Loop: Header=BB95_4 Depth=1
	v_add_u32_e32 v32, s62, v29
	v_cmp_gt_i32_e64 s[12:13], s6, v32
	s_and_b64 s[14:15], s[12:13], exec
; %bb.37:                               ;   in Loop: Header=BB95_4 Depth=1
	s_or_b64 exec, exec, s[34:35]
	v_cmp_u_f64_e64 s[12:13], v[4:5], v[4:5]
	v_cndmask_b32_e64 v32, 0, 1, s[30:31]
	v_addc_co_u32_e64 v28, s[12:13], 0, v28, s[12:13]
	v_add_u32_e32 v30, v30, v32
	v_cmp_lt_i32_e64 s[12:13], 0, v19
	v_cndmask_b32_e64 v32, 0, 1, s[14:15]
	v_addc_co_u32_e64 v1, s[12:13], 0, v1, s[12:13]
	v_add_u32_e32 v31, v31, v32
	s_or_b64 exec, exec, s[16:17]
	s_and_saveexec_b64 s[14:15], s[10:11]
	s_cbranch_execz .LBB95_22
.LBB95_38:                              ;   in Loop: Header=BB95_4 Depth=1
	s_waitcnt vmcnt(0) lgkmcnt(0)
	v_cmp_ge_i32_e64 s[10:11], s54, v20
	s_mov_b64 s[16:17], -1
	s_and_saveexec_b64 s[30:31], s[10:11]
; %bb.39:                               ;   in Loop: Header=BB95_4 Depth=1
	v_cmp_eq_u32_e64 s[10:11], s54, v20
	v_cmp_lt_f64_e64 s[12:13], v[6:7], v[26:27]
	s_and_b64 s[10:11], s[10:11], s[12:13]
	s_orn2_b64 s[16:17], s[10:11], exec
; %bb.40:                               ;   in Loop: Header=BB95_4 Depth=1
	s_or_b64 exec, exec, s[30:31]
	v_cmp_eq_u32_e64 s[10:11], s54, v20
	v_cmp_eq_f64_e64 s[12:13], v[6:7], v[26:27]
	s_and_b64 s[10:11], s[10:11], s[12:13]
	s_mov_b64 s[12:13], 0
	s_and_saveexec_b64 s[30:31], s[10:11]
; %bb.41:                               ;   in Loop: Header=BB95_4 Depth=1
	v_add_u32_e32 v32, s56, v29
	v_cmp_gt_i32_e64 s[10:11], s6, v32
	s_and_b64 s[12:13], s[10:11], exec
; %bb.42:                               ;   in Loop: Header=BB95_4 Depth=1
	s_or_b64 exec, exec, s[30:31]
	v_cmp_u_f64_e64 s[10:11], v[6:7], v[6:7]
	v_cndmask_b32_e64 v32, 0, 1, s[16:17]
	v_addc_co_u32_e64 v28, s[10:11], 0, v28, s[10:11]
	v_add_u32_e32 v30, v30, v32
	v_cmp_lt_i32_e64 s[10:11], 0, v20
	v_cndmask_b32_e64 v32, 0, 1, s[12:13]
	v_addc_co_u32_e64 v1, s[10:11], 0, v1, s[10:11]
	v_add_u32_e32 v31, v31, v32
	s_or_b64 exec, exec, s[14:15]
	s_and_saveexec_b64 s[12:13], s[8:9]
	s_cbranch_execz .LBB95_23
.LBB95_43:                              ;   in Loop: Header=BB95_4 Depth=1
	s_waitcnt vmcnt(0) lgkmcnt(0)
	v_cmp_ge_i32_e64 s[8:9], s54, v21
	s_mov_b64 s[14:15], -1
	s_and_saveexec_b64 s[16:17], s[8:9]
; %bb.44:                               ;   in Loop: Header=BB95_4 Depth=1
	v_cmp_eq_u32_e64 s[8:9], s54, v21
	v_cmp_lt_f64_e64 s[10:11], v[8:9], v[26:27]
	s_and_b64 s[8:9], s[8:9], s[10:11]
	s_orn2_b64 s[14:15], s[8:9], exec
; %bb.45:                               ;   in Loop: Header=BB95_4 Depth=1
	s_or_b64 exec, exec, s[16:17]
	v_cmp_eq_u32_e64 s[8:9], s54, v21
	v_cmp_eq_f64_e64 s[10:11], v[8:9], v[26:27]
	s_and_b64 s[8:9], s[8:9], s[10:11]
	s_mov_b64 s[10:11], 0
	s_and_saveexec_b64 s[16:17], s[8:9]
; %bb.46:                               ;   in Loop: Header=BB95_4 Depth=1
	v_add_u32_e32 v32, s57, v29
	v_cmp_gt_i32_e64 s[8:9], s6, v32
	s_and_b64 s[10:11], s[8:9], exec
; %bb.47:                               ;   in Loop: Header=BB95_4 Depth=1
	s_or_b64 exec, exec, s[16:17]
	v_cmp_u_f64_e64 s[8:9], v[8:9], v[8:9]
	v_cndmask_b32_e64 v32, 0, 1, s[14:15]
	v_addc_co_u32_e64 v28, s[8:9], 0, v28, s[8:9]
	v_add_u32_e32 v30, v30, v32
	v_cmp_lt_i32_e64 s[8:9], 0, v21
	v_cndmask_b32_e64 v32, 0, 1, s[10:11]
	v_addc_co_u32_e64 v1, s[8:9], 0, v1, s[8:9]
	v_add_u32_e32 v31, v31, v32
	s_or_b64 exec, exec, s[12:13]
	s_and_saveexec_b64 s[10:11], s[4:5]
	s_cbranch_execz .LBB95_24
.LBB95_48:                              ;   in Loop: Header=BB95_4 Depth=1
	s_waitcnt vmcnt(0) lgkmcnt(0)
	v_cmp_ge_i32_e64 s[4:5], s54, v22
	s_mov_b64 s[12:13], -1
	s_and_saveexec_b64 s[14:15], s[4:5]
; %bb.49:                               ;   in Loop: Header=BB95_4 Depth=1
	v_cmp_eq_u32_e64 s[4:5], s54, v22
	v_cmp_lt_f64_e64 s[8:9], v[10:11], v[26:27]
	s_and_b64 s[4:5], s[4:5], s[8:9]
	s_orn2_b64 s[12:13], s[4:5], exec
; %bb.50:                               ;   in Loop: Header=BB95_4 Depth=1
	s_or_b64 exec, exec, s[14:15]
	v_cmp_eq_u32_e64 s[4:5], s54, v22
	v_cmp_eq_f64_e64 s[8:9], v[10:11], v[26:27]
	s_and_b64 s[4:5], s[4:5], s[8:9]
	s_mov_b64 s[8:9], 0
	s_and_saveexec_b64 s[14:15], s[4:5]
; %bb.51:                               ;   in Loop: Header=BB95_4 Depth=1
	v_add_u32_e32 v32, s58, v29
	v_cmp_gt_i32_e64 s[4:5], s6, v32
	s_and_b64 s[8:9], s[4:5], exec
; %bb.52:                               ;   in Loop: Header=BB95_4 Depth=1
	s_or_b64 exec, exec, s[14:15]
	v_cmp_u_f64_e64 s[4:5], v[10:11], v[10:11]
	v_cndmask_b32_e64 v32, 0, 1, s[12:13]
	v_addc_co_u32_e64 v28, s[4:5], 0, v28, s[4:5]
	v_add_u32_e32 v30, v30, v32
	v_cmp_lt_i32_e64 s[4:5], 0, v22
	v_cndmask_b32_e64 v32, 0, 1, s[8:9]
	v_addc_co_u32_e64 v1, s[4:5], 0, v1, s[4:5]
	v_add_u32_e32 v31, v31, v32
	s_or_b64 exec, exec, s[10:11]
	s_and_saveexec_b64 s[8:9], s[2:3]
	s_cbranch_execz .LBB95_25
.LBB95_53:                              ;   in Loop: Header=BB95_4 Depth=1
	s_waitcnt vmcnt(0) lgkmcnt(0)
	v_cmp_ge_i32_e64 s[2:3], s54, v23
	s_mov_b64 s[10:11], -1
	s_and_saveexec_b64 s[12:13], s[2:3]
; %bb.54:                               ;   in Loop: Header=BB95_4 Depth=1
	v_cmp_eq_u32_e64 s[2:3], s54, v23
	v_cmp_lt_f64_e64 s[4:5], v[12:13], v[26:27]
	s_and_b64 s[2:3], s[2:3], s[4:5]
	s_orn2_b64 s[10:11], s[2:3], exec
; %bb.55:                               ;   in Loop: Header=BB95_4 Depth=1
	s_or_b64 exec, exec, s[12:13]
	v_cmp_eq_u32_e64 s[2:3], s54, v23
	v_cmp_eq_f64_e64 s[4:5], v[12:13], v[26:27]
	s_and_b64 s[2:3], s[2:3], s[4:5]
	s_mov_b64 s[4:5], 0
	s_and_saveexec_b64 s[12:13], s[2:3]
; %bb.56:                               ;   in Loop: Header=BB95_4 Depth=1
	v_add_u32_e32 v32, s59, v29
	v_cmp_gt_i32_e64 s[2:3], s6, v32
	s_and_b64 s[4:5], s[2:3], exec
; %bb.57:                               ;   in Loop: Header=BB95_4 Depth=1
	s_or_b64 exec, exec, s[12:13]
	v_cmp_u_f64_e64 s[2:3], v[12:13], v[12:13]
	v_cndmask_b32_e64 v32, 0, 1, s[10:11]
	v_addc_co_u32_e64 v28, s[2:3], 0, v28, s[2:3]
	v_add_u32_e32 v30, v30, v32
	v_cmp_lt_i32_e64 s[2:3], 0, v23
	v_cndmask_b32_e64 v32, 0, 1, s[4:5]
	v_addc_co_u32_e64 v1, s[2:3], 0, v1, s[2:3]
	v_add_u32_e32 v31, v31, v32
	s_or_b64 exec, exec, s[8:9]
	s_and_saveexec_b64 s[4:5], s[0:1]
	s_cbranch_execz .LBB95_26
.LBB95_58:                              ;   in Loop: Header=BB95_4 Depth=1
	s_waitcnt vmcnt(0) lgkmcnt(0)
	v_cmp_ge_i32_e64 s[0:1], s54, v24
	s_mov_b64 s[8:9], -1
	s_and_saveexec_b64 s[10:11], s[0:1]
; %bb.59:                               ;   in Loop: Header=BB95_4 Depth=1
	v_cmp_eq_u32_e64 s[0:1], s54, v24
	v_cmp_lt_f64_e64 s[2:3], v[14:15], v[26:27]
	s_and_b64 s[0:1], s[0:1], s[2:3]
	s_orn2_b64 s[8:9], s[0:1], exec
; %bb.60:                               ;   in Loop: Header=BB95_4 Depth=1
	s_or_b64 exec, exec, s[10:11]
	v_cmp_eq_u32_e64 s[0:1], s54, v24
	v_cmp_eq_f64_e64 s[2:3], v[14:15], v[26:27]
	s_and_b64 s[0:1], s[0:1], s[2:3]
	s_mov_b64 s[2:3], 0
	s_and_saveexec_b64 s[10:11], s[0:1]
; %bb.61:                               ;   in Loop: Header=BB95_4 Depth=1
	v_add_u32_e32 v32, s60, v29
	v_cmp_gt_i32_e64 s[0:1], s6, v32
	s_and_b64 s[2:3], s[0:1], exec
; %bb.62:                               ;   in Loop: Header=BB95_4 Depth=1
	s_or_b64 exec, exec, s[10:11]
	v_cmp_u_f64_e64 s[0:1], v[14:15], v[14:15]
	v_cndmask_b32_e64 v32, 0, 1, s[8:9]
	v_addc_co_u32_e64 v28, s[0:1], 0, v28, s[0:1]
	v_add_u32_e32 v30, v30, v32
	v_cmp_lt_i32_e64 s[0:1], 0, v24
	v_cndmask_b32_e64 v32, 0, 1, s[2:3]
	v_addc_co_u32_e64 v1, s[0:1], 0, v1, s[0:1]
	v_add_u32_e32 v31, v31, v32
	s_or_b64 exec, exec, s[4:5]
	s_and_saveexec_b64 s[2:3], vcc
	s_cbranch_execz .LBB95_3
.LBB95_63:                              ;   in Loop: Header=BB95_4 Depth=1
	s_waitcnt vmcnt(0) lgkmcnt(0)
	v_cmp_ge_i32_e32 vcc, s54, v25
	s_mov_b64 s[4:5], -1
	s_and_saveexec_b64 s[8:9], vcc
; %bb.64:                               ;   in Loop: Header=BB95_4 Depth=1
	v_cmp_eq_u32_e32 vcc, s54, v25
	v_cmp_lt_f64_e64 s[0:1], v[16:17], v[26:27]
	s_and_b64 s[0:1], vcc, s[0:1]
	s_orn2_b64 s[4:5], s[0:1], exec
; %bb.65:                               ;   in Loop: Header=BB95_4 Depth=1
	s_or_b64 exec, exec, s[8:9]
	v_cmp_eq_u32_e32 vcc, s54, v25
	v_cmp_eq_f64_e64 s[0:1], v[16:17], v[26:27]
	s_and_b64 s[10:11], vcc, s[0:1]
	s_mov_b64 s[0:1], 0
	s_and_saveexec_b64 s[8:9], s[10:11]
	s_cbranch_execz .LBB95_2
; %bb.66:                               ;   in Loop: Header=BB95_4 Depth=1
	v_add_u32_e32 v32, s61, v29
	v_cmp_gt_i32_e32 vcc, s6, v32
	s_and_b64 s[0:1], vcc, exec
	s_branch .LBB95_2
.LBB95_67:
	v_add_u32_e32 v2, v30, v31
	v_cmp_eq_u32_e64 s[0:1], 0, v28
.LBB95_68:
	v_lshlrev_b32_e32 v3, 2, v0
	s_cmp_lt_u32 s51, 2
	ds_write2st64_b32 v3, v1, v2 offset1:8
	s_waitcnt lgkmcnt(0)
	s_barrier
	s_cbranch_scc1 .LBB95_73
; %bb.69:
	v_or_b32_e32 v4, 0x800, v3
	s_lshr_b32 s4, s51, 1
	v_cmp_gt_u32_e32 vcc, s4, v0
	s_and_saveexec_b64 s[2:3], vcc
	s_cbranch_execz .LBB95_71
.LBB95_70:
	s_lshl_b32 s5, s4, 2
	v_add_u32_e32 v5, s5, v4
	v_add_u32_e32 v6, s5, v3
	ds_read_b32 v5, v5
	ds_read_b32 v6, v6
	s_waitcnt lgkmcnt(1)
	v_add_u32_e32 v2, v5, v2
	s_waitcnt lgkmcnt(0)
	v_add_u32_e32 v1, v6, v1
	ds_write_b32 v4, v2
	ds_write_b32 v3, v1
.LBB95_71:                              ; =>This Inner Loop Header: Depth=1
	s_or_b64 exec, exec, s[2:3]
	s_cmp_gt_u32 s51, 3
	s_waitcnt lgkmcnt(0)
	s_barrier
	s_cbranch_scc0 .LBB95_73
; %bb.72:                               ;   in Loop: Header=BB95_71 Depth=1
	s_mov_b32 s51, s4
	s_lshr_b32 s4, s51, 1
	v_cmp_gt_u32_e32 vcc, s4, v0
	s_and_saveexec_b64 s[2:3], vcc
	s_cbranch_execnz .LBB95_70
	s_branch .LBB95_71
.LBB95_73:
	s_xor_b64 s[0:1], s[0:1], -1
	v_cmp_eq_u32_e32 vcc, 0, v0
	s_and_saveexec_b64 s[2:3], vcc
	s_cbranch_execz .LBB95_75
; %bb.74:
	v_add_u32_e32 v2, s7, v2
	s_add_u32 s8, s43, s24
	v_ashrrev_i32_e32 v3, 31, v2
	s_addc_u32 s9, s44, s25
	v_lshlrev_b64 v[4:5], 2, v[2:3]
	v_mov_b32_e32 v0, s9
	v_add_co_u32_e32 v6, vcc, s8, v4
	v_addc_co_u32_e32 v7, vcc, v0, v5, vcc
	global_store_dword v[6:7], v1, off
	v_mov_b32_e32 v1, s40
	v_add_co_u32_e32 v0, vcc, s39, v4
	v_addc_co_u32_e32 v1, vcc, v1, v5, vcc
	v_mov_b32_e32 v4, s6
	global_store_dword v[0:1], v4, off
	v_lshlrev_b64 v[0:1], 3, v[2:3]
	v_mov_b32_e32 v3, s38
	v_add_co_u32_e32 v2, vcc, s33, v0
	s_lshl_b64 s[4:5], s[18:19], 6
	v_addc_co_u32_e32 v3, vcc, v3, v1, vcc
	s_sub_u32 s4, s45, s4
	global_store_dwordx2 v[2:3], v[26:27], off
	v_mov_b32_e32 v3, s42
	v_add_co_u32_e32 v2, vcc, s41, v0
	s_subb_u32 s5, s46, s5
	v_addc_co_u32_e32 v3, vcc, v3, v1, vcc
	v_pk_mov_b32 v[4:5], s[26:27], s[26:27] op_sel:[0,1]
	global_store_dwordx2 v[2:3], v[4:5], off
	v_mov_b32_e32 v2, s5
	v_add_co_u32_e32 v0, vcc, s4, v0
	v_addc_co_u32_e32 v1, vcc, v2, v1, vcc
	v_pk_mov_b32 v[2:3], s[22:23], s[22:23] op_sel:[0,1]
	global_store_dwordx2 v[0:1], v[2:3], off
.LBB95_75:
	s_or_b64 exec, exec, s[2:3]
	s_barrier
	s_and_saveexec_b64 s[2:3], s[0:1]
	s_cbranch_execz .LBB95_77
; %bb.76:
	s_add_u32 s0, s33, s20
	s_addc_u32 s1, s38, s21
	v_mov_b32_e32 v0, 0
	v_mov_b32_e32 v1, 0x7ff80000
	global_store_dwordx2 v0, v[0:1], s[0:1]
.LBB95_77:
	s_endpgm
	.section	.rodata,"a",@progbits
	.p2align	6, 0x0
	.amdhsa_kernel _ZN9rocsolver6v33100L31stedc_mergeValues_SortDZ_kernelIdEEviiPT_lS3_Pi
		.amdhsa_group_segment_fixed_size 4096
		.amdhsa_private_segment_fixed_size 0
		.amdhsa_kernarg_size 296
		.amdhsa_user_sgpr_count 6
		.amdhsa_user_sgpr_private_segment_buffer 1
		.amdhsa_user_sgpr_dispatch_ptr 0
		.amdhsa_user_sgpr_queue_ptr 0
		.amdhsa_user_sgpr_kernarg_segment_ptr 1
		.amdhsa_user_sgpr_dispatch_id 0
		.amdhsa_user_sgpr_flat_scratch_init 0
		.amdhsa_user_sgpr_kernarg_preload_length 0
		.amdhsa_user_sgpr_kernarg_preload_offset 0
		.amdhsa_user_sgpr_private_segment_size 0
		.amdhsa_uses_dynamic_stack 0
		.amdhsa_system_sgpr_private_segment_wavefront_offset 0
		.amdhsa_system_sgpr_workgroup_id_x 1
		.amdhsa_system_sgpr_workgroup_id_y 1
		.amdhsa_system_sgpr_workgroup_id_z 0
		.amdhsa_system_sgpr_workgroup_info 0
		.amdhsa_system_vgpr_workitem_id 0
		.amdhsa_next_free_vgpr 36
		.amdhsa_next_free_sgpr 63
		.amdhsa_accum_offset 36
		.amdhsa_reserve_vcc 1
		.amdhsa_reserve_flat_scratch 0
		.amdhsa_float_round_mode_32 0
		.amdhsa_float_round_mode_16_64 0
		.amdhsa_float_denorm_mode_32 3
		.amdhsa_float_denorm_mode_16_64 3
		.amdhsa_dx10_clamp 1
		.amdhsa_ieee_mode 1
		.amdhsa_fp16_overflow 0
		.amdhsa_tg_split 0
		.amdhsa_exception_fp_ieee_invalid_op 0
		.amdhsa_exception_fp_denorm_src 0
		.amdhsa_exception_fp_ieee_div_zero 0
		.amdhsa_exception_fp_ieee_overflow 0
		.amdhsa_exception_fp_ieee_underflow 0
		.amdhsa_exception_fp_ieee_inexact 0
		.amdhsa_exception_int_div_zero 0
	.end_amdhsa_kernel
	.section	.text._ZN9rocsolver6v33100L31stedc_mergeValues_SortDZ_kernelIdEEviiPT_lS3_Pi,"axG",@progbits,_ZN9rocsolver6v33100L31stedc_mergeValues_SortDZ_kernelIdEEviiPT_lS3_Pi,comdat
.Lfunc_end95:
	.size	_ZN9rocsolver6v33100L31stedc_mergeValues_SortDZ_kernelIdEEviiPT_lS3_Pi, .Lfunc_end95-_ZN9rocsolver6v33100L31stedc_mergeValues_SortDZ_kernelIdEEviiPT_lS3_Pi
                                        ; -- End function
	.section	.AMDGPU.csdata,"",@progbits
; Kernel info:
; codeLenInByte = 3240
; NumSgprs: 67
; NumVgprs: 36
; NumAgprs: 0
; TotalNumVgprs: 36
; ScratchSize: 0
; MemoryBound: 0
; FloatMode: 240
; IeeeMode: 1
; LDSByteSize: 4096 bytes/workgroup (compile time only)
; SGPRBlocks: 8
; VGPRBlocks: 4
; NumSGPRsForWavesPerEU: 67
; NumVGPRsForWavesPerEU: 36
; AccumOffset: 36
; Occupancy: 8
; WaveLimiterHint : 1
; COMPUTE_PGM_RSRC2:SCRATCH_EN: 0
; COMPUTE_PGM_RSRC2:USER_SGPR: 6
; COMPUTE_PGM_RSRC2:TRAP_HANDLER: 0
; COMPUTE_PGM_RSRC2:TGID_X_EN: 1
; COMPUTE_PGM_RSRC2:TGID_Y_EN: 1
; COMPUTE_PGM_RSRC2:TGID_Z_EN: 0
; COMPUTE_PGM_RSRC2:TIDIG_COMP_CNT: 0
; COMPUTE_PGM_RSRC3_GFX90A:ACCUM_OFFSET: 8
; COMPUTE_PGM_RSRC3_GFX90A:TG_SPLIT: 0
	.section	.text._ZN9rocsolver6v33100L30stedc_mergeValues_copyD_kernelIdEEviiPT_lS3_S3_Pi,"axG",@progbits,_ZN9rocsolver6v33100L30stedc_mergeValues_copyD_kernelIdEEviiPT_lS3_S3_Pi,comdat
	.globl	_ZN9rocsolver6v33100L30stedc_mergeValues_copyD_kernelIdEEviiPT_lS3_S3_Pi ; -- Begin function _ZN9rocsolver6v33100L30stedc_mergeValues_copyD_kernelIdEEviiPT_lS3_S3_Pi
	.p2align	8
	.type	_ZN9rocsolver6v33100L30stedc_mergeValues_copyD_kernelIdEEviiPT_lS3_S3_Pi,@function
_ZN9rocsolver6v33100L30stedc_mergeValues_copyD_kernelIdEEviiPT_lS3_S3_Pi: ; @_ZN9rocsolver6v33100L30stedc_mergeValues_copyD_kernelIdEEviiPT_lS3_S3_Pi
; %bb.0:
	s_load_dword s2, s[4:5], 0x4
	s_load_dwordx8 s[8:15], s[4:5], 0x8
	s_load_dwordx2 s[16:17], s[4:5], 0x28
	s_load_dword s20, s[4:5], 0x3c
	s_mov_b32 s0, s7
	s_waitcnt lgkmcnt(0)
	s_mul_i32 s1, s7, s2
	s_mul_i32 s4, s1, 13
	s_ashr_i32 s5, s4, 31
	s_lshl_b64 s[4:5], s[4:5], 2
	s_add_u32 s3, s16, s4
	s_mul_i32 s4, s2, 7
	s_addc_u32 s7, s17, s5
	s_ashr_i32 s5, s4, 31
	s_lshl_b64 s[16:17], s[4:5], 2
	s_add_u32 s21, s3, s16
	s_mul_i32 s16, s1, 10
	s_addc_u32 s22, s7, s17
	s_ashr_i32 s3, s2, 31
	s_ashr_i32 s17, s16, 31
	s_lshl_b64 s[18:19], s[2:3], 2
	s_lshl_b64 s[16:17], s[16:17], 3
	s_add_u32 s3, s12, s16
	s_addc_u32 s7, s13, s17
	s_lshl_b64 s[4:5], s[4:5], 3
	s_add_u32 s3, s3, s4
	s_addc_u32 s16, s7, s5
	s_ashr_i32 s7, s6, 31
	s_lshl_b64 s[4:5], s[6:7], 2
	s_add_u32 s4, s21, s4
	s_addc_u32 s5, s22, s5
	s_sub_u32 s18, s4, s18
	s_subb_u32 s19, s5, s19
	s_load_dword s7, s[4:5], 0x0
	s_load_dword s12, s[18:19], 0x0
	s_and_b32 s13, s20, 0xffff
	s_mul_i32 s4, s6, s13
	v_add_u32_e32 v2, s4, v0
	v_cmp_gt_i32_e32 vcc, s2, v2
	s_and_saveexec_b64 s[4:5], vcc
	s_cbranch_execz .LBB96_2
; %bb.1:
	s_mul_i32 s18, s2, 0xffffffd0
	s_mul_hi_i32 s17, s2, 0xffffffd0
	s_add_u32 s18, s3, s18
	v_ashrrev_i32_e32 v3, 31, v2
	s_addc_u32 s17, s16, s17
	v_lshlrev_b64 v[2:3], 3, v[2:3]
	v_mov_b32_e32 v1, s17
	v_add_co_u32_e32 v4, vcc, s18, v2
	v_addc_co_u32_e32 v5, vcc, v1, v3, vcc
	global_load_dwordx2 v[4:5], v[4:5], off
	s_ashr_i32 s17, s0, 31
	s_mul_i32 s11, s0, s11
	s_mul_hi_u32 s18, s0, s10
	s_add_i32 s11, s18, s11
	s_mul_i32 s17, s17, s10
	s_add_i32 s11, s11, s17
	s_mul_i32 s10, s0, s10
	s_lshl_b64 s[10:11], s[10:11], 3
	s_add_u32 s0, s8, s10
	s_addc_u32 s8, s9, s11
	v_mov_b32_e32 v1, s8
	v_add_co_u32_e32 v2, vcc, s0, v2
	v_addc_co_u32_e32 v3, vcc, v1, v3, vcc
	s_waitcnt vmcnt(0)
	global_store_dwordx2 v[2:3], v[4:5], off
.LBB96_2:
	s_or_b64 exec, exec, s[4:5]
	s_waitcnt lgkmcnt(0)
	v_cmp_gt_i32_e32 vcc, s7, v0
	s_and_saveexec_b64 s[4:5], vcc
	s_cbranch_execz .LBB96_5
; %bb.3:
	s_mul_i32 s1, s1, s2
	s_lshl_b32 s0, s1, 1
	s_ashr_i32 s1, s0, 31
	s_lshl_b64 s[0:1], s[0:1], 3
	s_add_u32 s4, s14, s0
	s_addc_u32 s5, s15, s1
	s_mul_i32 s0, s2, s2
	s_mov_b32 s1, 0
	s_lshl_b64 s[0:1], s[0:1], 3
	s_add_u32 s4, s4, s0
	s_addc_u32 s5, s5, s1
	s_mul_i32 s2, s6, s2
	s_mov_b64 s[0:1], 0
	v_mov_b32_e32 v1, s16
	v_mov_b32_e32 v2, s5
.LBB96_4:                               ; =>This Inner Loop Header: Depth=1
	v_add_u32_e32 v4, s12, v0
	v_ashrrev_i32_e32 v5, 31, v4
	v_lshlrev_b64 v[4:5], 3, v[4:5]
	v_add_co_u32_e32 v4, vcc, s3, v4
	v_addc_co_u32_e32 v5, vcc, v1, v5, vcc
	global_load_dwordx2 v[4:5], v[4:5], off
	v_add_u32_e32 v6, s2, v0
	v_add_u32_e32 v0, s13, v0
	v_ashrrev_i32_e32 v7, 31, v6
	v_cmp_le_i32_e32 vcc, s7, v0
	v_lshlrev_b64 v[6:7], 3, v[6:7]
	s_or_b64 s[0:1], vcc, s[0:1]
	v_add_co_u32_e32 v6, vcc, s4, v6
	v_addc_co_u32_e32 v7, vcc, v2, v7, vcc
	s_waitcnt vmcnt(0)
	global_store_dwordx2 v[6:7], v[4:5], off
	s_andn2_b64 exec, exec, s[0:1]
	s_cbranch_execnz .LBB96_4
.LBB96_5:
	s_endpgm
	.section	.rodata,"a",@progbits
	.p2align	6, 0x0
	.amdhsa_kernel _ZN9rocsolver6v33100L30stedc_mergeValues_copyD_kernelIdEEviiPT_lS3_S3_Pi
		.amdhsa_group_segment_fixed_size 0
		.amdhsa_private_segment_fixed_size 0
		.amdhsa_kernarg_size 304
		.amdhsa_user_sgpr_count 6
		.amdhsa_user_sgpr_private_segment_buffer 1
		.amdhsa_user_sgpr_dispatch_ptr 0
		.amdhsa_user_sgpr_queue_ptr 0
		.amdhsa_user_sgpr_kernarg_segment_ptr 1
		.amdhsa_user_sgpr_dispatch_id 0
		.amdhsa_user_sgpr_flat_scratch_init 0
		.amdhsa_user_sgpr_kernarg_preload_length 0
		.amdhsa_user_sgpr_kernarg_preload_offset 0
		.amdhsa_user_sgpr_private_segment_size 0
		.amdhsa_uses_dynamic_stack 0
		.amdhsa_system_sgpr_private_segment_wavefront_offset 0
		.amdhsa_system_sgpr_workgroup_id_x 1
		.amdhsa_system_sgpr_workgroup_id_y 1
		.amdhsa_system_sgpr_workgroup_id_z 0
		.amdhsa_system_sgpr_workgroup_info 0
		.amdhsa_system_vgpr_workitem_id 0
		.amdhsa_next_free_vgpr 8
		.amdhsa_next_free_sgpr 23
		.amdhsa_accum_offset 8
		.amdhsa_reserve_vcc 1
		.amdhsa_reserve_flat_scratch 0
		.amdhsa_float_round_mode_32 0
		.amdhsa_float_round_mode_16_64 0
		.amdhsa_float_denorm_mode_32 3
		.amdhsa_float_denorm_mode_16_64 3
		.amdhsa_dx10_clamp 1
		.amdhsa_ieee_mode 1
		.amdhsa_fp16_overflow 0
		.amdhsa_tg_split 0
		.amdhsa_exception_fp_ieee_invalid_op 0
		.amdhsa_exception_fp_denorm_src 0
		.amdhsa_exception_fp_ieee_div_zero 0
		.amdhsa_exception_fp_ieee_overflow 0
		.amdhsa_exception_fp_ieee_underflow 0
		.amdhsa_exception_fp_ieee_inexact 0
		.amdhsa_exception_int_div_zero 0
	.end_amdhsa_kernel
	.section	.text._ZN9rocsolver6v33100L30stedc_mergeValues_copyD_kernelIdEEviiPT_lS3_S3_Pi,"axG",@progbits,_ZN9rocsolver6v33100L30stedc_mergeValues_copyD_kernelIdEEviiPT_lS3_S3_Pi,comdat
.Lfunc_end96:
	.size	_ZN9rocsolver6v33100L30stedc_mergeValues_copyD_kernelIdEEviiPT_lS3_S3_Pi, .Lfunc_end96-_ZN9rocsolver6v33100L30stedc_mergeValues_copyD_kernelIdEEviiPT_lS3_S3_Pi
                                        ; -- End function
	.section	.AMDGPU.csdata,"",@progbits
; Kernel info:
; codeLenInByte = 484
; NumSgprs: 27
; NumVgprs: 8
; NumAgprs: 0
; TotalNumVgprs: 8
; ScratchSize: 0
; MemoryBound: 0
; FloatMode: 240
; IeeeMode: 1
; LDSByteSize: 0 bytes/workgroup (compile time only)
; SGPRBlocks: 3
; VGPRBlocks: 0
; NumSGPRsForWavesPerEU: 27
; NumVGPRsForWavesPerEU: 8
; AccumOffset: 8
; Occupancy: 8
; WaveLimiterHint : 1
; COMPUTE_PGM_RSRC2:SCRATCH_EN: 0
; COMPUTE_PGM_RSRC2:USER_SGPR: 6
; COMPUTE_PGM_RSRC2:TRAP_HANDLER: 0
; COMPUTE_PGM_RSRC2:TGID_X_EN: 1
; COMPUTE_PGM_RSRC2:TGID_Y_EN: 1
; COMPUTE_PGM_RSRC2:TGID_Z_EN: 0
; COMPUTE_PGM_RSRC2:TIDIG_COMP_CNT: 0
; COMPUTE_PGM_RSRC3_GFX90A:ACCUM_OFFSET: 1
; COMPUTE_PGM_RSRC3_GFX90A:TG_SPLIT: 0
	.section	.text._ZN9rocsolver6v33100L11stedc_copyCIdPdS2_EEviT0_iilT1_iil,"axG",@progbits,_ZN9rocsolver6v33100L11stedc_copyCIdPdS2_EEviT0_iilT1_iil,comdat
	.globl	_ZN9rocsolver6v33100L11stedc_copyCIdPdS2_EEviT0_iilT1_iil ; -- Begin function _ZN9rocsolver6v33100L11stedc_copyCIdPdS2_EEviT0_iilT1_iil
	.p2align	8
	.type	_ZN9rocsolver6v33100L11stedc_copyCIdPdS2_EEviT0_iilT1_iil,@function
_ZN9rocsolver6v33100L11stedc_copyCIdPdS2_EEviT0_iilT1_iil: ; @_ZN9rocsolver6v33100L11stedc_copyCIdPdS2_EEviT0_iilT1_iil
; %bb.0:
	s_load_dword s0, s[4:5], 0x44
	s_load_dword s37, s[4:5], 0x0
	s_waitcnt lgkmcnt(0)
	s_and_b32 s33, s0, 0xffff
	s_lshl_b32 s36, s33, 4
	v_cvt_f32_u32_e32 v1, s36
	s_sub_i32 s2, 0, s36
	s_add_i32 s0, s37, -1
	s_ashr_i32 s1, s0, 31
	v_rcp_iflag_f32_e32 v1, v1
	s_abs_i32 s0, s0
	v_mul_f32_e32 v1, 0x4f7ffffe, v1
	v_cvt_u32_f32_e32 v1, v1
	v_readfirstlane_b32 s3, v1
	s_mul_i32 s2, s2, s3
	s_mul_hi_u32 s2, s3, s2
	s_add_i32 s3, s3, s2
	s_mul_hi_u32 s2, s0, s3
	s_mul_i32 s3, s2, s36
	s_sub_i32 s0, s0, s3
	s_add_i32 s8, s2, 1
	s_sub_i32 s3, s0, s36
	s_cmp_ge_u32 s0, s36
	s_cselect_b32 s2, s8, s2
	s_cselect_b32 s0, s3, s0
	s_add_i32 s3, s2, 1
	s_cmp_ge_u32 s0, s36
	s_cselect_b32 s0, s3, s2
	s_xor_b32 s0, s0, s1
	s_sub_i32 s16, s0, s1
	s_cmp_lt_i32 s16, 0
	s_cbranch_scc1 .LBB97_67
; %bb.1:
	s_load_dwordx8 s[8:15], s[4:5], 0x8
	s_load_dwordx4 s[0:3], s[4:5], 0x28
	s_ashr_i32 s17, s7, 31
	s_mul_i32 s44, s33, 3
	s_mul_i32 s46, s33, 5
	s_waitcnt lgkmcnt(0)
	s_ashr_i32 s5, s10, 31
	s_mov_b32 s4, s10
	s_mul_i32 s10, s7, s13
	s_mul_hi_u32 s13, s7, s12
	s_add_i32 s10, s13, s10
	s_mul_i32 s13, s17, s12
	s_add_i32 s13, s10, s13
	s_mul_i32 s12, s7, s12
	s_lshl_b64 s[12:13], s[12:13], 3
	s_add_u32 s8, s8, s12
	s_addc_u32 s9, s9, s13
	s_lshl_b64 s[4:5], s[4:5], 3
	s_add_u32 s8, s8, s4
	s_addc_u32 s9, s9, s5
	s_ashr_i32 s5, s0, 31
	s_mov_b32 s4, s0
	s_mul_i32 s0, s7, s3
	s_mul_hi_u32 s3, s7, s2
	s_add_i32 s0, s3, s0
	s_mul_i32 s17, s17, s2
	s_add_i32 s3, s0, s17
	s_mul_i32 s2, s7, s2
	s_lshl_b64 s[2:3], s[2:3], 3
	s_add_u32 s0, s14, s2
	s_addc_u32 s7, s15, s3
	s_lshl_b64 s[2:3], s[4:5], 3
	s_add_u32 s4, s0, s2
	s_mul_i32 s2, s6, s11
	s_addc_u32 s5, s7, s3
	s_ashr_i32 s3, s2, 31
	s_lshl_b64 s[2:3], s[2:3], 3
	s_add_u32 s38, s8, s2
	s_mul_i32 s0, s6, s1
	s_addc_u32 s39, s9, s3
	s_ashr_i32 s1, s0, 31
	s_lshl_b64 s[0:1], s[0:1], 3
	s_add_u32 s40, s4, s0
	s_addc_u32 s41, s5, s1
	s_add_i32 s42, s16, 1
	s_lshl_b32 s43, s33, 1
	s_lshl_b32 s45, s33, 2
	s_mul_i32 s47, s33, 6
	s_mul_i32 s48, s33, 7
	s_lshl_b32 s49, s33, 3
	s_mul_i32 s50, s33, 9
	s_mul_i32 s51, s33, 10
	;; [unrolled: 1-line block ×7, first 2 shown]
                                        ; implicit-def: $vgpr2_vgpr3_vgpr4_vgpr5_vgpr6_vgpr7_vgpr8_vgpr9_vgpr10_vgpr11_vgpr12_vgpr13_vgpr14_vgpr15_vgpr16_vgpr17_vgpr18_vgpr19_vgpr20_vgpr21_vgpr22_vgpr23_vgpr24_vgpr25_vgpr26_vgpr27_vgpr28_vgpr29_vgpr30_vgpr31_vgpr32_vgpr33
	s_branch .LBB97_3
.LBB97_2:                               ;   in Loop: Header=BB97_3 Depth=1
	s_or_b64 exec, exec, s[0:1]
	s_add_i32 s42, s42, -1
	s_cmp_eq_u32 s42, 0
	v_add_u32_e32 v0, s36, v0
	s_cbranch_scc1 .LBB97_67
.LBB97_3:                               ; =>This Inner Loop Header: Depth=1
	v_cmp_gt_i32_e32 vcc, s37, v0
	v_ashrrev_i32_e32 v1, 31, v0
	s_and_saveexec_b64 s[2:3], vcc
	s_cbranch_execz .LBB97_5
; %bb.4:                                ;   in Loop: Header=BB97_3 Depth=1
	s_waitcnt vmcnt(0)
	v_lshlrev_b64 v[2:3], 3, v[0:1]
	v_mov_b32_e32 v34, s39
	v_add_co_u32_e64 v2, s[0:1], s38, v2
	v_addc_co_u32_e64 v3, s[0:1], v34, v3, s[0:1]
	global_load_dwordx2 v[2:3], v[2:3], off
.LBB97_5:                               ;   in Loop: Header=BB97_3 Depth=1
	s_or_b64 exec, exec, s[2:3]
	v_add_u32_e32 v34, s33, v0
	v_cmp_gt_i32_e64 s[0:1], s37, v34
	v_ashrrev_i32_e32 v35, 31, v34
	s_and_saveexec_b64 s[4:5], s[0:1]
	s_cbranch_execz .LBB97_7
; %bb.6:                                ;   in Loop: Header=BB97_3 Depth=1
	s_waitcnt vmcnt(0)
	v_lshlrev_b64 v[4:5], 3, v[34:35]
	v_mov_b32_e32 v36, s39
	v_add_co_u32_e64 v4, s[2:3], s38, v4
	v_addc_co_u32_e64 v5, s[2:3], v36, v5, s[2:3]
	global_load_dwordx2 v[4:5], v[4:5], off
.LBB97_7:                               ;   in Loop: Header=BB97_3 Depth=1
	s_or_b64 exec, exec, s[4:5]
	v_add_u32_e32 v36, s43, v0
	v_add_u32_e32 v39, s33, v34
	v_cmp_gt_i32_e64 s[2:3], s37, v39
	v_ashrrev_i32_e32 v37, 31, v36
	s_and_saveexec_b64 s[6:7], s[2:3]
	s_cbranch_execz .LBB97_9
; %bb.8:                                ;   in Loop: Header=BB97_3 Depth=1
	s_waitcnt vmcnt(0)
	v_lshlrev_b64 v[6:7], 3, v[36:37]
	v_mov_b32_e32 v38, s39
	v_add_co_u32_e64 v6, s[4:5], s38, v6
	v_addc_co_u32_e64 v7, s[4:5], v38, v7, s[4:5]
	global_load_dwordx2 v[6:7], v[6:7], off
.LBB97_9:                               ;   in Loop: Header=BB97_3 Depth=1
	s_or_b64 exec, exec, s[6:7]
	v_add_u32_e32 v38, s44, v0
	v_add_u32_e32 v41, s33, v39
	v_cmp_gt_i32_e64 s[4:5], s37, v41
	v_ashrrev_i32_e32 v39, 31, v38
	s_and_saveexec_b64 s[8:9], s[4:5]
	s_cbranch_execz .LBB97_11
; %bb.10:                               ;   in Loop: Header=BB97_3 Depth=1
	s_waitcnt vmcnt(0)
	v_lshlrev_b64 v[8:9], 3, v[38:39]
	v_mov_b32_e32 v40, s39
	v_add_co_u32_e64 v8, s[6:7], s38, v8
	v_addc_co_u32_e64 v9, s[6:7], v40, v9, s[6:7]
	global_load_dwordx2 v[8:9], v[8:9], off
.LBB97_11:                              ;   in Loop: Header=BB97_3 Depth=1
	s_or_b64 exec, exec, s[8:9]
	v_add_u32_e32 v40, s45, v0
	v_add_u32_e32 v43, s33, v41
	v_cmp_gt_i32_e64 s[6:7], s37, v43
	v_ashrrev_i32_e32 v41, 31, v40
	s_and_saveexec_b64 s[10:11], s[6:7]
	s_cbranch_execz .LBB97_13
; %bb.12:                               ;   in Loop: Header=BB97_3 Depth=1
	s_waitcnt vmcnt(0)
	v_lshlrev_b64 v[10:11], 3, v[40:41]
	v_mov_b32_e32 v42, s39
	v_add_co_u32_e64 v10, s[8:9], s38, v10
	v_addc_co_u32_e64 v11, s[8:9], v42, v11, s[8:9]
	global_load_dwordx2 v[10:11], v[10:11], off
.LBB97_13:                              ;   in Loop: Header=BB97_3 Depth=1
	;; [unrolled: 15-line block ×12, first 2 shown]
	s_or_b64 exec, exec, s[30:31]
	v_add_u32_e32 v62, s56, v0
	v_add_u32_e32 v63, s33, v63
	v_cmp_gt_i32_e64 s[28:29], s37, v63
	v_ashrrev_i32_e32 v63, 31, v62
	s_and_saveexec_b64 s[34:35], s[28:29]
	s_cbranch_execnz .LBB97_50
; %bb.34:                               ;   in Loop: Header=BB97_3 Depth=1
	s_or_b64 exec, exec, s[34:35]
	s_and_saveexec_b64 s[30:31], vcc
	s_cbranch_execnz .LBB97_51
.LBB97_35:                              ;   in Loop: Header=BB97_3 Depth=1
	s_or_b64 exec, exec, s[30:31]
	s_and_saveexec_b64 s[30:31], s[0:1]
	s_cbranch_execnz .LBB97_52
.LBB97_36:                              ;   in Loop: Header=BB97_3 Depth=1
	s_or_b64 exec, exec, s[30:31]
	s_and_saveexec_b64 s[0:1], s[2:3]
	s_cbranch_execnz .LBB97_53
.LBB97_37:                              ;   in Loop: Header=BB97_3 Depth=1
	s_or_b64 exec, exec, s[0:1]
	s_and_saveexec_b64 s[0:1], s[4:5]
	s_cbranch_execnz .LBB97_54
.LBB97_38:                              ;   in Loop: Header=BB97_3 Depth=1
	s_or_b64 exec, exec, s[0:1]
	s_and_saveexec_b64 s[0:1], s[6:7]
	s_cbranch_execnz .LBB97_55
.LBB97_39:                              ;   in Loop: Header=BB97_3 Depth=1
	s_or_b64 exec, exec, s[0:1]
	s_and_saveexec_b64 s[0:1], s[8:9]
	s_cbranch_execnz .LBB97_56
.LBB97_40:                              ;   in Loop: Header=BB97_3 Depth=1
	s_or_b64 exec, exec, s[0:1]
	s_and_saveexec_b64 s[0:1], s[10:11]
	s_cbranch_execnz .LBB97_57
.LBB97_41:                              ;   in Loop: Header=BB97_3 Depth=1
	s_or_b64 exec, exec, s[0:1]
	s_and_saveexec_b64 s[0:1], s[12:13]
	s_cbranch_execnz .LBB97_58
.LBB97_42:                              ;   in Loop: Header=BB97_3 Depth=1
	s_or_b64 exec, exec, s[0:1]
	s_and_saveexec_b64 s[0:1], s[14:15]
	s_cbranch_execnz .LBB97_59
.LBB97_43:                              ;   in Loop: Header=BB97_3 Depth=1
	s_or_b64 exec, exec, s[0:1]
	s_and_saveexec_b64 s[0:1], s[16:17]
	s_cbranch_execnz .LBB97_60
.LBB97_44:                              ;   in Loop: Header=BB97_3 Depth=1
	s_or_b64 exec, exec, s[0:1]
	s_and_saveexec_b64 s[0:1], s[18:19]
	s_cbranch_execnz .LBB97_61
.LBB97_45:                              ;   in Loop: Header=BB97_3 Depth=1
	s_or_b64 exec, exec, s[0:1]
	s_and_saveexec_b64 s[0:1], s[20:21]
	s_cbranch_execnz .LBB97_62
.LBB97_46:                              ;   in Loop: Header=BB97_3 Depth=1
	s_or_b64 exec, exec, s[0:1]
	s_and_saveexec_b64 s[0:1], s[22:23]
	s_cbranch_execnz .LBB97_63
.LBB97_47:                              ;   in Loop: Header=BB97_3 Depth=1
	s_or_b64 exec, exec, s[0:1]
	s_and_saveexec_b64 s[0:1], s[24:25]
	s_cbranch_execnz .LBB97_64
.LBB97_48:                              ;   in Loop: Header=BB97_3 Depth=1
	s_or_b64 exec, exec, s[0:1]
	s_and_saveexec_b64 s[0:1], s[26:27]
	s_cbranch_execnz .LBB97_65
.LBB97_49:                              ;   in Loop: Header=BB97_3 Depth=1
	s_or_b64 exec, exec, s[0:1]
	s_and_saveexec_b64 s[0:1], s[28:29]
	s_cbranch_execz .LBB97_2
	s_branch .LBB97_66
.LBB97_50:                              ;   in Loop: Header=BB97_3 Depth=1
	s_waitcnt vmcnt(0)
	v_lshlrev_b64 v[32:33], 3, v[62:63]
	v_mov_b32_e32 v64, s39
	v_add_co_u32_e64 v32, s[30:31], s38, v32
	v_addc_co_u32_e64 v33, s[30:31], v64, v33, s[30:31]
	global_load_dwordx2 v[32:33], v[32:33], off
	s_or_b64 exec, exec, s[34:35]
	s_and_saveexec_b64 s[30:31], vcc
	s_cbranch_execz .LBB97_35
.LBB97_51:                              ;   in Loop: Header=BB97_3 Depth=1
	v_lshlrev_b64 v[64:65], 3, v[0:1]
	v_mov_b32_e32 v1, s41
	v_add_co_u32_e32 v64, vcc, s40, v64
	v_addc_co_u32_e32 v65, vcc, v1, v65, vcc
	s_waitcnt vmcnt(0)
	global_store_dwordx2 v[64:65], v[2:3], off
	s_or_b64 exec, exec, s[30:31]
	s_and_saveexec_b64 s[30:31], s[0:1]
	s_cbranch_execz .LBB97_36
.LBB97_52:                              ;   in Loop: Header=BB97_3 Depth=1
	v_lshlrev_b64 v[34:35], 3, v[34:35]
	v_mov_b32_e32 v1, s41
	v_add_co_u32_e32 v34, vcc, s40, v34
	v_addc_co_u32_e32 v35, vcc, v1, v35, vcc
	s_waitcnt vmcnt(0)
	global_store_dwordx2 v[34:35], v[4:5], off
	s_or_b64 exec, exec, s[30:31]
	s_and_saveexec_b64 s[0:1], s[2:3]
	s_cbranch_execz .LBB97_37
.LBB97_53:                              ;   in Loop: Header=BB97_3 Depth=1
	v_lshlrev_b64 v[34:35], 3, v[36:37]
	v_mov_b32_e32 v1, s41
	v_add_co_u32_e32 v34, vcc, s40, v34
	v_addc_co_u32_e32 v35, vcc, v1, v35, vcc
	s_waitcnt vmcnt(0)
	global_store_dwordx2 v[34:35], v[6:7], off
	s_or_b64 exec, exec, s[0:1]
	s_and_saveexec_b64 s[0:1], s[4:5]
	s_cbranch_execz .LBB97_38
.LBB97_54:                              ;   in Loop: Header=BB97_3 Depth=1
	v_lshlrev_b64 v[34:35], 3, v[38:39]
	v_mov_b32_e32 v1, s41
	v_add_co_u32_e32 v34, vcc, s40, v34
	v_addc_co_u32_e32 v35, vcc, v1, v35, vcc
	s_waitcnt vmcnt(0)
	global_store_dwordx2 v[34:35], v[8:9], off
	s_or_b64 exec, exec, s[0:1]
	s_and_saveexec_b64 s[0:1], s[6:7]
	s_cbranch_execz .LBB97_39
.LBB97_55:                              ;   in Loop: Header=BB97_3 Depth=1
	v_lshlrev_b64 v[34:35], 3, v[40:41]
	v_mov_b32_e32 v1, s41
	v_add_co_u32_e32 v34, vcc, s40, v34
	v_addc_co_u32_e32 v35, vcc, v1, v35, vcc
	s_waitcnt vmcnt(0)
	global_store_dwordx2 v[34:35], v[10:11], off
	s_or_b64 exec, exec, s[0:1]
	s_and_saveexec_b64 s[0:1], s[8:9]
	s_cbranch_execz .LBB97_40
.LBB97_56:                              ;   in Loop: Header=BB97_3 Depth=1
	v_lshlrev_b64 v[34:35], 3, v[42:43]
	v_mov_b32_e32 v1, s41
	v_add_co_u32_e32 v34, vcc, s40, v34
	v_addc_co_u32_e32 v35, vcc, v1, v35, vcc
	s_waitcnt vmcnt(0)
	global_store_dwordx2 v[34:35], v[12:13], off
	s_or_b64 exec, exec, s[0:1]
	s_and_saveexec_b64 s[0:1], s[10:11]
	s_cbranch_execz .LBB97_41
.LBB97_57:                              ;   in Loop: Header=BB97_3 Depth=1
	v_lshlrev_b64 v[34:35], 3, v[44:45]
	v_mov_b32_e32 v1, s41
	v_add_co_u32_e32 v34, vcc, s40, v34
	v_addc_co_u32_e32 v35, vcc, v1, v35, vcc
	s_waitcnt vmcnt(0)
	global_store_dwordx2 v[34:35], v[14:15], off
	s_or_b64 exec, exec, s[0:1]
	s_and_saveexec_b64 s[0:1], s[12:13]
	s_cbranch_execz .LBB97_42
.LBB97_58:                              ;   in Loop: Header=BB97_3 Depth=1
	v_lshlrev_b64 v[34:35], 3, v[46:47]
	v_mov_b32_e32 v1, s41
	v_add_co_u32_e32 v34, vcc, s40, v34
	v_addc_co_u32_e32 v35, vcc, v1, v35, vcc
	s_waitcnt vmcnt(0)
	global_store_dwordx2 v[34:35], v[16:17], off
	s_or_b64 exec, exec, s[0:1]
	s_and_saveexec_b64 s[0:1], s[14:15]
	s_cbranch_execz .LBB97_43
.LBB97_59:                              ;   in Loop: Header=BB97_3 Depth=1
	v_lshlrev_b64 v[34:35], 3, v[48:49]
	v_mov_b32_e32 v1, s41
	v_add_co_u32_e32 v34, vcc, s40, v34
	v_addc_co_u32_e32 v35, vcc, v1, v35, vcc
	s_waitcnt vmcnt(0)
	global_store_dwordx2 v[34:35], v[18:19], off
	s_or_b64 exec, exec, s[0:1]
	s_and_saveexec_b64 s[0:1], s[16:17]
	s_cbranch_execz .LBB97_44
.LBB97_60:                              ;   in Loop: Header=BB97_3 Depth=1
	v_lshlrev_b64 v[34:35], 3, v[50:51]
	v_mov_b32_e32 v1, s41
	v_add_co_u32_e32 v34, vcc, s40, v34
	v_addc_co_u32_e32 v35, vcc, v1, v35, vcc
	s_waitcnt vmcnt(0)
	global_store_dwordx2 v[34:35], v[20:21], off
	s_or_b64 exec, exec, s[0:1]
	s_and_saveexec_b64 s[0:1], s[18:19]
	s_cbranch_execz .LBB97_45
.LBB97_61:                              ;   in Loop: Header=BB97_3 Depth=1
	v_lshlrev_b64 v[34:35], 3, v[52:53]
	v_mov_b32_e32 v1, s41
	v_add_co_u32_e32 v34, vcc, s40, v34
	v_addc_co_u32_e32 v35, vcc, v1, v35, vcc
	s_waitcnt vmcnt(0)
	global_store_dwordx2 v[34:35], v[22:23], off
	s_or_b64 exec, exec, s[0:1]
	s_and_saveexec_b64 s[0:1], s[20:21]
	s_cbranch_execz .LBB97_46
.LBB97_62:                              ;   in Loop: Header=BB97_3 Depth=1
	v_lshlrev_b64 v[34:35], 3, v[54:55]
	v_mov_b32_e32 v1, s41
	v_add_co_u32_e32 v34, vcc, s40, v34
	v_addc_co_u32_e32 v35, vcc, v1, v35, vcc
	s_waitcnt vmcnt(0)
	global_store_dwordx2 v[34:35], v[24:25], off
	s_or_b64 exec, exec, s[0:1]
	s_and_saveexec_b64 s[0:1], s[22:23]
	s_cbranch_execz .LBB97_47
.LBB97_63:                              ;   in Loop: Header=BB97_3 Depth=1
	v_lshlrev_b64 v[34:35], 3, v[56:57]
	v_mov_b32_e32 v1, s41
	v_add_co_u32_e32 v34, vcc, s40, v34
	v_addc_co_u32_e32 v35, vcc, v1, v35, vcc
	s_waitcnt vmcnt(0)
	global_store_dwordx2 v[34:35], v[26:27], off
	s_or_b64 exec, exec, s[0:1]
	s_and_saveexec_b64 s[0:1], s[24:25]
	s_cbranch_execz .LBB97_48
.LBB97_64:                              ;   in Loop: Header=BB97_3 Depth=1
	v_lshlrev_b64 v[34:35], 3, v[58:59]
	v_mov_b32_e32 v1, s41
	v_add_co_u32_e32 v34, vcc, s40, v34
	v_addc_co_u32_e32 v35, vcc, v1, v35, vcc
	s_waitcnt vmcnt(0)
	global_store_dwordx2 v[34:35], v[28:29], off
	s_or_b64 exec, exec, s[0:1]
	s_and_saveexec_b64 s[0:1], s[26:27]
	s_cbranch_execz .LBB97_49
.LBB97_65:                              ;   in Loop: Header=BB97_3 Depth=1
	v_lshlrev_b64 v[34:35], 3, v[60:61]
	v_mov_b32_e32 v1, s41
	v_add_co_u32_e32 v34, vcc, s40, v34
	v_addc_co_u32_e32 v35, vcc, v1, v35, vcc
	s_waitcnt vmcnt(0)
	global_store_dwordx2 v[34:35], v[30:31], off
	s_or_b64 exec, exec, s[0:1]
	s_and_saveexec_b64 s[0:1], s[28:29]
	s_cbranch_execz .LBB97_2
.LBB97_66:                              ;   in Loop: Header=BB97_3 Depth=1
	v_lshlrev_b64 v[34:35], 3, v[62:63]
	v_mov_b32_e32 v1, s41
	v_add_co_u32_e32 v34, vcc, s40, v34
	v_addc_co_u32_e32 v35, vcc, v1, v35, vcc
	s_waitcnt vmcnt(0)
	global_store_dwordx2 v[34:35], v[32:33], off
	s_branch .LBB97_2
.LBB97_67:
	s_endpgm
	.section	.rodata,"a",@progbits
	.p2align	6, 0x0
	.amdhsa_kernel _ZN9rocsolver6v33100L11stedc_copyCIdPdS2_EEviT0_iilT1_iil
		.amdhsa_group_segment_fixed_size 0
		.amdhsa_private_segment_fixed_size 0
		.amdhsa_kernarg_size 312
		.amdhsa_user_sgpr_count 6
		.amdhsa_user_sgpr_private_segment_buffer 1
		.amdhsa_user_sgpr_dispatch_ptr 0
		.amdhsa_user_sgpr_queue_ptr 0
		.amdhsa_user_sgpr_kernarg_segment_ptr 1
		.amdhsa_user_sgpr_dispatch_id 0
		.amdhsa_user_sgpr_flat_scratch_init 0
		.amdhsa_user_sgpr_kernarg_preload_length 0
		.amdhsa_user_sgpr_kernarg_preload_offset 0
		.amdhsa_user_sgpr_private_segment_size 0
		.amdhsa_uses_dynamic_stack 0
		.amdhsa_system_sgpr_private_segment_wavefront_offset 0
		.amdhsa_system_sgpr_workgroup_id_x 1
		.amdhsa_system_sgpr_workgroup_id_y 1
		.amdhsa_system_sgpr_workgroup_id_z 0
		.amdhsa_system_sgpr_workgroup_info 0
		.amdhsa_system_vgpr_workitem_id 0
		.amdhsa_next_free_vgpr 66
		.amdhsa_next_free_sgpr 57
		.amdhsa_accum_offset 68
		.amdhsa_reserve_vcc 1
		.amdhsa_reserve_flat_scratch 0
		.amdhsa_float_round_mode_32 0
		.amdhsa_float_round_mode_16_64 0
		.amdhsa_float_denorm_mode_32 3
		.amdhsa_float_denorm_mode_16_64 3
		.amdhsa_dx10_clamp 1
		.amdhsa_ieee_mode 1
		.amdhsa_fp16_overflow 0
		.amdhsa_tg_split 0
		.amdhsa_exception_fp_ieee_invalid_op 0
		.amdhsa_exception_fp_denorm_src 0
		.amdhsa_exception_fp_ieee_div_zero 0
		.amdhsa_exception_fp_ieee_overflow 0
		.amdhsa_exception_fp_ieee_underflow 0
		.amdhsa_exception_fp_ieee_inexact 0
		.amdhsa_exception_int_div_zero 0
	.end_amdhsa_kernel
	.section	.text._ZN9rocsolver6v33100L11stedc_copyCIdPdS2_EEviT0_iilT1_iil,"axG",@progbits,_ZN9rocsolver6v33100L11stedc_copyCIdPdS2_EEviT0_iilT1_iil,comdat
.Lfunc_end97:
	.size	_ZN9rocsolver6v33100L11stedc_copyCIdPdS2_EEviT0_iilT1_iil, .Lfunc_end97-_ZN9rocsolver6v33100L11stedc_copyCIdPdS2_EEviT0_iilT1_iil
                                        ; -- End function
	.section	.AMDGPU.csdata,"",@progbits
; Kernel info:
; codeLenInByte = 2444
; NumSgprs: 61
; NumVgprs: 66
; NumAgprs: 0
; TotalNumVgprs: 66
; ScratchSize: 0
; MemoryBound: 0
; FloatMode: 240
; IeeeMode: 1
; LDSByteSize: 0 bytes/workgroup (compile time only)
; SGPRBlocks: 7
; VGPRBlocks: 8
; NumSGPRsForWavesPerEU: 61
; NumVGPRsForWavesPerEU: 66
; AccumOffset: 68
; Occupancy: 7
; WaveLimiterHint : 0
; COMPUTE_PGM_RSRC2:SCRATCH_EN: 0
; COMPUTE_PGM_RSRC2:USER_SGPR: 6
; COMPUTE_PGM_RSRC2:TRAP_HANDLER: 0
; COMPUTE_PGM_RSRC2:TGID_X_EN: 1
; COMPUTE_PGM_RSRC2:TGID_Y_EN: 1
; COMPUTE_PGM_RSRC2:TGID_Z_EN: 0
; COMPUTE_PGM_RSRC2:TIDIG_COMP_CNT: 0
; COMPUTE_PGM_RSRC3_GFX90A:ACCUM_OFFSET: 16
; COMPUTE_PGM_RSRC3_GFX90A:TG_SPLIT: 0
	.section	.text._ZN9rocsolver6v33100L16stedc_reshuffleCIdPdS2_EEviT0_iilT1_iilPi,"axG",@progbits,_ZN9rocsolver6v33100L16stedc_reshuffleCIdPdS2_EEviT0_iilT1_iilPi,comdat
	.globl	_ZN9rocsolver6v33100L16stedc_reshuffleCIdPdS2_EEviT0_iilT1_iilPi ; -- Begin function _ZN9rocsolver6v33100L16stedc_reshuffleCIdPdS2_EEviT0_iilT1_iilPi
	.p2align	8
	.type	_ZN9rocsolver6v33100L16stedc_reshuffleCIdPdS2_EEviT0_iilT1_iilPi,@function
_ZN9rocsolver6v33100L16stedc_reshuffleCIdPdS2_EEviT0_iilT1_iilPi: ; @_ZN9rocsolver6v33100L16stedc_reshuffleCIdPdS2_EEviT0_iilT1_iilPi
; %bb.0:
	s_load_dword s0, s[4:5], 0x4c
	s_load_dword s37, s[4:5], 0x0
	s_waitcnt lgkmcnt(0)
	s_and_b32 s33, s0, 0xffff
	s_lshl_b32 s36, s33, 4
	v_cvt_f32_u32_e32 v1, s36
	s_sub_i32 s2, 0, s36
	s_add_i32 s0, s37, -1
	s_ashr_i32 s1, s0, 31
	v_rcp_iflag_f32_e32 v1, v1
	s_abs_i32 s0, s0
	v_mul_f32_e32 v1, 0x4f7ffffe, v1
	v_cvt_u32_f32_e32 v1, v1
	v_readfirstlane_b32 s3, v1
	s_mul_i32 s2, s2, s3
	s_mul_hi_u32 s2, s3, s2
	s_add_i32 s3, s3, s2
	s_mul_hi_u32 s2, s0, s3
	s_mul_i32 s3, s2, s36
	s_sub_i32 s0, s0, s3
	s_add_i32 s8, s2, 1
	s_sub_i32 s3, s0, s36
	s_cmp_ge_u32 s0, s36
	s_cselect_b32 s2, s8, s2
	s_cselect_b32 s0, s3, s0
	s_add_i32 s3, s2, 1
	s_cmp_ge_u32 s0, s36
	s_cselect_b32 s0, s3, s2
	s_xor_b32 s0, s0, s1
	s_sub_i32 s16, s0, s1
	s_cmp_lt_i32 s16, 0
	s_cbranch_scc1 .LBB98_67
; %bb.1:
	s_load_dwordx8 s[8:15], s[4:5], 0x8
	s_load_dwordx2 s[18:19], s[4:5], 0x28
	s_load_dwordx4 s[0:3], s[4:5], 0x30
	s_mul_i32 s4, s7, s37
	s_mul_i32 s4, s4, 13
	s_ashr_i32 s5, s4, 31
	s_lshl_b64 s[4:5], s[4:5], 2
	s_waitcnt lgkmcnt(0)
	s_add_u32 s4, s2, s4
	s_mul_i32 s2, s37, 10
	s_addc_u32 s5, s3, s5
	s_ashr_i32 s3, s2, 31
	s_lshl_b64 s[2:3], s[2:3], 2
	s_add_u32 s4, s4, s2
	s_addc_u32 s5, s5, s3
	s_mov_b32 s17, s7
	s_ashr_i32 s7, s6, 31
	s_lshl_b64 s[2:3], s[6:7], 2
	s_add_u32 s2, s4, s2
	s_addc_u32 s3, s5, s3
	s_load_dword s7, s[2:3], 0x0
	s_ashr_i32 s3, s10, 31
	s_mov_b32 s2, s10
	s_ashr_i32 s10, s17, 31
	s_mul_i32 s4, s17, s13
	s_mul_hi_u32 s5, s17, s12
	s_add_i32 s4, s5, s4
	s_mul_i32 s5, s10, s12
	s_add_i32 s5, s4, s5
	s_mul_i32 s4, s17, s12
	s_lshl_b64 s[4:5], s[4:5], 3
	s_add_u32 s4, s8, s4
	s_addc_u32 s5, s9, s5
	s_lshl_b64 s[2:3], s[2:3], 3
	s_add_u32 s4, s4, s2
	s_mul_i32 s1, s17, s1
	s_mul_hi_u32 s8, s17, s0
	s_addc_u32 s5, s5, s3
	s_add_i32 s1, s8, s1
	s_mul_i32 s10, s10, s0
	s_add_i32 s1, s1, s10
	s_mul_i32 s0, s17, s0
	s_ashr_i32 s3, s18, 31
	s_lshl_b64 s[0:1], s[0:1], 3
	s_mov_b32 s2, s18
	s_add_u32 s8, s14, s0
	s_addc_u32 s9, s15, s1
	s_lshl_b64 s[0:1], s[2:3], 3
	s_add_u32 s2, s8, s0
	s_waitcnt lgkmcnt(0)
	s_mul_i32 s0, s7, s11
	s_addc_u32 s3, s9, s1
	s_ashr_i32 s1, s0, 31
	s_lshl_b64 s[0:1], s[0:1], 3
	s_add_u32 s38, s4, s0
	s_mul_i32 s0, s6, s19
	s_addc_u32 s39, s5, s1
	s_ashr_i32 s1, s0, 31
	s_lshl_b64 s[0:1], s[0:1], 3
	s_add_u32 s40, s2, s0
	s_addc_u32 s41, s3, s1
	s_add_i32 s42, s16, 1
	s_lshl_b32 s43, s33, 1
	s_mul_i32 s44, s33, 3
	s_lshl_b32 s45, s33, 2
	s_mul_i32 s46, s33, 5
	s_mul_i32 s47, s33, 6
	;; [unrolled: 1-line block ×3, first 2 shown]
	s_lshl_b32 s49, s33, 3
	s_mul_i32 s50, s33, 9
	s_mul_i32 s51, s33, 10
	;; [unrolled: 1-line block ×7, first 2 shown]
                                        ; implicit-def: $vgpr2_vgpr3_vgpr4_vgpr5_vgpr6_vgpr7_vgpr8_vgpr9_vgpr10_vgpr11_vgpr12_vgpr13_vgpr14_vgpr15_vgpr16_vgpr17_vgpr18_vgpr19_vgpr20_vgpr21_vgpr22_vgpr23_vgpr24_vgpr25_vgpr26_vgpr27_vgpr28_vgpr29_vgpr30_vgpr31_vgpr32_vgpr33
	s_branch .LBB98_3
.LBB98_2:                               ;   in Loop: Header=BB98_3 Depth=1
	s_or_b64 exec, exec, s[0:1]
	s_add_i32 s42, s42, -1
	s_cmp_eq_u32 s42, 0
	v_add_u32_e32 v0, s36, v0
	s_cbranch_scc1 .LBB98_67
.LBB98_3:                               ; =>This Inner Loop Header: Depth=1
	v_cmp_gt_i32_e32 vcc, s37, v0
	v_ashrrev_i32_e32 v1, 31, v0
	s_and_saveexec_b64 s[2:3], vcc
	s_cbranch_execz .LBB98_5
; %bb.4:                                ;   in Loop: Header=BB98_3 Depth=1
	s_waitcnt vmcnt(0)
	v_lshlrev_b64 v[2:3], 3, v[0:1]
	v_mov_b32_e32 v34, s39
	v_add_co_u32_e64 v2, s[0:1], s38, v2
	v_addc_co_u32_e64 v3, s[0:1], v34, v3, s[0:1]
	global_load_dwordx2 v[2:3], v[2:3], off
.LBB98_5:                               ;   in Loop: Header=BB98_3 Depth=1
	s_or_b64 exec, exec, s[2:3]
	v_add_u32_e32 v34, s33, v0
	v_cmp_gt_i32_e64 s[0:1], s37, v34
	v_ashrrev_i32_e32 v35, 31, v34
	s_and_saveexec_b64 s[4:5], s[0:1]
	s_cbranch_execz .LBB98_7
; %bb.6:                                ;   in Loop: Header=BB98_3 Depth=1
	s_waitcnt vmcnt(0)
	v_lshlrev_b64 v[4:5], 3, v[34:35]
	v_mov_b32_e32 v36, s39
	v_add_co_u32_e64 v4, s[2:3], s38, v4
	v_addc_co_u32_e64 v5, s[2:3], v36, v5, s[2:3]
	global_load_dwordx2 v[4:5], v[4:5], off
.LBB98_7:                               ;   in Loop: Header=BB98_3 Depth=1
	s_or_b64 exec, exec, s[4:5]
	v_add_u32_e32 v36, s43, v0
	v_add_u32_e32 v39, s33, v34
	v_cmp_gt_i32_e64 s[2:3], s37, v39
	v_ashrrev_i32_e32 v37, 31, v36
	s_and_saveexec_b64 s[6:7], s[2:3]
	s_cbranch_execz .LBB98_9
; %bb.8:                                ;   in Loop: Header=BB98_3 Depth=1
	s_waitcnt vmcnt(0)
	v_lshlrev_b64 v[6:7], 3, v[36:37]
	v_mov_b32_e32 v38, s39
	v_add_co_u32_e64 v6, s[4:5], s38, v6
	v_addc_co_u32_e64 v7, s[4:5], v38, v7, s[4:5]
	global_load_dwordx2 v[6:7], v[6:7], off
.LBB98_9:                               ;   in Loop: Header=BB98_3 Depth=1
	s_or_b64 exec, exec, s[6:7]
	v_add_u32_e32 v38, s44, v0
	v_add_u32_e32 v41, s33, v39
	v_cmp_gt_i32_e64 s[4:5], s37, v41
	v_ashrrev_i32_e32 v39, 31, v38
	s_and_saveexec_b64 s[8:9], s[4:5]
	s_cbranch_execz .LBB98_11
; %bb.10:                               ;   in Loop: Header=BB98_3 Depth=1
	s_waitcnt vmcnt(0)
	v_lshlrev_b64 v[8:9], 3, v[38:39]
	v_mov_b32_e32 v40, s39
	v_add_co_u32_e64 v8, s[6:7], s38, v8
	v_addc_co_u32_e64 v9, s[6:7], v40, v9, s[6:7]
	global_load_dwordx2 v[8:9], v[8:9], off
.LBB98_11:                              ;   in Loop: Header=BB98_3 Depth=1
	s_or_b64 exec, exec, s[8:9]
	v_add_u32_e32 v40, s45, v0
	v_add_u32_e32 v43, s33, v41
	v_cmp_gt_i32_e64 s[6:7], s37, v43
	v_ashrrev_i32_e32 v41, 31, v40
	s_and_saveexec_b64 s[10:11], s[6:7]
	s_cbranch_execz .LBB98_13
; %bb.12:                               ;   in Loop: Header=BB98_3 Depth=1
	s_waitcnt vmcnt(0)
	v_lshlrev_b64 v[10:11], 3, v[40:41]
	v_mov_b32_e32 v42, s39
	v_add_co_u32_e64 v10, s[8:9], s38, v10
	v_addc_co_u32_e64 v11, s[8:9], v42, v11, s[8:9]
	global_load_dwordx2 v[10:11], v[10:11], off
.LBB98_13:                              ;   in Loop: Header=BB98_3 Depth=1
	;; [unrolled: 15-line block ×12, first 2 shown]
	s_or_b64 exec, exec, s[30:31]
	v_add_u32_e32 v62, s56, v0
	v_add_u32_e32 v63, s33, v63
	v_cmp_gt_i32_e64 s[28:29], s37, v63
	v_ashrrev_i32_e32 v63, 31, v62
	s_and_saveexec_b64 s[34:35], s[28:29]
	s_cbranch_execnz .LBB98_50
; %bb.34:                               ;   in Loop: Header=BB98_3 Depth=1
	s_or_b64 exec, exec, s[34:35]
	s_and_saveexec_b64 s[30:31], vcc
	s_cbranch_execnz .LBB98_51
.LBB98_35:                              ;   in Loop: Header=BB98_3 Depth=1
	s_or_b64 exec, exec, s[30:31]
	s_and_saveexec_b64 s[30:31], s[0:1]
	s_cbranch_execnz .LBB98_52
.LBB98_36:                              ;   in Loop: Header=BB98_3 Depth=1
	s_or_b64 exec, exec, s[30:31]
	s_and_saveexec_b64 s[0:1], s[2:3]
	s_cbranch_execnz .LBB98_53
.LBB98_37:                              ;   in Loop: Header=BB98_3 Depth=1
	s_or_b64 exec, exec, s[0:1]
	s_and_saveexec_b64 s[0:1], s[4:5]
	s_cbranch_execnz .LBB98_54
.LBB98_38:                              ;   in Loop: Header=BB98_3 Depth=1
	s_or_b64 exec, exec, s[0:1]
	s_and_saveexec_b64 s[0:1], s[6:7]
	s_cbranch_execnz .LBB98_55
.LBB98_39:                              ;   in Loop: Header=BB98_3 Depth=1
	s_or_b64 exec, exec, s[0:1]
	s_and_saveexec_b64 s[0:1], s[8:9]
	s_cbranch_execnz .LBB98_56
.LBB98_40:                              ;   in Loop: Header=BB98_3 Depth=1
	s_or_b64 exec, exec, s[0:1]
	s_and_saveexec_b64 s[0:1], s[10:11]
	s_cbranch_execnz .LBB98_57
.LBB98_41:                              ;   in Loop: Header=BB98_3 Depth=1
	s_or_b64 exec, exec, s[0:1]
	s_and_saveexec_b64 s[0:1], s[12:13]
	s_cbranch_execnz .LBB98_58
.LBB98_42:                              ;   in Loop: Header=BB98_3 Depth=1
	s_or_b64 exec, exec, s[0:1]
	s_and_saveexec_b64 s[0:1], s[14:15]
	s_cbranch_execnz .LBB98_59
.LBB98_43:                              ;   in Loop: Header=BB98_3 Depth=1
	s_or_b64 exec, exec, s[0:1]
	s_and_saveexec_b64 s[0:1], s[16:17]
	s_cbranch_execnz .LBB98_60
.LBB98_44:                              ;   in Loop: Header=BB98_3 Depth=1
	s_or_b64 exec, exec, s[0:1]
	s_and_saveexec_b64 s[0:1], s[18:19]
	s_cbranch_execnz .LBB98_61
.LBB98_45:                              ;   in Loop: Header=BB98_3 Depth=1
	s_or_b64 exec, exec, s[0:1]
	s_and_saveexec_b64 s[0:1], s[20:21]
	s_cbranch_execnz .LBB98_62
.LBB98_46:                              ;   in Loop: Header=BB98_3 Depth=1
	s_or_b64 exec, exec, s[0:1]
	s_and_saveexec_b64 s[0:1], s[22:23]
	s_cbranch_execnz .LBB98_63
.LBB98_47:                              ;   in Loop: Header=BB98_3 Depth=1
	s_or_b64 exec, exec, s[0:1]
	s_and_saveexec_b64 s[0:1], s[24:25]
	s_cbranch_execnz .LBB98_64
.LBB98_48:                              ;   in Loop: Header=BB98_3 Depth=1
	s_or_b64 exec, exec, s[0:1]
	s_and_saveexec_b64 s[0:1], s[26:27]
	s_cbranch_execnz .LBB98_65
.LBB98_49:                              ;   in Loop: Header=BB98_3 Depth=1
	s_or_b64 exec, exec, s[0:1]
	s_and_saveexec_b64 s[0:1], s[28:29]
	s_cbranch_execz .LBB98_2
	s_branch .LBB98_66
.LBB98_50:                              ;   in Loop: Header=BB98_3 Depth=1
	s_waitcnt vmcnt(0)
	v_lshlrev_b64 v[32:33], 3, v[62:63]
	v_mov_b32_e32 v64, s39
	v_add_co_u32_e64 v32, s[30:31], s38, v32
	v_addc_co_u32_e64 v33, s[30:31], v64, v33, s[30:31]
	global_load_dwordx2 v[32:33], v[32:33], off
	s_or_b64 exec, exec, s[34:35]
	s_and_saveexec_b64 s[30:31], vcc
	s_cbranch_execz .LBB98_35
.LBB98_51:                              ;   in Loop: Header=BB98_3 Depth=1
	v_lshlrev_b64 v[64:65], 3, v[0:1]
	v_mov_b32_e32 v1, s41
	v_add_co_u32_e32 v64, vcc, s40, v64
	v_addc_co_u32_e32 v65, vcc, v1, v65, vcc
	s_waitcnt vmcnt(0)
	global_store_dwordx2 v[64:65], v[2:3], off
	s_or_b64 exec, exec, s[30:31]
	s_and_saveexec_b64 s[30:31], s[0:1]
	s_cbranch_execz .LBB98_36
.LBB98_52:                              ;   in Loop: Header=BB98_3 Depth=1
	v_lshlrev_b64 v[34:35], 3, v[34:35]
	v_mov_b32_e32 v1, s41
	v_add_co_u32_e32 v34, vcc, s40, v34
	v_addc_co_u32_e32 v35, vcc, v1, v35, vcc
	s_waitcnt vmcnt(0)
	global_store_dwordx2 v[34:35], v[4:5], off
	s_or_b64 exec, exec, s[30:31]
	s_and_saveexec_b64 s[0:1], s[2:3]
	s_cbranch_execz .LBB98_37
.LBB98_53:                              ;   in Loop: Header=BB98_3 Depth=1
	v_lshlrev_b64 v[34:35], 3, v[36:37]
	v_mov_b32_e32 v1, s41
	v_add_co_u32_e32 v34, vcc, s40, v34
	v_addc_co_u32_e32 v35, vcc, v1, v35, vcc
	s_waitcnt vmcnt(0)
	global_store_dwordx2 v[34:35], v[6:7], off
	s_or_b64 exec, exec, s[0:1]
	s_and_saveexec_b64 s[0:1], s[4:5]
	s_cbranch_execz .LBB98_38
.LBB98_54:                              ;   in Loop: Header=BB98_3 Depth=1
	v_lshlrev_b64 v[34:35], 3, v[38:39]
	v_mov_b32_e32 v1, s41
	v_add_co_u32_e32 v34, vcc, s40, v34
	v_addc_co_u32_e32 v35, vcc, v1, v35, vcc
	s_waitcnt vmcnt(0)
	global_store_dwordx2 v[34:35], v[8:9], off
	s_or_b64 exec, exec, s[0:1]
	s_and_saveexec_b64 s[0:1], s[6:7]
	s_cbranch_execz .LBB98_39
.LBB98_55:                              ;   in Loop: Header=BB98_3 Depth=1
	v_lshlrev_b64 v[34:35], 3, v[40:41]
	v_mov_b32_e32 v1, s41
	v_add_co_u32_e32 v34, vcc, s40, v34
	v_addc_co_u32_e32 v35, vcc, v1, v35, vcc
	s_waitcnt vmcnt(0)
	global_store_dwordx2 v[34:35], v[10:11], off
	s_or_b64 exec, exec, s[0:1]
	s_and_saveexec_b64 s[0:1], s[8:9]
	s_cbranch_execz .LBB98_40
.LBB98_56:                              ;   in Loop: Header=BB98_3 Depth=1
	v_lshlrev_b64 v[34:35], 3, v[42:43]
	v_mov_b32_e32 v1, s41
	v_add_co_u32_e32 v34, vcc, s40, v34
	v_addc_co_u32_e32 v35, vcc, v1, v35, vcc
	s_waitcnt vmcnt(0)
	global_store_dwordx2 v[34:35], v[12:13], off
	s_or_b64 exec, exec, s[0:1]
	s_and_saveexec_b64 s[0:1], s[10:11]
	s_cbranch_execz .LBB98_41
.LBB98_57:                              ;   in Loop: Header=BB98_3 Depth=1
	v_lshlrev_b64 v[34:35], 3, v[44:45]
	v_mov_b32_e32 v1, s41
	v_add_co_u32_e32 v34, vcc, s40, v34
	v_addc_co_u32_e32 v35, vcc, v1, v35, vcc
	s_waitcnt vmcnt(0)
	global_store_dwordx2 v[34:35], v[14:15], off
	s_or_b64 exec, exec, s[0:1]
	s_and_saveexec_b64 s[0:1], s[12:13]
	s_cbranch_execz .LBB98_42
.LBB98_58:                              ;   in Loop: Header=BB98_3 Depth=1
	v_lshlrev_b64 v[34:35], 3, v[46:47]
	v_mov_b32_e32 v1, s41
	v_add_co_u32_e32 v34, vcc, s40, v34
	v_addc_co_u32_e32 v35, vcc, v1, v35, vcc
	s_waitcnt vmcnt(0)
	global_store_dwordx2 v[34:35], v[16:17], off
	s_or_b64 exec, exec, s[0:1]
	s_and_saveexec_b64 s[0:1], s[14:15]
	s_cbranch_execz .LBB98_43
.LBB98_59:                              ;   in Loop: Header=BB98_3 Depth=1
	v_lshlrev_b64 v[34:35], 3, v[48:49]
	v_mov_b32_e32 v1, s41
	v_add_co_u32_e32 v34, vcc, s40, v34
	v_addc_co_u32_e32 v35, vcc, v1, v35, vcc
	s_waitcnt vmcnt(0)
	global_store_dwordx2 v[34:35], v[18:19], off
	s_or_b64 exec, exec, s[0:1]
	s_and_saveexec_b64 s[0:1], s[16:17]
	s_cbranch_execz .LBB98_44
.LBB98_60:                              ;   in Loop: Header=BB98_3 Depth=1
	v_lshlrev_b64 v[34:35], 3, v[50:51]
	v_mov_b32_e32 v1, s41
	v_add_co_u32_e32 v34, vcc, s40, v34
	v_addc_co_u32_e32 v35, vcc, v1, v35, vcc
	s_waitcnt vmcnt(0)
	global_store_dwordx2 v[34:35], v[20:21], off
	s_or_b64 exec, exec, s[0:1]
	s_and_saveexec_b64 s[0:1], s[18:19]
	s_cbranch_execz .LBB98_45
.LBB98_61:                              ;   in Loop: Header=BB98_3 Depth=1
	v_lshlrev_b64 v[34:35], 3, v[52:53]
	v_mov_b32_e32 v1, s41
	v_add_co_u32_e32 v34, vcc, s40, v34
	v_addc_co_u32_e32 v35, vcc, v1, v35, vcc
	s_waitcnt vmcnt(0)
	global_store_dwordx2 v[34:35], v[22:23], off
	s_or_b64 exec, exec, s[0:1]
	s_and_saveexec_b64 s[0:1], s[20:21]
	s_cbranch_execz .LBB98_46
.LBB98_62:                              ;   in Loop: Header=BB98_3 Depth=1
	v_lshlrev_b64 v[34:35], 3, v[54:55]
	v_mov_b32_e32 v1, s41
	v_add_co_u32_e32 v34, vcc, s40, v34
	v_addc_co_u32_e32 v35, vcc, v1, v35, vcc
	s_waitcnt vmcnt(0)
	global_store_dwordx2 v[34:35], v[24:25], off
	s_or_b64 exec, exec, s[0:1]
	s_and_saveexec_b64 s[0:1], s[22:23]
	s_cbranch_execz .LBB98_47
.LBB98_63:                              ;   in Loop: Header=BB98_3 Depth=1
	v_lshlrev_b64 v[34:35], 3, v[56:57]
	v_mov_b32_e32 v1, s41
	v_add_co_u32_e32 v34, vcc, s40, v34
	v_addc_co_u32_e32 v35, vcc, v1, v35, vcc
	s_waitcnt vmcnt(0)
	global_store_dwordx2 v[34:35], v[26:27], off
	s_or_b64 exec, exec, s[0:1]
	s_and_saveexec_b64 s[0:1], s[24:25]
	s_cbranch_execz .LBB98_48
.LBB98_64:                              ;   in Loop: Header=BB98_3 Depth=1
	v_lshlrev_b64 v[34:35], 3, v[58:59]
	v_mov_b32_e32 v1, s41
	v_add_co_u32_e32 v34, vcc, s40, v34
	v_addc_co_u32_e32 v35, vcc, v1, v35, vcc
	s_waitcnt vmcnt(0)
	global_store_dwordx2 v[34:35], v[28:29], off
	s_or_b64 exec, exec, s[0:1]
	s_and_saveexec_b64 s[0:1], s[26:27]
	s_cbranch_execz .LBB98_49
.LBB98_65:                              ;   in Loop: Header=BB98_3 Depth=1
	v_lshlrev_b64 v[34:35], 3, v[60:61]
	v_mov_b32_e32 v1, s41
	v_add_co_u32_e32 v34, vcc, s40, v34
	v_addc_co_u32_e32 v35, vcc, v1, v35, vcc
	s_waitcnt vmcnt(0)
	global_store_dwordx2 v[34:35], v[30:31], off
	s_or_b64 exec, exec, s[0:1]
	s_and_saveexec_b64 s[0:1], s[28:29]
	s_cbranch_execz .LBB98_2
.LBB98_66:                              ;   in Loop: Header=BB98_3 Depth=1
	v_lshlrev_b64 v[34:35], 3, v[62:63]
	v_mov_b32_e32 v1, s41
	v_add_co_u32_e32 v34, vcc, s40, v34
	v_addc_co_u32_e32 v35, vcc, v1, v35, vcc
	s_waitcnt vmcnt(0)
	global_store_dwordx2 v[34:35], v[32:33], off
	s_branch .LBB98_2
.LBB98_67:
	s_endpgm
	.section	.rodata,"a",@progbits
	.p2align	6, 0x0
	.amdhsa_kernel _ZN9rocsolver6v33100L16stedc_reshuffleCIdPdS2_EEviT0_iilT1_iilPi
		.amdhsa_group_segment_fixed_size 0
		.amdhsa_private_segment_fixed_size 0
		.amdhsa_kernarg_size 320
		.amdhsa_user_sgpr_count 6
		.amdhsa_user_sgpr_private_segment_buffer 1
		.amdhsa_user_sgpr_dispatch_ptr 0
		.amdhsa_user_sgpr_queue_ptr 0
		.amdhsa_user_sgpr_kernarg_segment_ptr 1
		.amdhsa_user_sgpr_dispatch_id 0
		.amdhsa_user_sgpr_flat_scratch_init 0
		.amdhsa_user_sgpr_kernarg_preload_length 0
		.amdhsa_user_sgpr_kernarg_preload_offset 0
		.amdhsa_user_sgpr_private_segment_size 0
		.amdhsa_uses_dynamic_stack 0
		.amdhsa_system_sgpr_private_segment_wavefront_offset 0
		.amdhsa_system_sgpr_workgroup_id_x 1
		.amdhsa_system_sgpr_workgroup_id_y 1
		.amdhsa_system_sgpr_workgroup_id_z 0
		.amdhsa_system_sgpr_workgroup_info 0
		.amdhsa_system_vgpr_workitem_id 0
		.amdhsa_next_free_vgpr 66
		.amdhsa_next_free_sgpr 57
		.amdhsa_accum_offset 68
		.amdhsa_reserve_vcc 1
		.amdhsa_reserve_flat_scratch 0
		.amdhsa_float_round_mode_32 0
		.amdhsa_float_round_mode_16_64 0
		.amdhsa_float_denorm_mode_32 3
		.amdhsa_float_denorm_mode_16_64 3
		.amdhsa_dx10_clamp 1
		.amdhsa_ieee_mode 1
		.amdhsa_fp16_overflow 0
		.amdhsa_tg_split 0
		.amdhsa_exception_fp_ieee_invalid_op 0
		.amdhsa_exception_fp_denorm_src 0
		.amdhsa_exception_fp_ieee_div_zero 0
		.amdhsa_exception_fp_ieee_overflow 0
		.amdhsa_exception_fp_ieee_underflow 0
		.amdhsa_exception_fp_ieee_inexact 0
		.amdhsa_exception_int_div_zero 0
	.end_amdhsa_kernel
	.section	.text._ZN9rocsolver6v33100L16stedc_reshuffleCIdPdS2_EEviT0_iilT1_iilPi,"axG",@progbits,_ZN9rocsolver6v33100L16stedc_reshuffleCIdPdS2_EEviT0_iilT1_iilPi,comdat
.Lfunc_end98:
	.size	_ZN9rocsolver6v33100L16stedc_reshuffleCIdPdS2_EEviT0_iilT1_iilPi, .Lfunc_end98-_ZN9rocsolver6v33100L16stedc_reshuffleCIdPdS2_EEviT0_iilT1_iilPi
                                        ; -- End function
	.section	.AMDGPU.csdata,"",@progbits
; Kernel info:
; codeLenInByte = 2528
; NumSgprs: 61
; NumVgprs: 66
; NumAgprs: 0
; TotalNumVgprs: 66
; ScratchSize: 0
; MemoryBound: 0
; FloatMode: 240
; IeeeMode: 1
; LDSByteSize: 0 bytes/workgroup (compile time only)
; SGPRBlocks: 7
; VGPRBlocks: 8
; NumSGPRsForWavesPerEU: 61
; NumVGPRsForWavesPerEU: 66
; AccumOffset: 68
; Occupancy: 7
; WaveLimiterHint : 1
; COMPUTE_PGM_RSRC2:SCRATCH_EN: 0
; COMPUTE_PGM_RSRC2:USER_SGPR: 6
; COMPUTE_PGM_RSRC2:TRAP_HANDLER: 0
; COMPUTE_PGM_RSRC2:TGID_X_EN: 1
; COMPUTE_PGM_RSRC2:TGID_Y_EN: 1
; COMPUTE_PGM_RSRC2:TGID_Z_EN: 0
; COMPUTE_PGM_RSRC2:TIDIG_COMP_CNT: 0
; COMPUTE_PGM_RSRC3_GFX90A:ACCUM_OFFSET: 16
; COMPUTE_PGM_RSRC3_GFX90A:TG_SPLIT: 0
	.section	.text._ZN9rocsolver6v33100L30stedc_mergeValues_Solve_kernelIdEEviiPT_lS3_lS3_S3_PiS2_S2_S2_,"axG",@progbits,_ZN9rocsolver6v33100L30stedc_mergeValues_Solve_kernelIdEEviiPT_lS3_lS3_S3_PiS2_S2_S2_,comdat
	.globl	_ZN9rocsolver6v33100L30stedc_mergeValues_Solve_kernelIdEEviiPT_lS3_lS3_S3_PiS2_S2_S2_ ; -- Begin function _ZN9rocsolver6v33100L30stedc_mergeValues_Solve_kernelIdEEviiPT_lS3_lS3_S3_PiS2_S2_S2_
	.p2align	8
	.type	_ZN9rocsolver6v33100L30stedc_mergeValues_Solve_kernelIdEEviiPT_lS3_lS3_S3_PiS2_S2_S2_,@function
_ZN9rocsolver6v33100L30stedc_mergeValues_Solve_kernelIdEEviiPT_lS3_lS3_S3_PiS2_S2_S2_: ; @_ZN9rocsolver6v33100L30stedc_mergeValues_Solve_kernelIdEEviiPT_lS3_lS3_S3_PiS2_S2_S2_
; %bb.0:
	s_load_dword s1, s[4:5], 0x64
	s_load_dword s0, s[4:5], 0x4
	s_waitcnt lgkmcnt(0)
	s_and_b32 s1, s1, 0xffff
	s_mul_i32 s6, s6, s1
	v_add_u32_e32 v2, s6, v0
	v_cmp_gt_i32_e32 vcc, s0, v2
	s_and_saveexec_b64 s[2:3], vcc
	s_cbranch_execz .LBB99_190
; %bb.1:
	s_load_dwordx8 s[12:19], s[4:5], 0x28
	s_mul_i32 s2, s7, s0
	s_mul_i32 s4, s2, 13
	s_ashr_i32 s5, s4, 31
	s_ashr_i32 s1, s0, 31
	s_lshl_b64 s[4:5], s[4:5], 2
	s_waitcnt lgkmcnt(0)
	s_add_u32 s3, s16, s4
	s_mul_i32 s4, s0, 6
	s_addc_u32 s6, s17, s5
	s_ashr_i32 s5, s4, 31
	s_lshl_b64 s[4:5], s[4:5], 2
	s_add_u32 s3, s3, s4
	v_ashrrev_i32_e32 v3, 31, v2
	s_addc_u32 s6, s6, s5
	s_lshl_b64 s[4:5], s[0:1], 2
	v_lshlrev_b64 v[0:1], 2, v[2:3]
	s_add_u32 s4, s3, s4
	v_mov_b32_e32 v5, s6
	v_add_co_u32_e32 v4, vcc, s3, v0
	s_addc_u32 s5, s6, s5
	v_addc_co_u32_e32 v5, vcc, v5, v1, vcc
	v_mov_b32_e32 v6, s5
	v_add_co_u32_e32 v0, vcc, s4, v0
	v_addc_co_u32_e32 v1, vcc, v6, v1, vcc
	global_load_dword v12, v[4:5], off
	global_load_dword v24, v[0:1], off
	s_waitcnt vmcnt(1)
	v_sub_u32_e32 v0, v2, v12
	s_waitcnt vmcnt(0)
	v_cmp_lt_i32_e32 vcc, v0, v24
	s_and_b64 exec, exec, vcc
	s_cbranch_execz .LBB99_190
; %bb.2:
	s_mul_i32 s4, s2, 10
	s_ashr_i32 s5, s4, 31
	s_lshl_b64 s[22:23], s[4:5], 3
	s_add_u32 s3, s12, s22
	s_addc_u32 s6, s13, s23
	s_lshl_b32 s4, s0, 3
	s_ashr_i32 s5, s4, 31
	s_lshl_b64 s[24:25], s[4:5], 3
	s_add_u32 s7, s3, s24
	s_addc_u32 s6, s6, s25
	s_mul_i32 s4, s0, 0xffffffc8
	s_mul_hi_i32 s3, s0, 0xffffffc8
	s_add_u32 s33, s7, s4
	s_addc_u32 s40, s6, s3
	s_lshl_b64 s[4:5], s[0:1], 6
	s_add_u32 s1, s33, s4
	s_mul_i32 s2, s2, s0
	s_addc_u32 s3, s40, s5
	s_lshl_b32 s2, s2, 1
	v_mov_b32_e32 v1, s3
	s_ashr_i32 s3, s2, 31
	v_lshlrev_b64 v[4:5], 3, v[2:3]
	s_lshl_b64 s[28:29], s[2:3], 3
	v_add_co_u32_e32 v6, vcc, s1, v4
	s_add_u32 s1, s14, s28
	s_mul_i32 s2, s0, s0
	s_mov_b32 s3, 0
	s_addc_u32 s4, s15, s29
	s_lshl_b64 s[26:27], s[2:3], 3
	v_mul_lo_u32 v2, v2, s0
	s_add_u32 s1, s1, s26
	v_ashrrev_i32_e32 v3, 31, v2
	v_addc_co_u32_e32 v7, vcc, v1, v5, vcc
	s_addc_u32 s2, s4, s27
	v_lshlrev_b64 v[36:37], 3, v[2:3]
	v_mov_b32_e32 v1, s2
	v_add_co_u32_e32 v8, vcc, s1, v36
	v_addc_co_u32_e32 v9, vcc, v1, v37, vcc
	v_ashrrev_i32_e32 v1, 31, v0
	v_lshlrev_b64 v[20:21], 3, v[0:1]
	v_add_co_u32_e32 v10, vcc, v8, v20
	v_addc_co_u32_e32 v11, vcc, v9, v21, vcc
	global_load_dwordx2 v[6:7], v[6:7], off
	v_ashrrev_i32_e32 v13, 31, v12
	global_load_dwordx2 v[16:17], v[10:11], off
	v_lshlrev_b64 v[34:35], 3, v[12:13]
	v_add_u32_e32 v14, -1, v24
	v_mov_b32_e32 v1, s6
	v_add_co_u32_e64 v12, s[0:1], s7, v34
	v_cmp_ne_u32_e32 vcc, v0, v14
	v_addc_co_u32_e64 v13, s[0:1], v1, v35, s[0:1]
                                        ; implicit-def: $vgpr2_vgpr3
	s_and_saveexec_b64 s[0:1], vcc
	s_xor_b64 s[16:17], exec, s[0:1]
	s_cbranch_execz .LBB99_118
; %bb.3:
	global_load_dwordx2 v[38:39], v[10:11], off offset:8
	v_cmp_lt_i32_e32 vcc, 0, v0
	s_waitcnt vmcnt(0)
	v_add_f64 v[2:3], v[16:17], v[38:39]
	v_mul_f64 v[22:23], v[2:3], 0.5
	v_pk_mov_b32 v[2:3], 0, 0
	s_and_saveexec_b64 s[0:1], vcc
	s_cbranch_execz .LBB99_7
; %bb.4:
	s_mov_b64 s[2:3], 0
	v_pk_mov_b32 v[2:3], 0, 0
	v_pk_mov_b32 v[18:19], v[12:13], v[12:13] op_sel:[0,1]
	v_pk_mov_b32 v[24:25], v[8:9], v[8:9] op_sel:[0,1]
	v_mov_b32_e32 v1, v0
.LBB99_5:                               ; =>This Inner Loop Header: Depth=1
	global_load_dwordx2 v[26:27], v[24:25], off
	global_load_dwordx2 v[28:29], v[18:19], off
	v_add_co_u32_e32 v24, vcc, 8, v24
	v_addc_co_u32_e32 v25, vcc, 0, v25, vcc
	v_add_co_u32_e32 v18, vcc, 8, v18
	v_add_u32_e32 v1, -1, v1
	v_addc_co_u32_e32 v19, vcc, 0, v19, vcc
	v_cmp_eq_u32_e32 vcc, 0, v1
	s_or_b64 s[2:3], vcc, s[2:3]
	s_waitcnt vmcnt(1)
	v_add_f64 v[26:27], v[26:27], -v[22:23]
	s_waitcnt vmcnt(0)
	v_div_scale_f64 v[30:31], s[4:5], v[26:27], v[26:27], v[28:29]
	v_rcp_f64_e32 v[32:33], v[30:31]
	v_div_scale_f64 v[40:41], vcc, v[28:29], v[26:27], v[28:29]
	v_fma_f64 v[42:43], -v[30:31], v[32:33], 1.0
	v_fmac_f64_e32 v[32:33], v[32:33], v[42:43]
	v_fma_f64 v[42:43], -v[30:31], v[32:33], 1.0
	v_fmac_f64_e32 v[32:33], v[32:33], v[42:43]
	v_mul_f64 v[42:43], v[40:41], v[32:33]
	v_fma_f64 v[30:31], -v[30:31], v[42:43], v[40:41]
	v_div_fmas_f64 v[30:31], v[30:31], v[32:33], v[42:43]
	v_div_fixup_f64 v[26:27], v[30:31], v[26:27], v[28:29]
	v_fmac_f64_e32 v[2:3], v[28:29], v[26:27]
	s_andn2_b64 exec, exec, s[2:3]
	s_cbranch_execnz .LBB99_5
; %bb.6:
	s_or_b64 exec, exec, s[2:3]
.LBB99_7:
	s_or_b64 exec, exec, s[0:1]
	v_add_u32_e32 v18, 1, v0
	v_cmp_gt_i32_e32 vcc, v14, v18
	v_pk_mov_b32 v[26:27], 0, 0
	v_ashrrev_i32_e32 v15, 31, v14
	s_and_saveexec_b64 s[0:1], vcc
	s_cbranch_execz .LBB99_11
; %bb.8:
	v_mov_b32_e32 v1, s29
	v_add_co_u32_e32 v19, vcc, s28, v36
	v_addc_co_u32_e32 v1, vcc, v1, v37, vcc
	v_lshlrev_b64 v[26:27], 3, v[14:15]
	v_add_co_u32_e32 v19, vcc, v19, v26
	s_add_u32 s2, s14, s26
	v_addc_co_u32_e32 v1, vcc, v1, v27, vcc
	s_addc_u32 s3, s15, s27
	v_mov_b32_e32 v25, s3
	v_add_co_u32_e32 v24, vcc, s2, v19
	s_add_u32 s2, s24, s22
	v_addc_co_u32_e32 v25, vcc, v25, v1, vcc
	s_addc_u32 s3, s25, s23
	v_mov_b32_e32 v1, s3
	v_add_co_u32_e32 v19, vcc, s2, v34
	v_addc_co_u32_e32 v1, vcc, v1, v35, vcc
	v_add_co_u32_e32 v19, vcc, v19, v26
	v_addc_co_u32_e32 v1, vcc, v1, v27, vcc
	v_mov_b32_e32 v26, s13
	v_add_co_u32_e32 v28, vcc, s12, v19
	v_addc_co_u32_e32 v29, vcc, v26, v1, vcc
	s_mov_b64 s[2:3], 0
	v_pk_mov_b32 v[26:27], 0, 0
	v_mov_b32_e32 v1, v14
.LBB99_9:                               ; =>This Inner Loop Header: Depth=1
	global_load_dwordx2 v[30:31], v[24:25], off
	global_load_dwordx2 v[32:33], v[28:29], off
	v_add_co_u32_e32 v24, vcc, -8, v24
	v_addc_co_u32_e32 v25, vcc, -1, v25, vcc
	v_add_co_u32_e32 v28, vcc, -8, v28
	v_add_u32_e32 v1, -1, v1
	v_addc_co_u32_e32 v29, vcc, -1, v29, vcc
	v_cmp_le_i32_e32 vcc, v1, v18
	s_or_b64 s[2:3], vcc, s[2:3]
	s_waitcnt vmcnt(1)
	v_add_f64 v[30:31], v[30:31], -v[22:23]
	s_waitcnt vmcnt(0)
	v_div_scale_f64 v[40:41], s[4:5], v[30:31], v[30:31], v[32:33]
	v_rcp_f64_e32 v[42:43], v[40:41]
	v_div_scale_f64 v[44:45], vcc, v[32:33], v[30:31], v[32:33]
	v_fma_f64 v[46:47], -v[40:41], v[42:43], 1.0
	v_fmac_f64_e32 v[42:43], v[42:43], v[46:47]
	v_fma_f64 v[46:47], -v[40:41], v[42:43], 1.0
	v_fmac_f64_e32 v[42:43], v[42:43], v[46:47]
	v_mul_f64 v[46:47], v[44:45], v[42:43]
	v_fma_f64 v[40:41], -v[40:41], v[46:47], v[44:45]
	v_div_fmas_f64 v[40:41], v[40:41], v[42:43], v[46:47]
	v_div_fixup_f64 v[30:31], v[40:41], v[30:31], v[32:33]
	v_fmac_f64_e32 v[26:27], v[32:33], v[30:31]
	s_andn2_b64 exec, exec, s[2:3]
	s_cbranch_execnz .LBB99_9
; %bb.10:
	s_or_b64 exec, exec, s[2:3]
.LBB99_11:
	s_or_b64 exec, exec, s[0:1]
	v_add_co_u32_e32 v20, vcc, v12, v20
	v_addc_co_u32_e32 v21, vcc, v13, v21, vcc
	global_load_dwordx4 v[30:33], v[20:21], off
	v_and_b32_e32 v25, 0x7fffffff, v7
	v_mov_b32_e32 v24, v6
	v_div_scale_f64 v[28:29], s[0:1], v[24:25], v[24:25], 1.0
	v_rcp_f64_e32 v[40:41], v[28:29]
	v_div_scale_f64 v[24:25], vcc, 1.0, v[24:25], 1.0
	v_add_f64 v[22:23], v[38:39], -v[16:17]
	v_fma_f64 v[42:43], -v[28:29], v[40:41], 1.0
	v_fmac_f64_e32 v[40:41], v[40:41], v[42:43]
	v_fma_f64 v[42:43], -v[28:29], v[40:41], 1.0
	v_fmac_f64_e32 v[40:41], v[40:41], v[42:43]
	v_mul_f64 v[42:43], v[24:25], v[40:41]
	v_fma_f64 v[24:25], -v[28:29], v[42:43], v[24:25]
	v_div_fmas_f64 v[24:25], v[24:25], v[40:41], v[42:43]
	v_div_fixup_f64 v[24:25], v[24:25], |v[6:7]|, 1.0
	v_add_f64 v[2:3], v[24:25], v[2:3]
	v_add_f64 v[28:29], v[2:3], v[26:27]
	v_mul_f64 v[46:47], v[22:23], v[28:29]
                                        ; implicit-def: $sgpr6_sgpr7
	s_waitcnt vmcnt(0)
	v_mul_f64 v[30:31], v[30:31], v[30:31]
	v_fma_f64 v[2:3], v[32:33], v[32:33], -v[30:31]
	v_add_f64 v[2:3], v[2:3], v[2:3]
	v_div_scale_f64 v[26:27], s[0:1], v[22:23], v[22:23], v[2:3]
	v_rcp_f64_e32 v[40:41], v[26:27]
	v_div_scale_f64 v[42:43], vcc, v[2:3], v[22:23], v[2:3]
	v_mul_f64 v[32:33], v[32:33], v[32:33]
	v_fma_f64 v[44:45], -v[26:27], v[40:41], 1.0
	v_fmac_f64_e32 v[40:41], v[40:41], v[44:45]
	v_fma_f64 v[44:45], -v[26:27], v[40:41], 1.0
	v_fmac_f64_e32 v[40:41], v[40:41], v[44:45]
	v_mul_f64 v[44:45], v[42:43], v[40:41]
	v_fma_f64 v[26:27], -v[26:27], v[44:45], v[42:43]
	v_div_fmas_f64 v[26:27], v[26:27], v[40:41], v[44:45]
	v_div_fixup_f64 v[2:3], v[26:27], v[22:23], v[2:3]
	v_add_f64 v[2:3], v[28:29], v[2:3]
	v_cmp_lt_f64_e64 s[0:1], 0, v[2:3]
	v_cmp_nlt_f64_e64 s[2:3], 0, v[2:3]
                                        ; implicit-def: $vgpr2_vgpr3
                                        ; implicit-def: $vgpr42_vgpr43
                                        ; implicit-def: $vgpr40_vgpr41
	s_and_saveexec_b64 s[4:5], s[2:3]
	s_xor_b64 s[4:5], exec, s[4:5]
	s_cbranch_execz .LBB99_17
; %bb.12:
	v_mul_f64 v[2:3], v[22:23], v[32:33]
	v_add_f64 v[0:1], v[46:47], -v[30:31]
	v_mul_f64 v[26:27], v[2:3], 4.0
	v_add_f64 v[0:1], v[0:1], -v[32:33]
	v_mul_f64 v[26:27], v[28:29], v[26:27]
	s_mov_b32 s6, 0
	v_fmac_f64_e32 v[26:27], v[0:1], v[0:1]
	s_brev_b32 s7, 8
	v_cmp_lt_f64_e64 vcc, |v[26:27]|, s[6:7]
	v_cndmask_b32_e64 v19, 0, 1, vcc
	v_lshlrev_b32_e32 v19, 8, v19
	v_ldexp_f64 v[26:27], |v[26:27]|, v19
	v_rsq_f64_e32 v[30:31], v[26:27]
	v_mov_b32_e32 v19, 0xffffff80
	v_cndmask_b32_e32 v19, 0, v19, vcc
	v_mul_f64 v[32:33], v[26:27], v[30:31]
	v_mul_f64 v[30:31], v[30:31], 0.5
	v_fma_f64 v[40:41], -v[30:31], v[32:33], 0.5
	v_fmac_f64_e32 v[32:33], v[32:33], v[40:41]
	v_fma_f64 v[42:43], -v[32:33], v[32:33], v[26:27]
	v_fmac_f64_e32 v[30:31], v[30:31], v[40:41]
	v_fmac_f64_e32 v[32:33], v[42:43], v[30:31]
	v_fma_f64 v[40:41], -v[32:33], v[32:33], v[26:27]
	v_fmac_f64_e32 v[32:33], v[40:41], v[30:31]
	v_ldexp_f64 v[30:31], v[32:33], v19
	v_mov_b32_e32 v19, 0x260
	v_cmp_class_f64_e32 vcc, v[26:27], v19
	v_cndmask_b32_e32 v27, v31, v27, vcc
	v_cndmask_b32_e32 v26, v30, v26, vcc
	v_cmp_ngt_f64_e32 vcc, 0, v[0:1]
                                        ; implicit-def: $vgpr42_vgpr43
	s_and_saveexec_b64 s[6:7], vcc
	s_xor_b64 s[6:7], exec, s[6:7]
	s_cbranch_execz .LBB99_14
; %bb.13:
	v_add_f64 v[0:1], v[0:1], v[26:27]
	v_add_f64 v[2:3], v[28:29], v[28:29]
	v_div_scale_f64 v[26:27], s[8:9], v[2:3], v[2:3], -v[0:1]
	v_rcp_f64_e32 v[28:29], v[26:27]
	v_fma_f64 v[30:31], -v[26:27], v[28:29], 1.0
	v_fmac_f64_e32 v[28:29], v[28:29], v[30:31]
	v_fma_f64 v[30:31], -v[26:27], v[28:29], 1.0
	v_fmac_f64_e32 v[28:29], v[28:29], v[30:31]
	v_div_scale_f64 v[30:31], vcc, -v[0:1], v[2:3], -v[0:1]
	v_mul_f64 v[32:33], v[30:31], v[28:29]
	v_fma_f64 v[26:27], -v[26:27], v[32:33], v[30:31]
	s_nop 1
	v_div_fmas_f64 v[26:27], v[26:27], v[28:29], v[32:33]
	v_div_fixup_f64 v[42:43], v[26:27], v[2:3], -v[0:1]
                                        ; implicit-def: $vgpr2_vgpr3
                                        ; implicit-def: $vgpr0_vgpr1
                                        ; implicit-def: $vgpr26_vgpr27
.LBB99_14:
	s_andn2_saveexec_b64 s[6:7], s[6:7]
	s_cbranch_execz .LBB99_16
; %bb.15:
	v_add_f64 v[2:3], v[2:3], v[2:3]
	v_add_f64 v[0:1], v[0:1], -v[26:27]
	v_div_scale_f64 v[26:27], s[8:9], v[0:1], v[0:1], v[2:3]
	v_rcp_f64_e32 v[28:29], v[26:27]
	v_fma_f64 v[30:31], -v[26:27], v[28:29], 1.0
	v_fmac_f64_e32 v[28:29], v[28:29], v[30:31]
	v_fma_f64 v[30:31], -v[26:27], v[28:29], 1.0
	v_fmac_f64_e32 v[28:29], v[28:29], v[30:31]
	v_div_scale_f64 v[30:31], vcc, v[2:3], v[0:1], v[2:3]
	v_mul_f64 v[32:33], v[30:31], v[28:29]
	v_fma_f64 v[26:27], -v[26:27], v[32:33], v[30:31]
	s_nop 1
	v_div_fmas_f64 v[26:27], v[26:27], v[28:29], v[32:33]
	v_div_fixup_f64 v[42:43], v[26:27], v[0:1], v[2:3]
.LBB99_16:
	s_or_b64 exec, exec, s[6:7]
	v_mul_f64 v[40:41], v[22:23], -0.5
	v_add_f64 v[2:3], v[38:39], v[42:43]
	s_mov_b64 s[6:7], 0
                                        ; implicit-def: $vgpr46_vgpr47
                                        ; implicit-def: $vgpr30_vgpr31
                                        ; implicit-def: $vgpr32_vgpr33
                                        ; implicit-def: $vgpr28_vgpr29
                                        ; implicit-def: $vgpr0
.LBB99_17:
	s_or_saveexec_b64 s[4:5], s[4:5]
	v_pk_mov_b32 v[44:45], s[6:7], s[6:7] op_sel:[0,1]
	v_pk_mov_b32 v[26:27], v[38:39], v[38:39] op_sel:[0,1]
	s_xor_b64 exec, exec, s[4:5]
	s_cbranch_execz .LBB99_23
; %bb.18:
	v_mul_f64 v[18:19], v[22:23], v[30:31]
	v_add_f64 v[2:3], v[46:47], v[30:31]
	v_mul_f64 v[26:27], v[18:19], -4.0
	v_add_f64 v[2:3], v[2:3], v[32:33]
	v_mul_f64 v[26:27], v[28:29], v[26:27]
	s_mov_b32 s6, 0
	v_fmac_f64_e32 v[26:27], v[2:3], v[2:3]
	s_brev_b32 s7, 8
	v_cmp_lt_f64_e64 vcc, |v[26:27]|, s[6:7]
	v_cndmask_b32_e64 v1, 0, 1, vcc
	v_lshlrev_b32_e32 v1, 8, v1
	v_ldexp_f64 v[26:27], |v[26:27]|, v1
	v_rsq_f64_e32 v[30:31], v[26:27]
	v_mov_b32_e32 v1, 0xffffff80
	v_cndmask_b32_e32 v1, 0, v1, vcc
	v_mul_f64 v[32:33], v[26:27], v[30:31]
	v_mul_f64 v[30:31], v[30:31], 0.5
	v_fma_f64 v[40:41], -v[30:31], v[32:33], 0.5
	v_fmac_f64_e32 v[32:33], v[32:33], v[40:41]
	v_fma_f64 v[42:43], -v[32:33], v[32:33], v[26:27]
	v_fmac_f64_e32 v[30:31], v[30:31], v[40:41]
	v_fmac_f64_e32 v[32:33], v[42:43], v[30:31]
	v_fma_f64 v[40:41], -v[32:33], v[32:33], v[26:27]
	v_fmac_f64_e32 v[32:33], v[40:41], v[30:31]
	v_ldexp_f64 v[30:31], v[32:33], v1
	v_mov_b32_e32 v1, 0x260
	v_cmp_class_f64_e32 vcc, v[26:27], v1
	v_cndmask_b32_e32 v27, v31, v27, vcc
	v_cndmask_b32_e32 v26, v30, v26, vcc
	v_cmp_nlt_f64_e32 vcc, 0, v[2:3]
                                        ; implicit-def: $vgpr42_vgpr43
	s_and_saveexec_b64 s[6:7], vcc
	s_xor_b64 s[6:7], exec, s[6:7]
	s_cbranch_execz .LBB99_20
; %bb.19:
	v_add_f64 v[2:3], v[2:3], -v[26:27]
	v_add_f64 v[18:19], v[28:29], v[28:29]
	v_div_scale_f64 v[26:27], s[8:9], v[18:19], v[18:19], v[2:3]
	v_rcp_f64_e32 v[28:29], v[26:27]
	v_fma_f64 v[30:31], -v[26:27], v[28:29], 1.0
	v_fmac_f64_e32 v[28:29], v[28:29], v[30:31]
	v_fma_f64 v[30:31], -v[26:27], v[28:29], 1.0
	v_fmac_f64_e32 v[28:29], v[28:29], v[30:31]
	v_div_scale_f64 v[30:31], vcc, v[2:3], v[18:19], v[2:3]
	v_mul_f64 v[32:33], v[30:31], v[28:29]
	v_fma_f64 v[26:27], -v[26:27], v[32:33], v[30:31]
	s_nop 1
	v_div_fmas_f64 v[26:27], v[26:27], v[28:29], v[32:33]
	v_div_fixup_f64 v[42:43], v[26:27], v[18:19], v[2:3]
                                        ; implicit-def: $vgpr18_vgpr19
                                        ; implicit-def: $vgpr2_vgpr3
                                        ; implicit-def: $vgpr26_vgpr27
.LBB99_20:
	s_andn2_saveexec_b64 s[6:7], s[6:7]
	s_cbranch_execz .LBB99_22
; %bb.21:
	v_add_f64 v[18:19], v[18:19], v[18:19]
	v_add_f64 v[2:3], v[2:3], v[26:27]
	v_div_scale_f64 v[26:27], s[8:9], v[2:3], v[2:3], v[18:19]
	v_rcp_f64_e32 v[28:29], v[26:27]
	v_fma_f64 v[30:31], -v[26:27], v[28:29], 1.0
	v_fmac_f64_e32 v[28:29], v[28:29], v[30:31]
	v_fma_f64 v[30:31], -v[26:27], v[28:29], 1.0
	v_fmac_f64_e32 v[28:29], v[28:29], v[30:31]
	v_div_scale_f64 v[30:31], vcc, v[18:19], v[2:3], v[18:19]
	v_mul_f64 v[32:33], v[30:31], v[28:29]
	v_fma_f64 v[26:27], -v[26:27], v[32:33], v[30:31]
	s_nop 1
	v_div_fmas_f64 v[26:27], v[26:27], v[28:29], v[32:33]
	v_div_fixup_f64 v[42:43], v[26:27], v[2:3], v[18:19]
.LBB99_22:
	s_or_b64 exec, exec, s[6:7]
	v_mul_f64 v[44:45], v[22:23], 0.5
	v_add_f64 v[2:3], v[16:17], v[42:43]
	v_pk_mov_b32 v[40:41], 0, 0
	v_mov_b32_e32 v18, v0
	v_pk_mov_b32 v[26:27], v[16:17], v[16:17] op_sel:[0,1]
.LBB99_23:
	s_or_b64 exec, exec, s[4:5]
	v_cmp_lt_i32_e32 vcc, -1, v18
	s_and_saveexec_b64 s[4:5], vcc
	s_cbranch_execz .LBB99_26
; %bb.24:
	v_add_u32_e32 v19, 1, v18
	s_mov_b64 s[6:7], 0
	v_pk_mov_b32 v[0:1], v[8:9], v[8:9] op_sel:[0,1]
.LBB99_25:                              ; =>This Inner Loop Header: Depth=1
	global_load_dwordx2 v[28:29], v[0:1], off
	v_add_u32_e32 v19, -1, v19
	v_cmp_eq_u32_e32 vcc, 0, v19
	s_or_b64 s[6:7], vcc, s[6:7]
	s_waitcnt vmcnt(0)
	v_add_f64 v[28:29], v[28:29], -v[26:27]
	global_store_dwordx2 v[0:1], v[28:29], off
	v_add_co_u32_e32 v0, vcc, 8, v0
	v_addc_co_u32_e32 v1, vcc, 0, v1, vcc
	s_andn2_b64 exec, exec, s[6:7]
	s_cbranch_execnz .LBB99_25
.LBB99_26:
	s_or_b64 exec, exec, s[4:5]
	v_cmp_le_i32_e64 s[8:9], v14, v18
	v_cmp_gt_i32_e64 s[4:5], v14, v18
	s_and_saveexec_b64 s[6:7], s[4:5]
	s_cbranch_execz .LBB99_29
; %bb.27:
	v_mov_b32_e32 v0, s29
	v_add_co_u32_e32 v19, vcc, s28, v36
	v_addc_co_u32_e32 v28, vcc, v0, v37, vcc
	v_lshlrev_b64 v[0:1], 3, v[14:15]
	v_add_co_u32_e32 v0, vcc, v19, v0
	s_add_u32 s10, s14, s26
	v_addc_co_u32_e32 v1, vcc, v28, v1, vcc
	s_addc_u32 s11, s15, s27
	v_mov_b32_e32 v19, s11
	v_add_co_u32_e32 v0, vcc, s10, v0
	v_addc_co_u32_e32 v1, vcc, v19, v1, vcc
	s_mov_b64 s[10:11], 0
	v_mov_b32_e32 v19, v14
.LBB99_28:                              ; =>This Inner Loop Header: Depth=1
	global_load_dwordx2 v[28:29], v[0:1], off
	v_add_u32_e32 v19, -1, v19
	v_cmp_le_i32_e32 vcc, v19, v18
	s_or_b64 s[10:11], vcc, s[10:11]
	s_waitcnt vmcnt(0)
	v_add_f64 v[28:29], v[28:29], -v[26:27]
	global_store_dwordx2 v[0:1], v[28:29], off
	v_add_co_u32_e32 v0, vcc, -8, v0
	v_addc_co_u32_e32 v1, vcc, -1, v1, vcc
	s_andn2_b64 exec, exec, s[10:11]
	s_cbranch_execnz .LBB99_28
.LBB99_29:
	s_or_b64 exec, exec, s[6:7]
	v_ashrrev_i32_e32 v19, 31, v18
	v_lshlrev_b64 v[30:31], 3, v[18:19]
	v_add_co_u32_e32 v28, vcc, v8, v30
	v_addc_co_u32_e32 v29, vcc, v9, v31, vcc
	global_load_dwordx2 v[32:33], v[28:29], off
	v_pk_mov_b32 v[46:47], 0, 0
	v_cmp_lt_i32_e64 s[6:7], 0, v18
	v_pk_mov_b32 v[0:1], v[46:47], v[46:47] op_sel:[0,1]
	s_waitcnt vmcnt(0)
	v_add_f64 v[32:33], v[32:33], -v[42:43]
	global_store_dwordx2 v[28:29], v[32:33], off
	v_pk_mov_b32 v[32:33], v[46:47], v[46:47] op_sel:[0,1]
	s_and_saveexec_b64 s[10:11], s[6:7]
	s_cbranch_execz .LBB99_33
; %bb.30:
	v_pk_mov_b32 v[46:47], 0, 0
	s_mov_b64 s[20:21], 0
	v_pk_mov_b32 v[48:49], v[12:13], v[12:13] op_sel:[0,1]
	v_pk_mov_b32 v[50:51], v[8:9], v[8:9] op_sel:[0,1]
	v_mov_b32_e32 v19, v18
	v_pk_mov_b32 v[0:1], v[46:47], v[46:47] op_sel:[0,1]
	v_pk_mov_b32 v[32:33], v[46:47], v[46:47] op_sel:[0,1]
.LBB99_31:                              ; =>This Inner Loop Header: Depth=1
	global_load_dwordx2 v[52:53], v[50:51], off
	v_add_u32_e32 v19, -1, v19
	v_cmp_eq_u32_e32 vcc, 0, v19
	s_or_b64 s[20:21], vcc, s[20:21]
	s_waitcnt vmcnt(0)
	v_add_f64 v[52:53], v[52:53], -v[42:43]
	global_store_dwordx2 v[50:51], v[52:53], off
	global_load_dwordx2 v[54:55], v[48:49], off
	v_add_co_u32_e32 v50, vcc, 8, v50
	v_addc_co_u32_e32 v51, vcc, 0, v51, vcc
	v_add_co_u32_e32 v48, vcc, 8, v48
	v_addc_co_u32_e32 v49, vcc, 0, v49, vcc
	s_waitcnt vmcnt(0)
	v_div_scale_f64 v[56:57], s[30:31], v[52:53], v[52:53], v[54:55]
	v_rcp_f64_e32 v[58:59], v[56:57]
	v_div_scale_f64 v[60:61], vcc, v[54:55], v[52:53], v[54:55]
	v_fma_f64 v[62:63], -v[56:57], v[58:59], 1.0
	v_fmac_f64_e32 v[58:59], v[58:59], v[62:63]
	v_fma_f64 v[62:63], -v[56:57], v[58:59], 1.0
	v_fmac_f64_e32 v[58:59], v[58:59], v[62:63]
	v_mul_f64 v[62:63], v[60:61], v[58:59]
	v_fma_f64 v[56:57], -v[56:57], v[62:63], v[60:61]
	v_div_fmas_f64 v[56:57], v[56:57], v[58:59], v[62:63]
	v_div_fixup_f64 v[52:53], v[56:57], v[52:53], v[54:55]
	v_fmac_f64_e32 v[32:33], v[54:55], v[52:53]
	v_fmac_f64_e32 v[46:47], v[52:53], v[52:53]
	v_add_f64 v[0:1], v[0:1], v[32:33]
	s_andn2_b64 exec, exec, s[20:21]
	s_cbranch_execnz .LBB99_31
; %bb.32:
	s_or_b64 exec, exec, s[20:21]
.LBB99_33:
	s_or_b64 exec, exec, s[10:11]
	v_pk_mov_b32 v[52:53], 0, 0
	v_and_b32_e32 v1, 0x7fffffff, v1
	v_pk_mov_b32 v[50:51], v[52:53], v[52:53] op_sel:[0,1]
	s_and_saveexec_b64 s[10:11], s[4:5]
	s_cbranch_execz .LBB99_37
; %bb.34:
	v_mov_b32_e32 v19, s29
	v_add_co_u32_e32 v48, vcc, s28, v36
	v_addc_co_u32_e32 v19, vcc, v19, v37, vcc
	v_lshlrev_b64 v[50:51], 3, v[14:15]
	v_add_co_u32_e32 v48, vcc, v48, v50
	s_add_u32 s20, s14, s26
	v_addc_co_u32_e32 v19, vcc, v19, v51, vcc
	s_addc_u32 s21, s15, s27
	v_mov_b32_e32 v49, s21
	v_add_co_u32_e32 v48, vcc, s20, v48
	s_add_u32 s20, s24, s22
	v_addc_co_u32_e32 v49, vcc, v49, v19, vcc
	s_addc_u32 s21, s25, s23
	v_mov_b32_e32 v19, s21
	v_add_co_u32_e32 v52, vcc, s20, v34
	v_addc_co_u32_e32 v19, vcc, v19, v35, vcc
	v_add_co_u32_e32 v50, vcc, v52, v50
	v_addc_co_u32_e32 v19, vcc, v19, v51, vcc
	v_mov_b32_e32 v51, s13
	v_add_co_u32_e32 v54, vcc, s12, v50
	v_pk_mov_b32 v[52:53], 0, 0
	v_addc_co_u32_e32 v55, vcc, v51, v19, vcc
	s_mov_b64 s[20:21], 0
	v_mov_b32_e32 v19, v14
	v_pk_mov_b32 v[50:51], v[52:53], v[52:53] op_sel:[0,1]
.LBB99_35:                              ; =>This Inner Loop Header: Depth=1
	global_load_dwordx2 v[56:57], v[48:49], off
	v_add_u32_e32 v19, -1, v19
	v_cmp_le_i32_e32 vcc, v19, v18
	s_or_b64 s[20:21], vcc, s[20:21]
	s_waitcnt vmcnt(0)
	v_add_f64 v[56:57], v[56:57], -v[42:43]
	global_store_dwordx2 v[48:49], v[56:57], off
	global_load_dwordx2 v[58:59], v[54:55], off
	v_add_co_u32_e32 v48, vcc, -8, v48
	v_addc_co_u32_e32 v49, vcc, -1, v49, vcc
	v_add_co_u32_e32 v54, vcc, -8, v54
	v_addc_co_u32_e32 v55, vcc, -1, v55, vcc
	s_waitcnt vmcnt(0)
	v_div_scale_f64 v[60:61], s[30:31], v[56:57], v[56:57], v[58:59]
	v_rcp_f64_e32 v[62:63], v[60:61]
	v_div_scale_f64 v[64:65], vcc, v[58:59], v[56:57], v[58:59]
	v_fma_f64 v[66:67], -v[60:61], v[62:63], 1.0
	v_fmac_f64_e32 v[62:63], v[62:63], v[66:67]
	v_fma_f64 v[66:67], -v[60:61], v[62:63], 1.0
	v_fmac_f64_e32 v[62:63], v[62:63], v[66:67]
	v_mul_f64 v[66:67], v[64:65], v[62:63]
	v_fma_f64 v[60:61], -v[60:61], v[66:67], v[64:65]
	v_div_fmas_f64 v[60:61], v[60:61], v[62:63], v[66:67]
	v_div_fixup_f64 v[56:57], v[60:61], v[56:57], v[58:59]
	v_fmac_f64_e32 v[50:51], v[58:59], v[56:57]
	v_fmac_f64_e32 v[52:53], v[56:57], v[56:57]
	v_add_f64 v[0:1], v[0:1], v[50:51]
	s_andn2_b64 exec, exec, s[20:21]
	s_cbranch_execnz .LBB99_35
; %bb.36:
	s_or_b64 exec, exec, s[20:21]
.LBB99_37:
	s_or_b64 exec, exec, s[10:11]
	v_add_co_u32_e32 v30, vcc, v12, v30
	v_addc_co_u32_e32 v31, vcc, v13, v31, vcc
	global_load_dwordx2 v[48:49], v[28:29], off
	global_load_dwordx2 v[56:57], v[30:31], off
	v_add_f64 v[54:55], v[46:47], v[52:53]
	v_add_f64 v[58:59], v[24:25], v[32:33]
	v_add_f64 v[46:47], v[50:51], -v[32:33]
	v_add_f64 v[32:33], v[24:25], v[24:25]
	v_add_f64 v[50:51], v[58:59], v[50:51]
	v_pk_mov_b32 v[58:59], v[32:33], v[32:33] op_sel:[0,1]
	v_fmac_f64_e32 v[58:59], 0x40200000, v[46:47]
	s_waitcnt vmcnt(0)
	v_div_scale_f64 v[52:53], s[10:11], v[48:49], v[48:49], v[56:57]
	v_rcp_f64_e32 v[60:61], v[52:53]
	v_div_scale_f64 v[46:47], vcc, v[56:57], v[48:49], v[56:57]
	s_mov_b32 s10, 0
	v_fma_f64 v[62:63], -v[52:53], v[60:61], 1.0
	v_fmac_f64_e32 v[60:61], v[60:61], v[62:63]
	v_fma_f64 v[62:63], -v[52:53], v[60:61], 1.0
	v_fmac_f64_e32 v[60:61], v[60:61], v[62:63]
	v_mul_f64 v[62:63], v[46:47], v[60:61]
	v_fma_f64 v[46:47], -v[52:53], v[62:63], v[46:47]
	v_div_fmas_f64 v[46:47], v[46:47], v[60:61], v[62:63]
	v_div_fixup_f64 v[46:47], v[46:47], v[48:49], v[56:57]
	v_mul_f64 v[60:61], v[56:57], v[46:47]
	s_mov_b32 s11, 0x40080000
	v_fma_f64 v[52:53], v[46:47], v[46:47], v[54:55]
	v_fmac_f64_e32 v[50:51], v[56:57], v[46:47]
	v_fma_f64 v[46:47], |v[60:61]|, s[10:11], v[58:59]
	v_fma_f64 v[46:47], |v[42:43]|, v[52:53], v[46:47]
	v_add_f64 v[0:1], v[0:1], v[46:47]
	v_mul_f64 v[0:1], v[0:1], s[18:19]
	v_cmp_nle_f64_e64 s[10:11], |v[50:51]|, v[0:1]
	s_and_saveexec_b64 s[20:21], s[10:11]
	s_cbranch_execz .LBB99_117
; %bb.38:
	v_cndmask_b32_e64 v19, 8, 0, s[0:1]
	v_add_co_u32_e32 v46, vcc, v20, v19
	v_addc_co_u32_e32 v47, vcc, 0, v21, vcc
	global_load_dwordx2 v[46:47], v[46:47], off
	v_add_f64 v[16:17], v[16:17], -v[38:39]
	global_load_dwordx4 v[0:3], v[10:11], off
	v_cndmask_b32_e64 v39, v23, v17, s[0:1]
	v_cndmask_b32_e64 v38, v22, v16, s[0:1]
	s_waitcnt vmcnt(1)
	v_mul_f64 v[38:39], v[38:39], v[46:47]
	v_mul_f64 v[38:39], v[46:47], v[38:39]
	s_waitcnt vmcnt(0)
	v_cndmask_b32_e64 v57, v3, v1, s[0:1]
	v_cndmask_b32_e64 v56, v2, v0, s[0:1]
	v_div_scale_f64 v[46:47], s[10:11], v[56:57], v[56:57], v[38:39]
	v_rcp_f64_e32 v[64:65], v[46:47]
	v_div_scale_f64 v[68:69], vcc, v[38:39], v[56:57], v[38:39]
	v_mul_f64 v[62:63], v[0:1], v[2:3]
	v_fma_f64 v[70:71], -v[46:47], v[64:65], 1.0
	v_fmac_f64_e32 v[64:65], v[64:65], v[70:71]
	v_fma_f64 v[70:71], -v[46:47], v[64:65], 1.0
	v_fmac_f64_e32 v[64:65], v[64:65], v[70:71]
	v_mul_f64 v[70:71], v[68:69], v[64:65]
	v_fma_f64 v[46:47], -v[46:47], v[70:71], v[68:69]
	v_div_fmas_f64 v[46:47], v[46:47], v[64:65], v[70:71]
	v_div_fixup_f64 v[46:47], v[46:47], v[56:57], v[38:39]
	v_div_scale_f64 v[64:65], s[10:11], v[56:57], v[56:57], v[46:47]
	v_rcp_f64_e32 v[68:69], v[64:65]
	v_add_f64 v[60:61], v[0:1], v[2:3]
	v_mul_f64 v[66:67], v[52:53], v[62:63]
	v_fma_f64 v[38:39], v[50:51], v[60:61], -v[66:67]
	v_fma_f64 v[66:67], -v[64:65], v[68:69], 1.0
	v_fmac_f64_e32 v[68:69], v[68:69], v[66:67]
	v_fma_f64 v[66:67], -v[64:65], v[68:69], 1.0
	v_div_scale_f64 v[60:61], vcc, v[46:47], v[56:57], v[46:47]
	v_fmac_f64_e32 v[68:69], v[68:69], v[66:67]
	v_mul_f64 v[66:67], v[60:61], v[68:69]
	v_fma_f64 v[60:61], -v[64:65], v[66:67], v[60:61]
	v_cndmask_b32_e64 v59, v1, v3, s[0:1]
	v_cndmask_b32_e64 v58, v0, v2, s[0:1]
	v_div_fmas_f64 v[60:61], v[60:61], v[68:69], v[66:67]
	v_fma_f64 v[58:59], -v[52:53], v[58:59], v[50:51]
	v_div_fixup_f64 v[46:47], v[60:61], v[56:57], v[46:47]
	v_add_f64 v[58:59], v[58:59], -v[46:47]
	v_mul_f64 v[56:57], v[50:51], v[62:63]
	v_cmp_neq_f64_e32 vcc, 0, v[58:59]
                                        ; implicit-def: $vgpr46_vgpr47
	s_and_saveexec_b64 s[10:11], vcc
	s_xor_b64 s[10:11], exec, s[10:11]
	s_cbranch_execz .LBB99_44
; %bb.39:
	v_mul_f64 v[0:1], v[56:57], -4.0
	v_mul_f64 v[0:1], v[0:1], v[58:59]
	s_mov_b32 s30, 0
	v_fmac_f64_e32 v[0:1], v[38:39], v[38:39]
	s_brev_b32 s31, 8
	v_cmp_lt_f64_e64 vcc, |v[0:1]|, s[30:31]
	v_cndmask_b32_e64 v2, 0, 1, vcc
	v_lshlrev_b32_e32 v2, 8, v2
	v_ldexp_f64 v[0:1], |v[0:1]|, v2
	v_rsq_f64_e32 v[2:3], v[0:1]
	v_mov_b32_e32 v19, 0x260
	v_mul_f64 v[46:47], v[0:1], v[2:3]
	v_mul_f64 v[2:3], v[2:3], 0.5
	v_fma_f64 v[54:55], -v[2:3], v[46:47], 0.5
	v_fmac_f64_e32 v[46:47], v[46:47], v[54:55]
	v_fma_f64 v[60:61], -v[46:47], v[46:47], v[0:1]
	v_fmac_f64_e32 v[2:3], v[2:3], v[54:55]
	v_fmac_f64_e32 v[46:47], v[60:61], v[2:3]
	v_fma_f64 v[54:55], -v[46:47], v[46:47], v[0:1]
	v_fmac_f64_e32 v[46:47], v[54:55], v[2:3]
	v_mov_b32_e32 v2, 0xffffff80
	v_cndmask_b32_e32 v2, 0, v2, vcc
	v_ldexp_f64 v[2:3], v[46:47], v2
	v_cmp_class_f64_e32 vcc, v[0:1], v19
	v_cndmask_b32_e32 v1, v3, v1, vcc
	v_cndmask_b32_e32 v0, v2, v0, vcc
	v_cmp_ge_f64_e32 vcc, 0, v[38:39]
                                        ; implicit-def: $vgpr46_vgpr47
	s_and_saveexec_b64 s[30:31], vcc
	s_xor_b64 s[30:31], exec, s[30:31]
	s_cbranch_execz .LBB99_41
; %bb.40:
	v_add_f64 v[0:1], v[38:39], -v[0:1]
	v_add_f64 v[2:3], v[58:59], v[58:59]
	v_div_scale_f64 v[38:39], s[34:35], v[2:3], v[2:3], v[0:1]
	v_rcp_f64_e32 v[46:47], v[38:39]
	v_fma_f64 v[54:55], -v[38:39], v[46:47], 1.0
	v_fmac_f64_e32 v[46:47], v[46:47], v[54:55]
	v_fma_f64 v[54:55], -v[38:39], v[46:47], 1.0
	v_fmac_f64_e32 v[46:47], v[46:47], v[54:55]
	v_div_scale_f64 v[54:55], vcc, v[0:1], v[2:3], v[0:1]
	v_mul_f64 v[56:57], v[54:55], v[46:47]
	v_fma_f64 v[38:39], -v[38:39], v[56:57], v[54:55]
	s_nop 1
	v_div_fmas_f64 v[38:39], v[38:39], v[46:47], v[56:57]
	v_div_fixup_f64 v[46:47], v[38:39], v[2:3], v[0:1]
                                        ; implicit-def: $vgpr56_vgpr57
                                        ; implicit-def: $vgpr38_vgpr39
                                        ; implicit-def: $vgpr0_vgpr1
.LBB99_41:
	s_andn2_saveexec_b64 s[30:31], s[30:31]
	s_cbranch_execz .LBB99_43
; %bb.42:
	v_add_f64 v[2:3], v[56:57], v[56:57]
	v_add_f64 v[0:1], v[38:39], v[0:1]
	v_div_scale_f64 v[38:39], s[34:35], v[0:1], v[0:1], v[2:3]
	v_rcp_f64_e32 v[46:47], v[38:39]
	v_fma_f64 v[54:55], -v[38:39], v[46:47], 1.0
	v_fmac_f64_e32 v[46:47], v[46:47], v[54:55]
	v_fma_f64 v[54:55], -v[38:39], v[46:47], 1.0
	v_fmac_f64_e32 v[46:47], v[46:47], v[54:55]
	v_div_scale_f64 v[54:55], vcc, v[2:3], v[0:1], v[2:3]
	v_mul_f64 v[56:57], v[54:55], v[46:47]
	v_fma_f64 v[38:39], -v[38:39], v[56:57], v[54:55]
	s_nop 1
	v_div_fmas_f64 v[38:39], v[38:39], v[46:47], v[56:57]
	v_div_fixup_f64 v[46:47], v[38:39], v[0:1], v[2:3]
.LBB99_43:
	s_or_b64 exec, exec, s[30:31]
                                        ; implicit-def: $vgpr38_vgpr39
                                        ; implicit-def: $vgpr56_vgpr57
                                        ; implicit-def: $vgpr2_vgpr3
                                        ; implicit-def: $vgpr54_vgpr55
.LBB99_44:
	s_andn2_saveexec_b64 s[10:11], s[10:11]
	s_cbranch_execz .LBB99_52
; %bb.45:
	v_cmp_eq_f64_e32 vcc, 0, v[38:39]
	s_and_saveexec_b64 s[30:31], vcc
	s_cbranch_execz .LBB99_51
; %bb.46:
                                        ; implicit-def: $vgpr38_vgpr39
	s_and_saveexec_b64 s[34:35], s[2:3]
	s_xor_b64 s[34:35], exec, s[34:35]
	s_cbranch_execz .LBB99_48
; %bb.47:
	global_load_dwordx2 v[2:3], v[20:21], off offset:8
	v_mul_f64 v[0:1], v[0:1], v[0:1]
	s_waitcnt vmcnt(0)
	v_mul_f64 v[38:39], v[2:3], v[2:3]
	v_fmac_f64_e32 v[38:39], v[54:55], v[0:1]
                                        ; implicit-def: $vgpr2_vgpr3
                                        ; implicit-def: $vgpr54_vgpr55
.LBB99_48:
	s_andn2_saveexec_b64 s[34:35], s[34:35]
	s_cbranch_execz .LBB99_50
; %bb.49:
	global_load_dwordx2 v[0:1], v[20:21], off
	s_waitcnt vmcnt(0)
	v_mul_f64 v[38:39], v[0:1], v[0:1]
	v_mul_f64 v[0:1], v[2:3], v[2:3]
	v_fmac_f64_e32 v[38:39], v[54:55], v[0:1]
.LBB99_50:
	s_or_b64 exec, exec, s[34:35]
.LBB99_51:
	s_or_b64 exec, exec, s[30:31]
	v_div_scale_f64 v[0:1], s[30:31], v[38:39], v[38:39], v[56:57]
	v_rcp_f64_e32 v[2:3], v[0:1]
	v_div_scale_f64 v[46:47], vcc, v[56:57], v[38:39], v[56:57]
	v_fma_f64 v[54:55], -v[0:1], v[2:3], 1.0
	v_fmac_f64_e32 v[2:3], v[2:3], v[54:55]
	v_fma_f64 v[54:55], -v[0:1], v[2:3], 1.0
	v_fmac_f64_e32 v[2:3], v[2:3], v[54:55]
	v_mul_f64 v[54:55], v[46:47], v[2:3]
	v_fma_f64 v[0:1], -v[0:1], v[54:55], v[46:47]
	v_div_fmas_f64 v[0:1], v[0:1], v[2:3], v[54:55]
	v_div_fixup_f64 v[46:47], v[0:1], v[38:39], v[56:57]
.LBB99_52:
	s_or_b64 exec, exec, s[10:11]
	v_mul_f64 v[0:1], v[50:51], v[46:47]
	v_cmp_le_f64_e32 vcc, 0, v[0:1]
	s_and_saveexec_b64 s[10:11], vcc
; %bb.53:
	v_div_scale_f64 v[0:1], s[30:31], v[52:53], v[52:53], -v[50:51]
	v_rcp_f64_e32 v[2:3], v[0:1]
	v_div_scale_f64 v[38:39], vcc, -v[50:51], v[52:53], -v[50:51]
	v_fma_f64 v[46:47], -v[0:1], v[2:3], 1.0
	v_fmac_f64_e32 v[2:3], v[2:3], v[46:47]
	v_fma_f64 v[46:47], -v[0:1], v[2:3], 1.0
	v_fmac_f64_e32 v[2:3], v[2:3], v[46:47]
	v_mul_f64 v[46:47], v[38:39], v[2:3]
	v_fma_f64 v[0:1], -v[0:1], v[46:47], v[38:39]
	v_div_fmas_f64 v[0:1], v[0:1], v[2:3], v[46:47]
	v_div_fixup_f64 v[46:47], v[0:1], v[52:53], -v[50:51]
; %bb.54:
	s_or_b64 exec, exec, s[10:11]
	v_cmp_lt_f64_e32 vcc, v[40:41], v[42:43]
	v_cndmask_b32_e32 v0, v40, v42, vcc
	v_cndmask_b32_e32 v1, v41, v43, vcc
	v_cmp_nge_f64_e32 vcc, 0, v[50:51]
	v_cndmask_b32_e32 v39, v1, v41, vcc
	v_cndmask_b32_e32 v38, v0, v40, vcc
	v_cmp_lt_f64_e32 vcc, 0, v[50:51]
	v_cmp_lt_f64_e64 s[10:11], v[42:43], v[44:45]
	s_and_b64 vcc, vcc, s[10:11]
	v_cndmask_b32_e32 v41, v45, v43, vcc
	v_cndmask_b32_e32 v40, v44, v42, vcc
	v_add_f64 v[0:1], v[42:43], v[46:47]
	v_cmp_gt_f64_e32 vcc, v[0:1], v[40:41]
	v_cmp_lt_f64_e64 s[10:11], v[0:1], v[38:39]
	s_or_b64 s[30:31], vcc, s[10:11]
	s_and_saveexec_b64 s[10:11], s[30:31]
	s_cbranch_execz .LBB99_60
; %bb.55:
	v_cmp_ngt_f64_e32 vcc, 0, v[50:51]
                                        ; implicit-def: $vgpr46_vgpr47
	s_and_saveexec_b64 s[30:31], vcc
	s_xor_b64 s[30:31], exec, s[30:31]
; %bb.56:
	v_add_f64 v[0:1], v[38:39], -v[42:43]
	v_mul_f64 v[46:47], v[0:1], 0.5
; %bb.57:
	s_andn2_saveexec_b64 s[30:31], s[30:31]
; %bb.58:
	v_add_f64 v[0:1], v[40:41], -v[42:43]
	v_mul_f64 v[46:47], v[0:1], 0.5
; %bb.59:
	s_or_b64 exec, exec, s[30:31]
.LBB99_60:
	s_or_b64 exec, exec, s[10:11]
	v_add_f64 v[0:1], v[48:49], -v[46:47]
	v_pk_mov_b32 v[44:45], 0, 0
	global_store_dwordx2 v[28:29], v[0:1], off
	v_pk_mov_b32 v[0:1], v[44:45], v[44:45] op_sel:[0,1]
	v_pk_mov_b32 v[2:3], v[44:45], v[44:45] op_sel:[0,1]
	s_and_saveexec_b64 s[10:11], s[6:7]
	s_cbranch_execz .LBB99_64
; %bb.61:
	v_pk_mov_b32 v[44:45], 0, 0
	s_mov_b64 s[30:31], 0
	v_pk_mov_b32 v[48:49], v[12:13], v[12:13] op_sel:[0,1]
	v_pk_mov_b32 v[52:53], v[8:9], v[8:9] op_sel:[0,1]
	v_mov_b32_e32 v19, v18
	v_pk_mov_b32 v[0:1], v[44:45], v[44:45] op_sel:[0,1]
	v_pk_mov_b32 v[2:3], v[44:45], v[44:45] op_sel:[0,1]
.LBB99_62:                              ; =>This Inner Loop Header: Depth=1
	global_load_dwordx2 v[54:55], v[52:53], off
	v_add_u32_e32 v19, -1, v19
	v_cmp_eq_u32_e32 vcc, 0, v19
	s_or_b64 s[30:31], vcc, s[30:31]
	s_waitcnt vmcnt(0)
	v_add_f64 v[54:55], v[54:55], -v[46:47]
	global_store_dwordx2 v[52:53], v[54:55], off
	global_load_dwordx2 v[56:57], v[48:49], off
	v_add_co_u32_e32 v52, vcc, 8, v52
	v_addc_co_u32_e32 v53, vcc, 0, v53, vcc
	v_add_co_u32_e32 v48, vcc, 8, v48
	v_addc_co_u32_e32 v49, vcc, 0, v49, vcc
	s_waitcnt vmcnt(0)
	v_div_scale_f64 v[58:59], s[34:35], v[54:55], v[54:55], v[56:57]
	v_rcp_f64_e32 v[60:61], v[58:59]
	v_div_scale_f64 v[62:63], vcc, v[56:57], v[54:55], v[56:57]
	v_fma_f64 v[64:65], -v[58:59], v[60:61], 1.0
	v_fmac_f64_e32 v[60:61], v[60:61], v[64:65]
	v_fma_f64 v[64:65], -v[58:59], v[60:61], 1.0
	v_fmac_f64_e32 v[60:61], v[60:61], v[64:65]
	v_mul_f64 v[64:65], v[62:63], v[60:61]
	v_fma_f64 v[58:59], -v[58:59], v[64:65], v[62:63]
	v_div_fmas_f64 v[58:59], v[58:59], v[60:61], v[64:65]
	v_div_fixup_f64 v[54:55], v[58:59], v[54:55], v[56:57]
	v_fmac_f64_e32 v[2:3], v[56:57], v[54:55]
	v_fmac_f64_e32 v[44:45], v[54:55], v[54:55]
	v_add_f64 v[0:1], v[0:1], v[2:3]
	s_andn2_b64 exec, exec, s[30:31]
	s_cbranch_execnz .LBB99_62
; %bb.63:
	s_or_b64 exec, exec, s[30:31]
.LBB99_64:
	s_or_b64 exec, exec, s[10:11]
	v_and_b32_e32 v1, 0x7fffffff, v1
                                        ; implicit-def: $sgpr10_sgpr11
                                        ; implicit-def: $vgpr56_vgpr57
                                        ; implicit-def: $vgpr58_vgpr59
	s_and_saveexec_b64 s[30:31], s[8:9]
	s_xor_b64 s[8:9], exec, s[30:31]
	s_cbranch_execz .LBB99_66
; %bb.65:
	v_mov_b32_e32 v19, s29
	v_add_co_u32_e32 v48, vcc, s28, v36
	v_addc_co_u32_e32 v19, vcc, v19, v37, vcc
	v_lshlrev_b64 v[36:37], 3, v[14:15]
	v_add_co_u32_e32 v15, vcc, v48, v36
	v_addc_co_u32_e32 v19, vcc, v19, v37, vcc
	v_mov_b32_e32 v48, s27
	v_add_co_u32_e32 v56, vcc, s26, v15
	s_add_u32 s10, s24, s22
	v_addc_co_u32_e32 v57, vcc, v19, v48, vcc
	s_addc_u32 s11, s25, s23
	v_mov_b32_e32 v15, s11
	v_add_co_u32_e32 v19, vcc, s10, v34
	v_addc_co_u32_e32 v15, vcc, v15, v35, vcc
	v_add_co_u32_e32 v58, vcc, v19, v36
	v_addc_co_u32_e32 v59, vcc, v15, v37, vcc
	s_mov_b64 s[10:11], 0
                                        ; implicit-def: $vgpr36_vgpr37
                                        ; implicit-def: $vgpr34_vgpr35
.LBB99_66:
	s_or_saveexec_b64 s[8:9], s[8:9]
	v_pk_mov_b32 v[52:53], s[10:11], s[10:11] op_sel:[0,1]
	v_pk_mov_b32 v[60:61], s[10:11], s[10:11] op_sel:[0,1]
	s_xor_b64 exec, exec, s[8:9]
	s_cbranch_execz .LBB99_70
; %bb.67:
	v_mov_b32_e32 v19, s29
	v_add_co_u32_e32 v36, vcc, s28, v36
	v_addc_co_u32_e32 v19, vcc, v19, v37, vcc
	v_lshlrev_b64 v[48:49], 3, v[14:15]
	v_add_co_u32_e32 v15, vcc, v36, v48
	v_addc_co_u32_e32 v19, vcc, v19, v49, vcc
	v_mov_b32_e32 v36, s27
	v_add_co_u32_e32 v56, vcc, s26, v15
	v_addc_co_u32_e32 v57, vcc, v19, v36, vcc
	v_mov_b32_e32 v15, s15
	v_add_co_u32_e32 v36, vcc, s14, v56
	s_add_u32 s10, s24, s22
	v_addc_co_u32_e32 v37, vcc, v15, v57, vcc
	s_addc_u32 s11, s25, s23
	v_mov_b32_e32 v15, s11
	v_add_co_u32_e32 v19, vcc, s10, v34
	v_addc_co_u32_e32 v15, vcc, v15, v35, vcc
	v_add_co_u32_e32 v58, vcc, v19, v48
	v_addc_co_u32_e32 v59, vcc, v15, v49, vcc
	v_mov_b32_e32 v15, s13
	v_add_co_u32_e32 v34, vcc, s12, v58
	v_pk_mov_b32 v[52:53], 0, 0
	v_addc_co_u32_e32 v35, vcc, v15, v59, vcc
	s_mov_b64 s[10:11], 0
	v_mov_b32_e32 v15, v14
	v_pk_mov_b32 v[60:61], v[52:53], v[52:53] op_sel:[0,1]
.LBB99_68:                              ; =>This Inner Loop Header: Depth=1
	global_load_dwordx2 v[48:49], v[36:37], off
	v_add_u32_e32 v15, -1, v15
	v_cmp_le_i32_e32 vcc, v15, v18
	s_or_b64 s[10:11], vcc, s[10:11]
	s_waitcnt vmcnt(0)
	v_add_f64 v[48:49], v[48:49], -v[46:47]
	global_store_dwordx2 v[36:37], v[48:49], off
	global_load_dwordx2 v[54:55], v[34:35], off
	v_add_co_u32_e32 v36, vcc, -8, v36
	v_addc_co_u32_e32 v37, vcc, -1, v37, vcc
	v_add_co_u32_e32 v34, vcc, -8, v34
	v_addc_co_u32_e32 v35, vcc, -1, v35, vcc
	s_waitcnt vmcnt(0)
	v_div_scale_f64 v[62:63], s[22:23], v[48:49], v[48:49], v[54:55]
	v_rcp_f64_e32 v[64:65], v[62:63]
	v_div_scale_f64 v[66:67], vcc, v[54:55], v[48:49], v[54:55]
	v_fma_f64 v[68:69], -v[62:63], v[64:65], 1.0
	v_fmac_f64_e32 v[64:65], v[64:65], v[68:69]
	v_fma_f64 v[68:69], -v[62:63], v[64:65], 1.0
	v_fmac_f64_e32 v[64:65], v[64:65], v[68:69]
	v_mul_f64 v[68:69], v[66:67], v[64:65]
	v_fma_f64 v[62:63], -v[62:63], v[68:69], v[66:67]
	v_div_fmas_f64 v[62:63], v[62:63], v[64:65], v[68:69]
	v_div_fixup_f64 v[48:49], v[62:63], v[48:49], v[54:55]
	v_fmac_f64_e32 v[60:61], v[54:55], v[48:49]
	v_fmac_f64_e32 v[52:53], v[48:49], v[48:49]
	v_add_f64 v[0:1], v[0:1], v[60:61]
	s_andn2_b64 exec, exec, s[10:11]
	s_cbranch_execnz .LBB99_68
; %bb.69:
	s_or_b64 exec, exec, s[10:11]
.LBB99_70:
	s_or_b64 exec, exec, s[8:9]
	global_load_dwordx2 v[62:63], v[30:31], off
	global_load_dwordx2 v[48:49], v[28:29], off
	s_mov_b32 s22, 0
	v_add_f64 v[34:35], v[42:43], v[46:47]
	v_add_f64 v[36:37], v[24:25], v[2:3]
	v_add_f64 v[2:3], v[60:61], -v[2:3]
	v_pk_mov_b32 v[64:65], v[32:33], v[32:33] op_sel:[0,1]
	v_and_b32_e32 v43, 0x7fffffff, v51
	v_mov_b32_e32 v42, v50
	s_mov_b32 s23, 0x40240000
	v_fmac_f64_e32 v[64:65], 0x40200000, v[2:3]
	v_div_scale_f64 v[2:3], s[8:9], s[22:23], s[22:23], v[42:43]
	v_rcp_f64_e32 v[66:67], v[2:3]
	v_mov_b32_e32 v15, s15
	v_add_f64 v[46:47], v[36:37], v[60:61]
	v_add_co_u32_e32 v36, vcc, s14, v56
	v_addc_co_u32_e32 v37, vcc, v15, v57, vcc
	v_fma_f64 v[56:57], -v[2:3], v[66:67], 1.0
	v_fmac_f64_e32 v[66:67], v[66:67], v[56:57]
	v_fma_f64 v[56:57], -v[2:3], v[66:67], 1.0
	v_mov_b32_e32 v19, s13
	v_div_scale_f64 v[60:61], s[8:9], v[42:43], s[22:23], v[42:43]
	v_add_co_u32_e32 v42, vcc, s12, v58
	v_fmac_f64_e32 v[66:67], v[66:67], v[56:57]
	v_addc_co_u32_e32 v43, vcc, v19, v59, vcc
	v_mul_f64 v[58:59], v[60:61], v[66:67]
	v_fma_f64 v[2:3], -v[2:3], v[58:59], v[60:61]
	s_mov_b32 s10, 0
	v_add_f64 v[54:55], v[44:45], v[52:53]
	s_mov_b32 s11, 0x40080000
	s_mov_b32 s26, 0
	;; [unrolled: 1-line block ×3, first 2 shown]
	s_mov_b64 s[24:25], 0
	s_brev_b32 s27, 8
                                        ; implicit-def: $sgpr14_sgpr15
	s_waitcnt vmcnt(0)
	v_div_scale_f64 v[56:57], s[12:13], v[48:49], v[48:49], v[62:63]
	v_rcp_f64_e32 v[68:69], v[56:57]
	v_div_scale_f64 v[60:61], vcc, v[62:63], v[48:49], v[62:63]
                                        ; implicit-def: $sgpr12_sgpr13
	v_fma_f64 v[70:71], -v[56:57], v[68:69], 1.0
	v_fmac_f64_e32 v[68:69], v[68:69], v[70:71]
	v_fma_f64 v[70:71], -v[56:57], v[68:69], 1.0
	v_fmac_f64_e32 v[68:69], v[68:69], v[70:71]
	v_mul_f64 v[70:71], v[60:61], v[68:69]
	v_fma_f64 v[56:57], -v[56:57], v[70:71], v[60:61]
	v_div_fmas_f64 v[56:57], v[56:57], v[68:69], v[70:71]
	v_div_fixup_f64 v[56:57], v[56:57], v[48:49], v[62:63]
	s_mov_b64 vcc, s[8:9]
	v_div_fmas_f64 v[2:3], v[2:3], v[66:67], v[58:59]
	v_mul_f64 v[58:59], v[62:63], v[56:57]
	v_fmac_f64_e32 v[46:47], v[62:63], v[56:57]
	v_fmac_f64_e32 v[54:55], v[56:57], v[56:57]
	v_div_fixup_f64 v[2:3], v[2:3], s[22:23], |v[50:51]|
	v_fma_f64 v[50:51], |v[58:59]|, s[10:11], v[64:65]
	v_xor_b32_e32 v15, 0x80000000, v47
	v_cndmask_b32_e64 v58, v46, v46, s[0:1]
	v_fma_f64 v[50:51], |v[34:35]|, v[54:55], v[50:51]
	v_cndmask_b32_e64 v59, v47, v15, s[0:1]
	v_add_f64 v[0:1], v[0:1], v[50:51]
	v_cmp_gt_f64_e64 s[28:29], v[58:59], v[2:3]
	s_branch .LBB99_73
.LBB99_71:                              ;   in Loop: Header=BB99_73 Depth=1
	s_or_b64 exec, exec, s[8:9]
	global_load_dwordx2 v[58:59], v[30:31], off
	global_load_dwordx2 v[48:49], v[28:29], off
	v_add_f64 v[34:35], v[34:35], v[50:51]
	v_add_f64 v[50:51], v[24:25], v[2:3]
	v_and_b32_e32 v63, 0x7fffffff, v47
	v_mov_b32_e32 v62, v46
	v_add_f64 v[2:3], v[56:57], -v[2:3]
	v_add_f64 v[50:51], v[50:51], v[56:57]
	v_div_scale_f64 v[56:57], s[8:9], s[22:23], s[22:23], v[62:63]
	v_rcp_f64_e32 v[64:65], v[56:57]
	v_pk_mov_b32 v[60:61], v[32:33], v[32:33] op_sel:[0,1]
	v_fmac_f64_e32 v[60:61], 0x40200000, v[2:3]
	v_div_scale_f64 v[2:3], s[8:9], v[62:63], s[22:23], v[62:63]
	v_fma_f64 v[62:63], -v[56:57], v[64:65], 1.0
	v_fmac_f64_e32 v[64:65], v[64:65], v[62:63]
	v_fma_f64 v[62:63], -v[56:57], v[64:65], 1.0
	v_fmac_f64_e32 v[64:65], v[64:65], v[62:63]
	v_mul_f64 v[62:63], v[2:3], v[64:65]
	v_fma_f64 v[2:3], -v[56:57], v[62:63], v[2:3]
	s_add_i32 s41, s41, 1
	v_add_f64 v[54:55], v[44:45], v[52:53]
	s_waitcnt vmcnt(0)
	v_div_scale_f64 v[66:67], s[34:35], v[48:49], v[48:49], v[58:59]
	v_rcp_f64_e32 v[68:69], v[66:67]
	v_div_scale_f64 v[56:57], vcc, v[58:59], v[48:49], v[58:59]
	v_fma_f64 v[70:71], -v[66:67], v[68:69], 1.0
	v_fmac_f64_e32 v[68:69], v[68:69], v[70:71]
	v_fma_f64 v[70:71], -v[66:67], v[68:69], 1.0
	v_fmac_f64_e32 v[68:69], v[68:69], v[70:71]
	v_mul_f64 v[70:71], v[56:57], v[68:69]
	v_fma_f64 v[56:57], -v[66:67], v[70:71], v[56:57]
	v_div_fmas_f64 v[56:57], v[56:57], v[68:69], v[70:71]
	v_div_fixup_f64 v[56:57], v[56:57], v[48:49], v[58:59]
	s_mov_b64 vcc, s[8:9]
	v_div_fmas_f64 v[2:3], v[2:3], v[64:65], v[62:63]
	v_fmac_f64_e32 v[50:51], v[58:59], v[56:57]
	v_div_fixup_f64 v[2:3], v[2:3], s[22:23], |v[46:47]|
	v_mul_f64 v[46:47], v[46:47], v[50:51]
	v_cmp_gt_f64_e64 s[8:9], |v[50:51]|, v[2:3]
	v_cmp_lt_f64_e32 vcc, 0, v[46:47]
	s_and_b64 s[8:9], vcc, s[8:9]
	s_xor_b64 s[8:9], s[28:29], s[8:9]
	v_mul_f64 v[62:63], v[58:59], v[56:57]
	s_cmp_eq_u32 s41, 50
	v_fmac_f64_e32 v[54:55], v[56:57], v[56:57]
	v_fma_f64 v[58:59], |v[62:63]|, s[10:11], v[60:61]
	s_cselect_b64 s[34:35], -1, 0
	s_andn2_b64 s[14:15], s[14:15], exec
	s_and_b64 s[8:9], s[8:9], exec
	v_fma_f64 v[2:3], |v[34:35]|, v[54:55], v[58:59]
	s_andn2_b64 s[12:13], s[12:13], exec
	s_or_b64 s[14:15], s[14:15], s[8:9]
	s_and_b64 s[8:9], s[34:35], exec
	v_add_f64 v[0:1], v[0:1], v[2:3]
	s_or_b64 s[12:13], s[12:13], s[8:9]
	v_pk_mov_b32 v[46:47], v[50:51], v[50:51] op_sel:[0,1]
                                        ; implicit-def: $sgpr28_sgpr29
.LBB99_72:                              ;   in Loop: Header=BB99_73 Depth=1
	s_or_b64 exec, exec, s[30:31]
	s_and_b64 s[8:9], exec, s[12:13]
	s_or_b64 s[24:25], s[8:9], s[24:25]
	s_andn2_b64 s[8:9], s[28:29], exec
	s_and_b64 s[28:29], s[14:15], exec
	s_or_b64 s[28:29], s[8:9], s[28:29]
	s_andn2_b64 exec, exec, s[24:25]
	s_cbranch_execz .LBB99_116
.LBB99_73:                              ; =>This Loop Header: Depth=1
                                        ;     Child Loop BB99_110 Depth 2
                                        ;     Child Loop BB99_114 Depth 2
	v_mul_f64 v[0:1], v[0:1], s[18:19]
	v_cmp_nle_f64_e64 s[8:9], |v[46:47]|, v[0:1]
	s_andn2_b64 s[14:15], s[14:15], exec
	s_or_b64 s[12:13], s[12:13], exec
                                        ; implicit-def: $vgpr0_vgpr1
	s_and_saveexec_b64 s[30:31], s[8:9]
	s_cbranch_execz .LBB99_72
; %bb.74:                               ;   in Loop: Header=BB99_73 Depth=1
	global_load_dwordx4 v[0:3], v[10:11], off
	s_xor_b64 s[8:9], s[28:29], -1
                                        ; implicit-def: $vgpr60_vgpr61
	s_and_saveexec_b64 s[34:35], s[8:9]
	s_xor_b64 s[34:35], exec, s[34:35]
	s_cbranch_execz .LBB99_76
; %bb.75:                               ;   in Loop: Header=BB99_73 Depth=1
	v_fma_f64 v[50:51], v[56:57], v[56:57], v[44:45]
	v_fma_f64 v[56:57], v[56:57], v[56:57], v[52:53]
	v_cndmask_b32_e64 v45, v45, v51, s[0:1]
	v_cndmask_b32_e64 v44, v44, v50, s[0:1]
	;; [unrolled: 1-line block ×4, first 2 shown]
	s_waitcnt vmcnt(0)
	v_fma_f64 v[50:51], -v[44:45], v[0:1], v[46:47]
	v_fma_f64 v[60:61], -v[52:53], v[2:3], v[50:51]
.LBB99_76:                              ;   in Loop: Header=BB99_73 Depth=1
	s_andn2_saveexec_b64 s[34:35], s[34:35]
	s_cbranch_execz .LBB99_82
; %bb.77:                               ;   in Loop: Header=BB99_73 Depth=1
                                        ; implicit-def: $vgpr60_vgpr61
	s_and_saveexec_b64 s[36:37], s[2:3]
	s_xor_b64 s[36:37], exec, s[36:37]
	s_cbranch_execz .LBB99_79
; %bb.78:                               ;   in Loop: Header=BB99_73 Depth=1
	global_load_dwordx2 v[50:51], v[20:21], off offset:8
	s_waitcnt vmcnt(0)
	v_mul_f64 v[56:57], v[22:23], v[50:51]
	v_mul_f64 v[50:51], v[50:51], v[56:57]
	v_div_scale_f64 v[56:57], s[38:39], v[2:3], v[2:3], v[50:51]
	v_rcp_f64_e32 v[58:59], v[56:57]
	v_div_scale_f64 v[60:61], vcc, v[50:51], v[2:3], v[50:51]
	v_fma_f64 v[62:63], -v[56:57], v[58:59], 1.0
	v_fmac_f64_e32 v[58:59], v[58:59], v[62:63]
	v_fma_f64 v[62:63], -v[56:57], v[58:59], 1.0
	v_fmac_f64_e32 v[58:59], v[58:59], v[62:63]
	v_mul_f64 v[62:63], v[60:61], v[58:59]
	v_fma_f64 v[56:57], -v[56:57], v[62:63], v[60:61]
	v_div_fmas_f64 v[56:57], v[56:57], v[58:59], v[62:63]
	v_div_fixup_f64 v[50:51], v[56:57], v[2:3], v[50:51]
	v_div_scale_f64 v[56:57], s[38:39], v[2:3], v[2:3], v[50:51]
	v_rcp_f64_e32 v[58:59], v[56:57]
	v_div_scale_f64 v[62:63], vcc, v[50:51], v[2:3], v[50:51]
	v_fma_f64 v[60:61], -v[54:55], v[0:1], v[46:47]
	v_fma_f64 v[64:65], -v[56:57], v[58:59], 1.0
	v_fmac_f64_e32 v[58:59], v[58:59], v[64:65]
	v_fma_f64 v[64:65], -v[56:57], v[58:59], 1.0
	v_fmac_f64_e32 v[58:59], v[58:59], v[64:65]
	v_mul_f64 v[64:65], v[62:63], v[58:59]
	v_fma_f64 v[56:57], -v[56:57], v[64:65], v[62:63]
	v_div_fmas_f64 v[56:57], v[56:57], v[58:59], v[64:65]
	v_div_fixup_f64 v[50:51], v[56:57], v[2:3], v[50:51]
	v_add_f64 v[60:61], v[60:61], -v[50:51]
.LBB99_79:                              ;   in Loop: Header=BB99_73 Depth=1
	s_andn2_saveexec_b64 s[36:37], s[36:37]
	s_cbranch_execz .LBB99_81
; %bb.80:                               ;   in Loop: Header=BB99_73 Depth=1
	global_load_dwordx2 v[50:51], v[20:21], off
	s_waitcnt vmcnt(0)
	v_mul_f64 v[56:57], v[16:17], v[50:51]
	v_mul_f64 v[50:51], v[50:51], v[56:57]
	v_div_scale_f64 v[56:57], s[38:39], v[0:1], v[0:1], v[50:51]
	v_rcp_f64_e32 v[58:59], v[56:57]
	v_div_scale_f64 v[60:61], vcc, v[50:51], v[0:1], v[50:51]
	v_fma_f64 v[62:63], -v[56:57], v[58:59], 1.0
	v_fmac_f64_e32 v[58:59], v[58:59], v[62:63]
	v_fma_f64 v[62:63], -v[56:57], v[58:59], 1.0
	v_fmac_f64_e32 v[58:59], v[58:59], v[62:63]
	v_mul_f64 v[62:63], v[60:61], v[58:59]
	v_fma_f64 v[56:57], -v[56:57], v[62:63], v[60:61]
	v_div_fmas_f64 v[56:57], v[56:57], v[58:59], v[62:63]
	v_div_fixup_f64 v[50:51], v[56:57], v[0:1], v[50:51]
	v_div_scale_f64 v[56:57], s[38:39], v[0:1], v[0:1], v[50:51]
	v_rcp_f64_e32 v[58:59], v[56:57]
	v_div_scale_f64 v[62:63], vcc, v[50:51], v[0:1], v[50:51]
	v_fma_f64 v[60:61], -v[54:55], v[2:3], v[46:47]
	v_fma_f64 v[64:65], -v[56:57], v[58:59], 1.0
	v_fmac_f64_e32 v[58:59], v[58:59], v[64:65]
	v_fma_f64 v[64:65], -v[56:57], v[58:59], 1.0
	v_fmac_f64_e32 v[58:59], v[58:59], v[64:65]
	v_mul_f64 v[64:65], v[62:63], v[58:59]
	v_fma_f64 v[56:57], -v[56:57], v[64:65], v[62:63]
	v_div_fmas_f64 v[56:57], v[56:57], v[58:59], v[64:65]
	v_div_fixup_f64 v[50:51], v[56:57], v[0:1], v[50:51]
	v_add_f64 v[60:61], v[60:61], -v[50:51]
.LBB99_81:                              ;   in Loop: Header=BB99_73 Depth=1
	s_or_b64 exec, exec, s[36:37]
.LBB99_82:                              ;   in Loop: Header=BB99_73 Depth=1
	s_or_b64 exec, exec, s[34:35]
	s_waitcnt vmcnt(0)
	v_mul_f64 v[56:57], v[0:1], v[2:3]
	v_add_f64 v[50:51], v[0:1], v[2:3]
	v_mul_f64 v[58:59], v[54:55], v[56:57]
	v_fma_f64 v[58:59], v[46:47], v[50:51], -v[58:59]
	v_mul_f64 v[56:57], v[46:47], v[56:57]
	v_cmp_neq_f64_e32 vcc, 0, v[60:61]
                                        ; implicit-def: $vgpr50_vgpr51
	s_and_saveexec_b64 s[34:35], vcc
	s_xor_b64 s[34:35], exec, s[34:35]
	s_cbranch_execz .LBB99_88
; %bb.83:                               ;   in Loop: Header=BB99_73 Depth=1
	v_mul_f64 v[0:1], v[56:57], -4.0
	v_mul_f64 v[0:1], v[0:1], v[60:61]
	v_fmac_f64_e32 v[0:1], v[58:59], v[58:59]
	v_cmp_lt_f64_e64 vcc, |v[0:1]|, s[26:27]
	v_cndmask_b32_e64 v2, 0, 1, vcc
	v_lshlrev_b32_e32 v2, 8, v2
	v_ldexp_f64 v[0:1], |v[0:1]|, v2
	v_rsq_f64_e32 v[2:3], v[0:1]
	v_mov_b32_e32 v15, 0x260
	v_mul_f64 v[44:45], v[0:1], v[2:3]
	v_mul_f64 v[2:3], v[2:3], 0.5
	v_fma_f64 v[50:51], -v[2:3], v[44:45], 0.5
	v_fmac_f64_e32 v[44:45], v[44:45], v[50:51]
	v_fmac_f64_e32 v[2:3], v[2:3], v[50:51]
	v_fma_f64 v[50:51], -v[44:45], v[44:45], v[0:1]
	v_fmac_f64_e32 v[44:45], v[50:51], v[2:3]
	v_fma_f64 v[50:51], -v[44:45], v[44:45], v[0:1]
	v_fmac_f64_e32 v[44:45], v[50:51], v[2:3]
	v_mov_b32_e32 v2, 0xffffff80
	v_cndmask_b32_e32 v2, 0, v2, vcc
	v_ldexp_f64 v[2:3], v[44:45], v2
	v_cmp_class_f64_e32 vcc, v[0:1], v15
	v_cndmask_b32_e32 v1, v3, v1, vcc
	v_cndmask_b32_e32 v0, v2, v0, vcc
	v_cmp_ge_f64_e32 vcc, 0, v[58:59]
                                        ; implicit-def: $vgpr50_vgpr51
	s_and_saveexec_b64 s[36:37], vcc
	s_xor_b64 s[36:37], exec, s[36:37]
	s_cbranch_execz .LBB99_85
; %bb.84:                               ;   in Loop: Header=BB99_73 Depth=1
	v_add_f64 v[0:1], v[58:59], -v[0:1]
	v_add_f64 v[2:3], v[60:61], v[60:61]
	v_div_scale_f64 v[44:45], s[38:39], v[2:3], v[2:3], v[0:1]
	v_rcp_f64_e32 v[50:51], v[44:45]
                                        ; implicit-def: $vgpr58_vgpr59
	v_fma_f64 v[52:53], -v[44:45], v[50:51], 1.0
	v_fmac_f64_e32 v[50:51], v[50:51], v[52:53]
	v_fma_f64 v[52:53], -v[44:45], v[50:51], 1.0
	v_fmac_f64_e32 v[50:51], v[50:51], v[52:53]
	v_div_scale_f64 v[52:53], vcc, v[0:1], v[2:3], v[0:1]
	v_mul_f64 v[56:57], v[52:53], v[50:51]
	v_fma_f64 v[44:45], -v[44:45], v[56:57], v[52:53]
	s_nop 1
	v_div_fmas_f64 v[44:45], v[44:45], v[50:51], v[56:57]
	v_div_fixup_f64 v[50:51], v[44:45], v[2:3], v[0:1]
                                        ; implicit-def: $vgpr56_vgpr57
                                        ; implicit-def: $vgpr0_vgpr1
.LBB99_85:                              ;   in Loop: Header=BB99_73 Depth=1
	s_andn2_saveexec_b64 s[36:37], s[36:37]
	s_cbranch_execz .LBB99_87
; %bb.86:                               ;   in Loop: Header=BB99_73 Depth=1
	v_add_f64 v[2:3], v[56:57], v[56:57]
	v_add_f64 v[0:1], v[58:59], v[0:1]
	v_div_scale_f64 v[44:45], s[38:39], v[0:1], v[0:1], v[2:3]
	v_rcp_f64_e32 v[50:51], v[44:45]
	v_fma_f64 v[52:53], -v[44:45], v[50:51], 1.0
	v_fmac_f64_e32 v[50:51], v[50:51], v[52:53]
	v_fma_f64 v[52:53], -v[44:45], v[50:51], 1.0
	v_fmac_f64_e32 v[50:51], v[50:51], v[52:53]
	v_div_scale_f64 v[52:53], vcc, v[2:3], v[0:1], v[2:3]
	v_mul_f64 v[56:57], v[52:53], v[50:51]
	v_fma_f64 v[44:45], -v[44:45], v[56:57], v[52:53]
	s_nop 1
	v_div_fmas_f64 v[44:45], v[44:45], v[50:51], v[56:57]
	v_div_fixup_f64 v[50:51], v[44:45], v[0:1], v[2:3]
.LBB99_87:                              ;   in Loop: Header=BB99_73 Depth=1
	s_or_b64 exec, exec, s[36:37]
                                        ; implicit-def: $vgpr58_vgpr59
                                        ; implicit-def: $vgpr56_vgpr57
                                        ; implicit-def: $vgpr0_vgpr1
                                        ; implicit-def: $vgpr52_vgpr53
                                        ; implicit-def: $vgpr44_vgpr45
.LBB99_88:                              ;   in Loop: Header=BB99_73 Depth=1
	s_andn2_saveexec_b64 s[34:35], s[34:35]
	s_cbranch_execz .LBB99_100
; %bb.89:                               ;   in Loop: Header=BB99_73 Depth=1
	v_cmp_eq_f64_e32 vcc, 0, v[58:59]
	s_and_saveexec_b64 s[36:37], vcc
	s_cbranch_execz .LBB99_99
; %bb.90:                               ;   in Loop: Header=BB99_73 Depth=1
                                        ; implicit-def: $vgpr58_vgpr59
	s_and_saveexec_b64 s[38:39], s[8:9]
	s_xor_b64 s[8:9], exec, s[38:39]
; %bb.91:                               ;   in Loop: Header=BB99_73 Depth=1
	v_mul_f64 v[2:3], v[2:3], v[2:3]
	v_mul_f64 v[0:1], v[0:1], v[0:1]
	;; [unrolled: 1-line block ×3, first 2 shown]
	v_fmac_f64_e32 v[58:59], v[0:1], v[44:45]
                                        ; implicit-def: $vgpr2_vgpr3
                                        ; implicit-def: $vgpr44_vgpr45
                                        ; implicit-def: $vgpr52_vgpr53
; %bb.92:                               ;   in Loop: Header=BB99_73 Depth=1
	s_andn2_saveexec_b64 s[8:9], s[8:9]
	s_cbranch_execz .LBB99_98
; %bb.93:                               ;   in Loop: Header=BB99_73 Depth=1
	v_add_f64 v[44:45], v[44:45], v[52:53]
                                        ; implicit-def: $vgpr58_vgpr59
	s_and_saveexec_b64 s[38:39], s[2:3]
	s_xor_b64 s[38:39], exec, s[38:39]
	s_cbranch_execz .LBB99_95
; %bb.94:                               ;   in Loop: Header=BB99_73 Depth=1
	global_load_dwordx2 v[2:3], v[20:21], off offset:8
	v_mul_f64 v[0:1], v[0:1], v[0:1]
	s_waitcnt vmcnt(0)
	v_mul_f64 v[58:59], v[2:3], v[2:3]
	v_fmac_f64_e32 v[58:59], v[0:1], v[44:45]
                                        ; implicit-def: $vgpr2_vgpr3
                                        ; implicit-def: $vgpr44_vgpr45
.LBB99_95:                              ;   in Loop: Header=BB99_73 Depth=1
	s_andn2_saveexec_b64 s[38:39], s[38:39]
	s_cbranch_execz .LBB99_97
; %bb.96:                               ;   in Loop: Header=BB99_73 Depth=1
	global_load_dwordx2 v[0:1], v[20:21], off
	s_waitcnt vmcnt(0)
	v_mul_f64 v[58:59], v[0:1], v[0:1]
	v_mul_f64 v[0:1], v[2:3], v[2:3]
	v_fmac_f64_e32 v[58:59], v[0:1], v[44:45]
.LBB99_97:                              ;   in Loop: Header=BB99_73 Depth=1
	s_or_b64 exec, exec, s[38:39]
.LBB99_98:                              ;   in Loop: Header=BB99_73 Depth=1
	s_or_b64 exec, exec, s[8:9]
.LBB99_99:                              ;   in Loop: Header=BB99_73 Depth=1
	s_or_b64 exec, exec, s[36:37]
	v_div_scale_f64 v[0:1], s[8:9], v[58:59], v[58:59], v[56:57]
	v_rcp_f64_e32 v[2:3], v[0:1]
	v_div_scale_f64 v[44:45], vcc, v[56:57], v[58:59], v[56:57]
	v_fma_f64 v[50:51], -v[0:1], v[2:3], 1.0
	v_fmac_f64_e32 v[2:3], v[2:3], v[50:51]
	v_fma_f64 v[50:51], -v[0:1], v[2:3], 1.0
	v_fmac_f64_e32 v[2:3], v[2:3], v[50:51]
	v_mul_f64 v[50:51], v[44:45], v[2:3]
	v_fma_f64 v[0:1], -v[0:1], v[50:51], v[44:45]
	v_div_fmas_f64 v[0:1], v[0:1], v[2:3], v[50:51]
	v_div_fixup_f64 v[50:51], v[0:1], v[58:59], v[56:57]
.LBB99_100:                             ;   in Loop: Header=BB99_73 Depth=1
	s_or_b64 exec, exec, s[34:35]
	v_mul_f64 v[0:1], v[46:47], v[50:51]
	v_cmp_le_f64_e32 vcc, 0, v[0:1]
	s_and_saveexec_b64 s[8:9], vcc
; %bb.101:                              ;   in Loop: Header=BB99_73 Depth=1
	v_div_scale_f64 v[0:1], s[34:35], v[54:55], v[54:55], -v[46:47]
	v_rcp_f64_e32 v[2:3], v[0:1]
	v_div_scale_f64 v[44:45], vcc, -v[46:47], v[54:55], -v[46:47]
	v_fma_f64 v[50:51], -v[0:1], v[2:3], 1.0
	v_fmac_f64_e32 v[2:3], v[2:3], v[50:51]
	v_fma_f64 v[50:51], -v[0:1], v[2:3], 1.0
	v_fmac_f64_e32 v[2:3], v[2:3], v[50:51]
	v_mul_f64 v[50:51], v[44:45], v[2:3]
	v_fma_f64 v[0:1], -v[0:1], v[50:51], v[44:45]
	v_div_fmas_f64 v[0:1], v[0:1], v[2:3], v[50:51]
	v_div_fixup_f64 v[50:51], v[0:1], v[54:55], -v[46:47]
; %bb.102:                              ;   in Loop: Header=BB99_73 Depth=1
	s_or_b64 exec, exec, s[8:9]
	v_cmp_lt_f64_e32 vcc, v[38:39], v[34:35]
	v_cndmask_b32_e32 v0, v38, v34, vcc
	v_cndmask_b32_e32 v1, v39, v35, vcc
	v_cmp_nge_f64_e32 vcc, 0, v[46:47]
	v_cndmask_b32_e32 v39, v1, v39, vcc
	v_cndmask_b32_e32 v38, v0, v38, vcc
	v_cmp_lt_f64_e32 vcc, 0, v[46:47]
	v_cmp_lt_f64_e64 s[8:9], v[34:35], v[40:41]
	s_and_b64 vcc, vcc, s[8:9]
	v_cndmask_b32_e32 v41, v41, v35, vcc
	v_cndmask_b32_e32 v40, v40, v34, vcc
	v_add_f64 v[0:1], v[34:35], v[50:51]
	v_cmp_gt_f64_e32 vcc, v[0:1], v[40:41]
	v_cmp_lt_f64_e64 s[8:9], v[0:1], v[38:39]
	s_or_b64 s[34:35], vcc, s[8:9]
	s_and_saveexec_b64 s[8:9], s[34:35]
	s_cbranch_execz .LBB99_108
; %bb.103:                              ;   in Loop: Header=BB99_73 Depth=1
	v_cmp_ngt_f64_e32 vcc, 0, v[46:47]
                                        ; implicit-def: $vgpr50_vgpr51
	s_and_saveexec_b64 s[34:35], vcc
	s_xor_b64 s[34:35], exec, s[34:35]
; %bb.104:                              ;   in Loop: Header=BB99_73 Depth=1
	v_add_f64 v[0:1], v[38:39], -v[34:35]
	v_mul_f64 v[50:51], v[0:1], 0.5
; %bb.105:                              ;   in Loop: Header=BB99_73 Depth=1
	s_andn2_saveexec_b64 s[34:35], s[34:35]
; %bb.106:                              ;   in Loop: Header=BB99_73 Depth=1
	v_add_f64 v[0:1], v[40:41], -v[34:35]
	v_mul_f64 v[50:51], v[0:1], 0.5
; %bb.107:                              ;   in Loop: Header=BB99_73 Depth=1
	s_or_b64 exec, exec, s[34:35]
.LBB99_108:                             ;   in Loop: Header=BB99_73 Depth=1
	s_or_b64 exec, exec, s[8:9]
	v_add_f64 v[0:1], v[48:49], -v[50:51]
	v_pk_mov_b32 v[44:45], 0, 0
	global_store_dwordx2 v[28:29], v[0:1], off
	v_pk_mov_b32 v[0:1], v[44:45], v[44:45] op_sel:[0,1]
	v_pk_mov_b32 v[2:3], v[44:45], v[44:45] op_sel:[0,1]
	s_and_saveexec_b64 s[8:9], s[6:7]
	s_cbranch_execz .LBB99_112
; %bb.109:                              ;   in Loop: Header=BB99_73 Depth=1
	v_pk_mov_b32 v[44:45], 0, 0
	s_mov_b64 s[34:35], 0
	v_pk_mov_b32 v[48:49], v[12:13], v[12:13] op_sel:[0,1]
	v_pk_mov_b32 v[52:53], v[8:9], v[8:9] op_sel:[0,1]
	v_mov_b32_e32 v15, v18
	v_pk_mov_b32 v[0:1], v[44:45], v[44:45] op_sel:[0,1]
	v_pk_mov_b32 v[2:3], v[44:45], v[44:45] op_sel:[0,1]
.LBB99_110:                             ;   Parent Loop BB99_73 Depth=1
                                        ; =>  This Inner Loop Header: Depth=2
	global_load_dwordx2 v[54:55], v[52:53], off
	v_add_u32_e32 v15, -1, v15
	v_cmp_eq_u32_e32 vcc, 0, v15
	s_or_b64 s[34:35], vcc, s[34:35]
	s_waitcnt vmcnt(0)
	v_add_f64 v[54:55], v[54:55], -v[50:51]
	global_store_dwordx2 v[52:53], v[54:55], off
	global_load_dwordx2 v[56:57], v[48:49], off
	v_add_co_u32_e32 v52, vcc, 8, v52
	v_addc_co_u32_e32 v53, vcc, 0, v53, vcc
	v_add_co_u32_e32 v48, vcc, 8, v48
	v_addc_co_u32_e32 v49, vcc, 0, v49, vcc
	s_waitcnt vmcnt(0)
	v_div_scale_f64 v[58:59], s[36:37], v[54:55], v[54:55], v[56:57]
	v_rcp_f64_e32 v[60:61], v[58:59]
	v_div_scale_f64 v[62:63], vcc, v[56:57], v[54:55], v[56:57]
	v_fma_f64 v[64:65], -v[58:59], v[60:61], 1.0
	v_fmac_f64_e32 v[60:61], v[60:61], v[64:65]
	v_fma_f64 v[64:65], -v[58:59], v[60:61], 1.0
	v_fmac_f64_e32 v[60:61], v[60:61], v[64:65]
	v_mul_f64 v[64:65], v[62:63], v[60:61]
	v_fma_f64 v[58:59], -v[58:59], v[64:65], v[62:63]
	v_div_fmas_f64 v[58:59], v[58:59], v[60:61], v[64:65]
	v_div_fixup_f64 v[54:55], v[58:59], v[54:55], v[56:57]
	v_fmac_f64_e32 v[2:3], v[56:57], v[54:55]
	v_fmac_f64_e32 v[44:45], v[54:55], v[54:55]
	v_add_f64 v[0:1], v[0:1], v[2:3]
	s_andn2_b64 exec, exec, s[34:35]
	s_cbranch_execnz .LBB99_110
; %bb.111:                              ;   in Loop: Header=BB99_73 Depth=1
	s_or_b64 exec, exec, s[34:35]
.LBB99_112:                             ;   in Loop: Header=BB99_73 Depth=1
	s_or_b64 exec, exec, s[8:9]
	v_pk_mov_b32 v[52:53], 0, 0
	v_and_b32_e32 v1, 0x7fffffff, v1
	v_pk_mov_b32 v[56:57], v[52:53], v[52:53] op_sel:[0,1]
	s_and_saveexec_b64 s[8:9], s[4:5]
	s_cbranch_execz .LBB99_71
; %bb.113:                              ;   in Loop: Header=BB99_73 Depth=1
	v_pk_mov_b32 v[52:53], 0, 0
	s_mov_b64 s[34:35], 0
	v_pk_mov_b32 v[48:49], v[42:43], v[42:43] op_sel:[0,1]
	v_pk_mov_b32 v[54:55], v[36:37], v[36:37] op_sel:[0,1]
	v_mov_b32_e32 v15, v14
	v_pk_mov_b32 v[56:57], v[52:53], v[52:53] op_sel:[0,1]
.LBB99_114:                             ;   Parent Loop BB99_73 Depth=1
                                        ; =>  This Inner Loop Header: Depth=2
	global_load_dwordx2 v[58:59], v[54:55], off
	v_add_u32_e32 v15, -1, v15
	v_cmp_le_i32_e32 vcc, v15, v18
	s_or_b64 s[34:35], vcc, s[34:35]
	s_waitcnt vmcnt(0)
	v_add_f64 v[58:59], v[58:59], -v[50:51]
	global_store_dwordx2 v[54:55], v[58:59], off
	global_load_dwordx2 v[60:61], v[48:49], off
	v_add_co_u32_e32 v54, vcc, -8, v54
	v_addc_co_u32_e32 v55, vcc, -1, v55, vcc
	v_add_co_u32_e32 v48, vcc, -8, v48
	v_addc_co_u32_e32 v49, vcc, -1, v49, vcc
	s_waitcnt vmcnt(0)
	v_div_scale_f64 v[62:63], s[36:37], v[58:59], v[58:59], v[60:61]
	v_rcp_f64_e32 v[64:65], v[62:63]
	v_div_scale_f64 v[66:67], vcc, v[60:61], v[58:59], v[60:61]
	v_fma_f64 v[68:69], -v[62:63], v[64:65], 1.0
	v_fmac_f64_e32 v[64:65], v[64:65], v[68:69]
	v_fma_f64 v[68:69], -v[62:63], v[64:65], 1.0
	v_fmac_f64_e32 v[64:65], v[64:65], v[68:69]
	v_mul_f64 v[68:69], v[66:67], v[64:65]
	v_fma_f64 v[62:63], -v[62:63], v[68:69], v[66:67]
	v_div_fmas_f64 v[62:63], v[62:63], v[64:65], v[68:69]
	v_div_fixup_f64 v[58:59], v[62:63], v[58:59], v[60:61]
	v_fmac_f64_e32 v[56:57], v[60:61], v[58:59]
	v_fmac_f64_e32 v[52:53], v[58:59], v[58:59]
	v_add_f64 v[0:1], v[0:1], v[56:57]
	s_andn2_b64 exec, exec, s[34:35]
	s_cbranch_execnz .LBB99_114
; %bb.115:                              ;   in Loop: Header=BB99_73 Depth=1
	s_or_b64 exec, exec, s[34:35]
	s_branch .LBB99_71
.LBB99_116:
	s_or_b64 exec, exec, s[24:25]
	v_add_f64 v[2:3], v[26:27], v[34:35]
.LBB99_117:
	s_or_b64 exec, exec, s[20:21]
                                        ; implicit-def: $vgpr24
                                        ; implicit-def: $vgpr0
                                        ; implicit-def: $vgpr8_vgpr9
                                        ; implicit-def: $vgpr12_vgpr13
                                        ; implicit-def: $vgpr10_vgpr11
                                        ; implicit-def: $vgpr16_vgpr17
                                        ; implicit-def: $vgpr20_vgpr21
.LBB99_118:
	s_andn2_saveexec_b64 s[4:5], s[16:17]
	s_cbranch_execz .LBB99_188
; %bb.119:
	v_ashrrev_i32_e32 v25, 31, v24
	v_lshlrev_b64 v[14:15], 3, v[24:25]
	v_add_co_u32_e32 v2, vcc, v8, v14
	v_addc_co_u32_e32 v3, vcc, v9, v15, vcc
	global_load_dwordx2 v[28:29], v[2:3], off offset:-16
	s_waitcnt vmcnt(1)
	v_fma_f64 v[18:19], |v[6:7]|, 0.5, v[16:17]
	v_cmp_lt_i32_e32 vcc, 2, v24
	v_pk_mov_b32 v[26:27], 0, 0
	s_and_saveexec_b64 s[0:1], vcc
	s_cbranch_execz .LBB99_123
; %bb.120:
	v_add_u32_e32 v1, -2, v24
	s_mov_b64 s[2:3], 0
	v_pk_mov_b32 v[26:27], 0, 0
	v_pk_mov_b32 v[22:23], v[12:13], v[12:13] op_sel:[0,1]
	v_pk_mov_b32 v[30:31], v[8:9], v[8:9] op_sel:[0,1]
.LBB99_121:                             ; =>This Inner Loop Header: Depth=1
	global_load_dwordx2 v[32:33], v[30:31], off
	global_load_dwordx2 v[34:35], v[22:23], off
	v_add_co_u32_e32 v30, vcc, 8, v30
	v_addc_co_u32_e32 v31, vcc, 0, v31, vcc
	v_add_co_u32_e32 v22, vcc, 8, v22
	v_add_u32_e32 v1, -1, v1
	v_addc_co_u32_e32 v23, vcc, 0, v23, vcc
	v_cmp_eq_u32_e32 vcc, 0, v1
	s_or_b64 s[2:3], vcc, s[2:3]
	s_waitcnt vmcnt(1)
	v_add_f64 v[32:33], v[32:33], -v[18:19]
	s_waitcnt vmcnt(0)
	v_div_scale_f64 v[36:37], s[6:7], v[32:33], v[32:33], v[34:35]
	v_rcp_f64_e32 v[38:39], v[36:37]
	v_div_scale_f64 v[40:41], vcc, v[34:35], v[32:33], v[34:35]
	v_fma_f64 v[42:43], -v[36:37], v[38:39], 1.0
	v_fmac_f64_e32 v[38:39], v[38:39], v[42:43]
	v_fma_f64 v[42:43], -v[36:37], v[38:39], 1.0
	v_fmac_f64_e32 v[38:39], v[38:39], v[42:43]
	v_mul_f64 v[42:43], v[40:41], v[38:39]
	v_fma_f64 v[36:37], -v[36:37], v[42:43], v[40:41]
	v_div_fmas_f64 v[36:37], v[36:37], v[38:39], v[42:43]
	v_div_fixup_f64 v[32:33], v[36:37], v[32:33], v[34:35]
	v_fmac_f64_e32 v[26:27], v[34:35], v[32:33]
	s_andn2_b64 exec, exec, s[2:3]
	s_cbranch_execnz .LBB99_121
; %bb.122:
	s_or_b64 exec, exec, s[2:3]
.LBB99_123:
	s_or_b64 exec, exec, s[0:1]
	v_add_co_u32_e32 v30, vcc, v12, v14
	v_addc_co_u32_e32 v31, vcc, v13, v15, vcc
	v_add_co_u32_e32 v14, vcc, v12, v20
	v_addc_co_u32_e32 v15, vcc, v13, v21, vcc
	global_load_dwordx2 v[32:33], v[30:31], off offset:-16
	global_load_dwordx2 v[34:35], v[14:15], off
	v_and_b32_e32 v21, 0x7fffffff, v7
	v_mov_b32_e32 v20, v6
	v_div_scale_f64 v[30:31], s[0:1], v[20:21], v[20:21], 1.0
	v_rcp_f64_e32 v[36:37], v[30:31]
	s_waitcnt vmcnt(2)
	v_add_f64 v[38:39], v[28:29], -v[18:19]
	v_div_scale_f64 v[18:19], vcc, 1.0, v[20:21], 1.0
	v_fma_f64 v[40:41], -v[30:31], v[36:37], 1.0
	v_fmac_f64_e32 v[36:37], v[36:37], v[40:41]
	v_fma_f64 v[40:41], -v[30:31], v[36:37], 1.0
	v_fmac_f64_e32 v[36:37], v[36:37], v[40:41]
	v_mul_f64 v[40:41], v[18:19], v[36:37]
	v_fma_f64 v[18:19], -v[30:31], v[40:41], v[18:19]
	v_div_fmas_f64 v[18:19], v[18:19], v[36:37], v[40:41]
	v_div_fixup_f64 v[18:19], v[18:19], |v[6:7]|, 1.0
	v_add_f64 v[26:27], v[18:19], v[26:27]
	v_mul_f64 v[22:23], |v[6:7]|, 0.5
	s_waitcnt vmcnt(1)
	v_mul_f64 v[32:33], v[32:33], v[32:33]
	s_waitcnt vmcnt(0)
	v_mul_f64 v[30:31], v[34:35], v[34:35]
	v_div_scale_f64 v[34:35], s[0:1], v[38:39], v[38:39], v[32:33]
	v_rcp_f64_e32 v[36:37], v[34:35]
	v_div_scale_f64 v[40:41], vcc, v[32:33], v[38:39], v[32:33]
	v_add_f64 v[42:43], v[30:31], v[30:31]
	v_fma_f64 v[44:45], -v[34:35], v[36:37], 1.0
	v_fmac_f64_e32 v[36:37], v[36:37], v[44:45]
	v_fma_f64 v[44:45], -v[34:35], v[36:37], 1.0
	v_fmac_f64_e32 v[36:37], v[36:37], v[44:45]
	v_mul_f64 v[44:45], v[40:41], v[36:37]
	v_fma_f64 v[34:35], -v[34:35], v[44:45], v[40:41]
	v_div_fmas_f64 v[34:35], v[34:35], v[36:37], v[44:45]
	v_div_fixup_f64 v[34:35], v[34:35], v[38:39], v[32:33]
	v_mul_f64 v[42:43], v[18:19], v[42:43]
	v_add_f64 v[34:35], v[26:27], v[34:35]
	v_cmp_ngt_f64_e32 vcc, v[34:35], v[42:43]
	v_add_f64 v[34:35], v[16:17], -v[28:29]
                                        ; implicit-def: $vgpr28_vgpr29
	s_and_saveexec_b64 s[0:1], vcc
	s_xor_b64 s[0:1], exec, s[0:1]
	s_cbranch_execz .LBB99_131
; %bb.124:
	v_add_f64 v[28:29], |v[6:7]|, v[34:35]
	v_div_scale_f64 v[36:37], s[2:3], v[28:29], v[28:29], v[32:33]
	v_rcp_f64_e32 v[38:39], v[36:37]
	v_div_scale_f64 v[40:41], vcc, v[32:33], v[28:29], v[32:33]
	v_fma_f64 v[42:43], -v[36:37], v[38:39], 1.0
	v_fmac_f64_e32 v[38:39], v[38:39], v[42:43]
	v_fma_f64 v[42:43], -v[36:37], v[38:39], 1.0
	v_fmac_f64_e32 v[38:39], v[38:39], v[42:43]
	v_mul_f64 v[42:43], v[40:41], v[38:39]
	v_fma_f64 v[36:37], -v[36:37], v[42:43], v[40:41]
	v_div_scale_f64 v[40:41], s[2:3], v[20:21], v[20:21], v[30:31]
	v_rcp_f64_e32 v[44:45], v[40:41]
	v_div_fmas_f64 v[36:37], v[36:37], v[38:39], v[42:43]
	v_div_fixup_f64 v[28:29], v[36:37], v[28:29], v[32:33]
	v_fma_f64 v[36:37], -v[40:41], v[44:45], 1.0
	v_fmac_f64_e32 v[44:45], v[44:45], v[36:37]
	v_fma_f64 v[36:37], -v[40:41], v[44:45], 1.0
	v_fmac_f64_e32 v[44:45], v[44:45], v[36:37]
	v_div_scale_f64 v[36:37], vcc, v[30:31], v[20:21], v[30:31]
	v_mul_f64 v[38:39], v[36:37], v[44:45]
	v_fma_f64 v[36:37], -v[40:41], v[38:39], v[36:37]
	s_nop 1
	v_div_fmas_f64 v[36:37], v[36:37], v[44:45], v[38:39]
	v_div_fixup_f64 v[36:37], v[36:37], |v[6:7]|, v[30:31]
	v_add_f64 v[28:29], v[28:29], v[36:37]
	v_cmp_nle_f64_e32 vcc, v[26:27], v[28:29]
	v_pk_mov_b32 v[28:29], v[20:21], v[20:21] op_sel:[0,1]
	s_and_saveexec_b64 s[2:3], vcc
	s_cbranch_execz .LBB99_130
; %bb.125:
	v_fma_f64 v[28:29], -v[34:35], v[26:27], v[32:33]
	v_add_f64 v[28:29], v[30:31], v[28:29]
	v_mul_f64 v[30:31], v[34:35], v[30:31]
	v_mul_f64 v[32:33], v[30:31], 4.0
	v_mul_f64 v[32:33], v[26:27], v[32:33]
	s_mov_b32 s6, 0
	v_fmac_f64_e32 v[32:33], v[28:29], v[28:29]
	s_brev_b32 s7, 8
	v_cmp_gt_f64_e32 vcc, s[6:7], v[32:33]
	v_cndmask_b32_e64 v1, 0, 1, vcc
	v_lshlrev_b32_e32 v1, 8, v1
	v_ldexp_f64 v[32:33], v[32:33], v1
	v_rsq_f64_e32 v[34:35], v[32:33]
	v_mov_b32_e32 v1, 0xffffff80
	v_cndmask_b32_e32 v1, 0, v1, vcc
	v_mul_f64 v[36:37], v[32:33], v[34:35]
	v_mul_f64 v[34:35], v[34:35], 0.5
	v_fma_f64 v[38:39], -v[34:35], v[36:37], 0.5
	v_fmac_f64_e32 v[36:37], v[36:37], v[38:39]
	v_fma_f64 v[40:41], -v[36:37], v[36:37], v[32:33]
	v_fmac_f64_e32 v[34:35], v[34:35], v[38:39]
	v_fmac_f64_e32 v[36:37], v[40:41], v[34:35]
	v_fma_f64 v[38:39], -v[36:37], v[36:37], v[32:33]
	v_fmac_f64_e32 v[36:37], v[38:39], v[34:35]
	v_ldexp_f64 v[34:35], v[36:37], v1
	v_mov_b32_e32 v1, 0x260
	v_cmp_class_f64_e32 vcc, v[32:33], v1
	v_cndmask_b32_e32 v35, v35, v33, vcc
	v_cndmask_b32_e32 v34, v34, v32, vcc
	v_cmp_ngt_f64_e32 vcc, 0, v[28:29]
                                        ; implicit-def: $vgpr32_vgpr33
	s_and_saveexec_b64 s[6:7], vcc
	s_xor_b64 s[6:7], exec, s[6:7]
	s_cbranch_execz .LBB99_127
; %bb.126:
	v_add_f64 v[28:29], v[28:29], v[34:35]
	v_add_f64 v[26:27], v[26:27], v[26:27]
	v_div_scale_f64 v[30:31], s[8:9], v[26:27], v[26:27], v[28:29]
	v_rcp_f64_e32 v[32:33], v[30:31]
	v_fma_f64 v[34:35], -v[30:31], v[32:33], 1.0
	v_fmac_f64_e32 v[32:33], v[32:33], v[34:35]
	v_fma_f64 v[34:35], -v[30:31], v[32:33], 1.0
	v_fmac_f64_e32 v[32:33], v[32:33], v[34:35]
	v_div_scale_f64 v[34:35], vcc, v[28:29], v[26:27], v[28:29]
	v_mul_f64 v[36:37], v[34:35], v[32:33]
	v_fma_f64 v[30:31], -v[30:31], v[36:37], v[34:35]
                                        ; implicit-def: $vgpr34_vgpr35
	s_nop 1
	v_div_fmas_f64 v[30:31], v[30:31], v[32:33], v[36:37]
	v_div_fixup_f64 v[32:33], v[30:31], v[26:27], v[28:29]
                                        ; implicit-def: $vgpr30_vgpr31
                                        ; implicit-def: $vgpr28_vgpr29
.LBB99_127:
	s_andn2_saveexec_b64 s[6:7], s[6:7]
	s_cbranch_execz .LBB99_129
; %bb.128:
	v_add_f64 v[26:27], v[30:31], v[30:31]
	v_add_f64 v[28:29], v[34:35], -v[28:29]
	v_div_scale_f64 v[30:31], s[8:9], v[28:29], v[28:29], v[26:27]
	v_rcp_f64_e32 v[32:33], v[30:31]
	v_fma_f64 v[34:35], -v[30:31], v[32:33], 1.0
	v_fmac_f64_e32 v[32:33], v[32:33], v[34:35]
	v_fma_f64 v[34:35], -v[30:31], v[32:33], 1.0
	v_fmac_f64_e32 v[32:33], v[32:33], v[34:35]
	v_div_scale_f64 v[34:35], vcc, v[26:27], v[28:29], v[26:27]
	v_mul_f64 v[36:37], v[34:35], v[32:33]
	v_fma_f64 v[30:31], -v[30:31], v[36:37], v[34:35]
	s_nop 1
	v_div_fmas_f64 v[30:31], v[30:31], v[32:33], v[36:37]
	v_div_fixup_f64 v[32:33], v[30:31], v[28:29], v[26:27]
.LBB99_129:
	s_or_b64 exec, exec, s[6:7]
	v_pk_mov_b32 v[28:29], v[20:21], v[20:21] op_sel:[0,1]
	v_pk_mov_b32 v[20:21], v[32:33], v[32:33] op_sel:[0,1]
.LBB99_130:
	s_or_b64 exec, exec, s[2:3]
                                        ; implicit-def: $vgpr34_vgpr35
                                        ; implicit-def: $vgpr26_vgpr27
                                        ; implicit-def: $vgpr32_vgpr33
                                        ; implicit-def: $vgpr30_vgpr31
.LBB99_131:
	s_andn2_saveexec_b64 s[0:1], s[0:1]
	s_cbranch_execz .LBB99_137
; %bb.132:
	v_fma_f64 v[20:21], -v[34:35], v[26:27], v[32:33]
	v_add_f64 v[28:29], v[30:31], v[20:21]
	v_mul_f64 v[30:31], v[34:35], v[30:31]
	v_mul_f64 v[20:21], v[30:31], 4.0
	v_mul_f64 v[20:21], v[26:27], v[20:21]
	s_mov_b32 s2, 0
	v_fmac_f64_e32 v[20:21], v[28:29], v[28:29]
	s_brev_b32 s3, 8
	v_cmp_gt_f64_e32 vcc, s[2:3], v[20:21]
	v_cndmask_b32_e64 v1, 0, 1, vcc
	v_lshlrev_b32_e32 v1, 8, v1
	v_ldexp_f64 v[20:21], v[20:21], v1
	v_rsq_f64_e32 v[32:33], v[20:21]
	v_mov_b32_e32 v1, 0xffffff80
	v_cndmask_b32_e32 v1, 0, v1, vcc
	s_mov_b64 s[2:3], 0
	v_mul_f64 v[34:35], v[20:21], v[32:33]
	v_mul_f64 v[32:33], v[32:33], 0.5
	v_fma_f64 v[36:37], -v[32:33], v[34:35], 0.5
	v_fmac_f64_e32 v[34:35], v[34:35], v[36:37]
	v_fma_f64 v[38:39], -v[34:35], v[34:35], v[20:21]
	v_fmac_f64_e32 v[32:33], v[32:33], v[36:37]
	v_fmac_f64_e32 v[34:35], v[38:39], v[32:33]
	v_fma_f64 v[36:37], -v[34:35], v[34:35], v[20:21]
	v_fmac_f64_e32 v[34:35], v[36:37], v[32:33]
	v_ldexp_f64 v[32:33], v[34:35], v1
	v_mov_b32_e32 v1, 0x260
	v_cmp_class_f64_e32 vcc, v[20:21], v1
	v_cndmask_b32_e32 v33, v33, v21, vcc
	v_cndmask_b32_e32 v32, v32, v20, vcc
	v_cmp_ngt_f64_e32 vcc, 0, v[28:29]
                                        ; implicit-def: $vgpr20_vgpr21
	s_and_saveexec_b64 s[6:7], vcc
	s_xor_b64 s[6:7], exec, s[6:7]
	s_cbranch_execz .LBB99_134
; %bb.133:
	v_add_f64 v[20:21], v[28:29], v[32:33]
	v_add_f64 v[26:27], v[26:27], v[26:27]
	v_div_scale_f64 v[28:29], s[8:9], v[26:27], v[26:27], v[20:21]
	v_rcp_f64_e32 v[30:31], v[28:29]
	v_fma_f64 v[32:33], -v[28:29], v[30:31], 1.0
	v_fmac_f64_e32 v[30:31], v[30:31], v[32:33]
	v_fma_f64 v[32:33], -v[28:29], v[30:31], 1.0
	v_fmac_f64_e32 v[30:31], v[30:31], v[32:33]
	v_div_scale_f64 v[32:33], vcc, v[20:21], v[26:27], v[20:21]
	v_mul_f64 v[34:35], v[32:33], v[30:31]
	v_fma_f64 v[28:29], -v[28:29], v[34:35], v[32:33]
                                        ; implicit-def: $vgpr32_vgpr33
	s_nop 1
	v_div_fmas_f64 v[28:29], v[28:29], v[30:31], v[34:35]
	v_div_fixup_f64 v[20:21], v[28:29], v[26:27], v[20:21]
                                        ; implicit-def: $vgpr30_vgpr31
                                        ; implicit-def: $vgpr28_vgpr29
.LBB99_134:
	s_or_saveexec_b64 s[6:7], s[6:7]
	v_pk_mov_b32 v[26:27], s[2:3], s[2:3] op_sel:[0,1]
	s_xor_b64 exec, exec, s[6:7]
	s_cbranch_execz .LBB99_136
; %bb.135:
	v_add_f64 v[20:21], v[30:31], v[30:31]
	v_add_f64 v[26:27], v[32:33], -v[28:29]
	v_div_scale_f64 v[28:29], s[2:3], v[26:27], v[26:27], v[20:21]
	v_rcp_f64_e32 v[30:31], v[28:29]
	v_fma_f64 v[32:33], -v[28:29], v[30:31], 1.0
	v_fmac_f64_e32 v[30:31], v[30:31], v[32:33]
	v_fma_f64 v[32:33], -v[28:29], v[30:31], 1.0
	v_fmac_f64_e32 v[30:31], v[30:31], v[32:33]
	v_div_scale_f64 v[32:33], vcc, v[20:21], v[26:27], v[20:21]
	v_mul_f64 v[34:35], v[32:33], v[30:31]
	v_fma_f64 v[28:29], -v[28:29], v[34:35], v[32:33]
	s_nop 1
	v_div_fmas_f64 v[28:29], v[28:29], v[30:31], v[34:35]
	v_div_fixup_f64 v[20:21], v[28:29], v[26:27], v[20:21]
	v_pk_mov_b32 v[26:27], 0, 0
.LBB99_136:
	s_or_b64 exec, exec, s[6:7]
	v_pk_mov_b32 v[28:29], v[22:23], v[22:23] op_sel:[0,1]
	v_pk_mov_b32 v[22:23], v[26:27], v[26:27] op_sel:[0,1]
.LBB99_137:
	s_or_b64 exec, exec, s[0:1]
	v_cmp_lt_i32_e64 s[0:1], 1, v24
	v_pk_mov_b32 v[24:25], v[16:17], v[16:17] op_sel:[0,1]
	s_and_saveexec_b64 s[2:3], s[0:1]
	s_cbranch_execz .LBB99_141
; %bb.138:
	s_mov_b64 s[6:7], 0
	v_pk_mov_b32 v[24:25], v[8:9], v[8:9] op_sel:[0,1]
	v_mov_b32_e32 v1, v0
.LBB99_139:                             ; =>This Inner Loop Header: Depth=1
	global_load_dwordx2 v[26:27], v[24:25], off
	v_add_u32_e32 v1, -1, v1
	v_cmp_eq_u32_e32 vcc, 0, v1
	s_or_b64 s[6:7], vcc, s[6:7]
	s_waitcnt vmcnt(0)
	v_add_f64 v[26:27], v[26:27], -v[16:17]
	global_store_dwordx2 v[24:25], v[26:27], off
	v_add_co_u32_e32 v24, vcc, 8, v24
	v_addc_co_u32_e32 v25, vcc, 0, v25, vcc
	s_andn2_b64 exec, exec, s[6:7]
	s_cbranch_execnz .LBB99_139
; %bb.140:
	s_or_b64 exec, exec, s[6:7]
	global_load_dwordx2 v[24:25], v[10:11], off
.LBB99_141:
	s_or_b64 exec, exec, s[2:3]
	v_pk_mov_b32 v[30:31], 0, 0
	s_waitcnt vmcnt(0)
	v_add_f64 v[26:27], v[24:25], -v[16:17]
	v_pk_mov_b32 v[24:25], v[30:31], v[30:31] op_sel:[0,1]
	v_pk_mov_b32 v[36:37], v[30:31], v[30:31] op_sel:[0,1]
	global_store_dwordx2 v[10:11], v[26:27], off
	s_and_saveexec_b64 s[2:3], s[0:1]
	s_cbranch_execz .LBB99_145
; %bb.142:
	v_pk_mov_b32 v[30:31], 0, 0
	s_mov_b64 s[6:7], 0
	v_pk_mov_b32 v[26:27], v[12:13], v[12:13] op_sel:[0,1]
	v_pk_mov_b32 v[32:33], v[8:9], v[8:9] op_sel:[0,1]
	v_mov_b32_e32 v1, v0
	v_pk_mov_b32 v[24:25], v[30:31], v[30:31] op_sel:[0,1]
	v_pk_mov_b32 v[36:37], v[30:31], v[30:31] op_sel:[0,1]
.LBB99_143:                             ; =>This Inner Loop Header: Depth=1
	global_load_dwordx2 v[34:35], v[32:33], off
	v_add_u32_e32 v1, -1, v1
	v_cmp_eq_u32_e32 vcc, 0, v1
	s_or_b64 s[6:7], vcc, s[6:7]
	s_waitcnt vmcnt(0)
	v_add_f64 v[34:35], v[34:35], -v[20:21]
	global_store_dwordx2 v[32:33], v[34:35], off
	global_load_dwordx2 v[38:39], v[26:27], off
	v_add_co_u32_e32 v32, vcc, 8, v32
	v_addc_co_u32_e32 v33, vcc, 0, v33, vcc
	v_add_co_u32_e32 v26, vcc, 8, v26
	v_addc_co_u32_e32 v27, vcc, 0, v27, vcc
	s_waitcnt vmcnt(0)
	v_div_scale_f64 v[40:41], s[8:9], v[34:35], v[34:35], v[38:39]
	v_rcp_f64_e32 v[42:43], v[40:41]
	v_div_scale_f64 v[44:45], vcc, v[38:39], v[34:35], v[38:39]
	v_fma_f64 v[46:47], -v[40:41], v[42:43], 1.0
	v_fmac_f64_e32 v[42:43], v[42:43], v[46:47]
	v_fma_f64 v[46:47], -v[40:41], v[42:43], 1.0
	v_fmac_f64_e32 v[42:43], v[42:43], v[46:47]
	v_mul_f64 v[46:47], v[44:45], v[42:43]
	v_fma_f64 v[40:41], -v[40:41], v[46:47], v[44:45]
	v_div_fmas_f64 v[40:41], v[40:41], v[42:43], v[46:47]
	v_div_fixup_f64 v[34:35], v[40:41], v[34:35], v[38:39]
	v_fmac_f64_e32 v[36:37], v[38:39], v[34:35]
	v_fmac_f64_e32 v[30:31], v[34:35], v[34:35]
	v_add_f64 v[24:25], v[24:25], v[36:37]
	s_andn2_b64 exec, exec, s[6:7]
	s_cbranch_execnz .LBB99_143
; %bb.144:
	s_or_b64 exec, exec, s[6:7]
	global_load_dwordx2 v[26:27], v[10:11], off
.LBB99_145:
	s_or_b64 exec, exec, s[2:3]
	s_waitcnt vmcnt(0)
	v_add_f64 v[26:27], v[26:27], -v[20:21]
	global_store_dwordx2 v[10:11], v[26:27], off
	global_load_dwordx2 v[32:33], v[14:15], off
	v_add_f64 v[40:41], v[18:19], v[36:37]
	s_waitcnt vmcnt(0)
	v_div_scale_f64 v[34:35], s[2:3], v[26:27], v[26:27], v[32:33]
	v_rcp_f64_e32 v[38:39], v[34:35]
	v_div_scale_f64 v[42:43], vcc, v[32:33], v[26:27], v[32:33]
	v_fma_f64 v[44:45], -v[34:35], v[38:39], 1.0
	v_fmac_f64_e32 v[38:39], v[38:39], v[44:45]
	v_fma_f64 v[44:45], -v[34:35], v[38:39], 1.0
	v_fmac_f64_e32 v[38:39], v[38:39], v[44:45]
	v_mul_f64 v[44:45], v[42:43], v[38:39]
	v_fma_f64 v[34:35], -v[34:35], v[44:45], v[42:43]
	v_div_fmas_f64 v[34:35], v[34:35], v[38:39], v[44:45]
	v_div_fixup_f64 v[38:39], v[34:35], v[26:27], v[32:33]
	v_fma_f64 v[42:43], v[32:33], v[38:39], 0
	v_add_f64 v[36:37], v[36:37], v[42:43]
	v_fma_f64 v[34:35], v[38:39], v[38:39], v[30:31]
	v_ldexp_f64 v[36:37], -v[36:37], 3
	v_fma_f64 v[36:37], |v[20:21]|, v[34:35], v[36:37]
	v_add_f64 v[36:37], v[36:37], -v[42:43]
	v_add_f64 v[24:25], |v[24:25]|, v[42:43]
	v_add_f64 v[36:37], v[18:19], v[36:37]
	v_add_f64 v[24:25], v[24:25], v[36:37]
	;; [unrolled: 1-line block ×3, first 2 shown]
	v_mul_f64 v[24:25], v[24:25], s[18:19]
	v_cmp_nle_f64_e64 s[2:3], |v[32:33]|, v[24:25]
	s_and_saveexec_b64 s[6:7], s[2:3]
	s_cbranch_execz .LBB99_187
; %bb.146:
	global_load_dwordx2 v[40:41], v[2:3], off offset:-16
	v_cmp_lt_f64_e32 vcc, 0, v[32:33]
	v_cmp_lt_f64_e64 s[2:3], v[20:21], v[28:29]
	s_and_b64 vcc, s[2:3], vcc
	v_mul_f64 v[36:37], v[38:39], v[38:39]
	v_cndmask_b32_e32 v25, v29, v21, vcc
	v_cndmask_b32_e32 v24, v28, v20, vcc
	s_waitcnt vmcnt(0)
	v_fma_f64 v[28:29], -v[30:31], v[40:41], v[32:33]
	v_fma_f64 v[36:37], -v[26:27], v[36:37], v[28:29]
	v_cmp_neq_f64_e32 vcc, 0, v[36:37]
                                        ; implicit-def: $vgpr30_vgpr31
	s_and_saveexec_b64 s[2:3], vcc
	s_xor_b64 s[2:3], exec, s[2:3]
	s_cbranch_execz .LBB99_152
; %bb.147:
	v_mul_f64 v[30:31], v[26:27], v[40:41]
	v_add_f64 v[28:29], v[26:27], v[40:41]
	v_mul_f64 v[38:39], v[34:35], v[30:31]
	v_fma_f64 v[28:29], v[32:33], v[28:29], -v[38:39]
	v_mul_f64 v[38:39], v[32:33], v[30:31]
	v_mul_f64 v[30:31], v[38:39], -4.0
	v_mul_f64 v[30:31], v[30:31], |v[36:37]|
	s_mov_b32 s8, 0
	v_fmac_f64_e32 v[30:31], v[28:29], v[28:29]
	s_brev_b32 s9, 8
	v_cmp_lt_f64_e64 vcc, |v[30:31]|, s[8:9]
	v_cndmask_b32_e64 v1, 0, 1, vcc
	v_lshlrev_b32_e32 v1, 8, v1
	v_ldexp_f64 v[30:31], |v[30:31]|, v1
	v_rsq_f64_e32 v[40:41], v[30:31]
	v_mov_b32_e32 v1, 0xffffff80
	v_cndmask_b32_e32 v1, 0, v1, vcc
	v_mul_f64 v[42:43], v[30:31], v[40:41]
	v_mul_f64 v[40:41], v[40:41], 0.5
	v_fma_f64 v[44:45], -v[40:41], v[42:43], 0.5
	v_fmac_f64_e32 v[42:43], v[42:43], v[44:45]
	v_fma_f64 v[46:47], -v[42:43], v[42:43], v[30:31]
	v_fmac_f64_e32 v[40:41], v[40:41], v[44:45]
	v_fmac_f64_e32 v[42:43], v[46:47], v[40:41]
	v_fma_f64 v[44:45], -v[42:43], v[42:43], v[30:31]
	v_fmac_f64_e32 v[42:43], v[44:45], v[40:41]
	v_ldexp_f64 v[40:41], v[42:43], v1
	v_mov_b32_e32 v1, 0x260
	v_cmp_class_f64_e32 vcc, v[30:31], v1
	v_cndmask_b32_e32 v41, v41, v31, vcc
	v_cndmask_b32_e32 v40, v40, v30, vcc
	v_cmp_le_f64_e32 vcc, 0, v[28:29]
                                        ; implicit-def: $vgpr30_vgpr31
	s_and_saveexec_b64 s[8:9], vcc
	s_xor_b64 s[8:9], exec, s[8:9]
	s_cbranch_execz .LBB99_149
; %bb.148:
	v_add_f64 v[28:29], v[28:29], v[40:41]
	v_add_f64 v[30:31], |v[36:37]|, |v[36:37]|
	v_div_scale_f64 v[36:37], s[10:11], v[30:31], v[30:31], v[28:29]
	v_rcp_f64_e32 v[38:39], v[36:37]
	v_fma_f64 v[40:41], -v[36:37], v[38:39], 1.0
	v_fmac_f64_e32 v[38:39], v[38:39], v[40:41]
	v_fma_f64 v[40:41], -v[36:37], v[38:39], 1.0
	v_fmac_f64_e32 v[38:39], v[38:39], v[40:41]
	v_div_scale_f64 v[40:41], vcc, v[28:29], v[30:31], v[28:29]
	v_mul_f64 v[42:43], v[40:41], v[38:39]
	v_fma_f64 v[36:37], -v[36:37], v[42:43], v[40:41]
                                        ; implicit-def: $vgpr40_vgpr41
	s_nop 1
	v_div_fmas_f64 v[36:37], v[36:37], v[38:39], v[42:43]
	v_div_fixup_f64 v[30:31], v[36:37], v[30:31], v[28:29]
                                        ; implicit-def: $vgpr38_vgpr39
                                        ; implicit-def: $vgpr28_vgpr29
.LBB99_149:
	s_andn2_saveexec_b64 s[8:9], s[8:9]
	s_cbranch_execz .LBB99_151
; %bb.150:
	v_add_f64 v[30:31], v[38:39], v[38:39]
	v_add_f64 v[28:29], v[28:29], -v[40:41]
	v_div_scale_f64 v[36:37], s[10:11], v[28:29], v[28:29], v[30:31]
	v_rcp_f64_e32 v[38:39], v[36:37]
	v_fma_f64 v[40:41], -v[36:37], v[38:39], 1.0
	v_fmac_f64_e32 v[38:39], v[38:39], v[40:41]
	v_fma_f64 v[40:41], -v[36:37], v[38:39], 1.0
	v_fmac_f64_e32 v[38:39], v[38:39], v[40:41]
	v_div_scale_f64 v[40:41], vcc, v[30:31], v[28:29], v[30:31]
	v_mul_f64 v[42:43], v[40:41], v[38:39]
	v_fma_f64 v[36:37], -v[36:37], v[42:43], v[40:41]
	s_nop 1
	v_div_fmas_f64 v[36:37], v[36:37], v[38:39], v[42:43]
	v_div_fixup_f64 v[30:31], v[36:37], v[28:29], v[30:31]
.LBB99_151:
	s_or_b64 exec, exec, s[8:9]
.LBB99_152:
	s_andn2_saveexec_b64 s[2:3], s[2:3]
; %bb.153:
	v_add_f64 v[30:31], v[24:25], -v[20:21]
; %bb.154:
	s_or_b64 exec, exec, s[2:3]
	v_mul_f64 v[28:29], v[32:33], v[30:31]
	v_cmp_lt_f64_e32 vcc, 0, v[28:29]
	s_and_saveexec_b64 s[2:3], vcc
; %bb.155:
	v_div_scale_f64 v[28:29], s[8:9], v[34:35], v[34:35], -v[32:33]
	v_rcp_f64_e32 v[30:31], v[28:29]
	v_div_scale_f64 v[36:37], vcc, -v[32:33], v[34:35], -v[32:33]
	v_fma_f64 v[38:39], -v[28:29], v[30:31], 1.0
	v_fmac_f64_e32 v[30:31], v[30:31], v[38:39]
	v_fma_f64 v[38:39], -v[28:29], v[30:31], 1.0
	v_fmac_f64_e32 v[30:31], v[30:31], v[38:39]
	v_mul_f64 v[38:39], v[36:37], v[30:31]
	v_fma_f64 v[28:29], -v[28:29], v[38:39], v[36:37]
	v_div_fmas_f64 v[28:29], v[28:29], v[30:31], v[38:39]
	v_div_fixup_f64 v[30:31], v[28:29], v[34:35], -v[32:33]
; %bb.156:
	s_or_b64 exec, exec, s[2:3]
	v_cmp_lt_f64_e32 vcc, v[22:23], v[20:21]
	v_cndmask_b32_e32 v1, v22, v20, vcc
	v_cndmask_b32_e32 v28, v23, v21, vcc
	v_cmp_nge_f64_e32 vcc, 0, v[32:33]
	v_cndmask_b32_e32 v23, v28, v23, vcc
	v_cndmask_b32_e32 v22, v1, v22, vcc
	v_add_f64 v[28:29], v[20:21], v[30:31]
	v_cmp_gt_f64_e32 vcc, v[28:29], v[24:25]
	v_cmp_lt_f64_e64 s[2:3], v[28:29], v[22:23]
	s_or_b64 s[8:9], vcc, s[2:3]
	s_and_saveexec_b64 s[2:3], s[8:9]
	s_cbranch_execz .LBB99_162
; %bb.157:
	v_cmp_ngt_f64_e32 vcc, 0, v[32:33]
                                        ; implicit-def: $vgpr30_vgpr31
	s_and_saveexec_b64 s[8:9], vcc
	s_xor_b64 s[8:9], exec, s[8:9]
; %bb.158:
	v_add_f64 v[28:29], v[22:23], -v[20:21]
	v_mul_f64 v[30:31], v[28:29], 0.5
; %bb.159:
	s_andn2_saveexec_b64 s[8:9], s[8:9]
; %bb.160:
	v_add_f64 v[28:29], v[24:25], -v[20:21]
	v_mul_f64 v[30:31], v[28:29], 0.5
; %bb.161:
	s_or_b64 exec, exec, s[8:9]
.LBB99_162:
	s_or_b64 exec, exec, s[2:3]
	v_pk_mov_b32 v[28:29], 0, 0
	v_pk_mov_b32 v[32:33], v[28:29], v[28:29] op_sel:[0,1]
	v_pk_mov_b32 v[34:35], v[28:29], v[28:29] op_sel:[0,1]
	s_and_saveexec_b64 s[2:3], s[0:1]
	s_cbranch_execz .LBB99_166
; %bb.163:
	v_pk_mov_b32 v[28:29], 0, 0
	s_mov_b64 s[8:9], 0
	v_pk_mov_b32 v[26:27], v[12:13], v[12:13] op_sel:[0,1]
	v_pk_mov_b32 v[36:37], v[8:9], v[8:9] op_sel:[0,1]
	v_mov_b32_e32 v1, v0
	v_pk_mov_b32 v[32:33], v[28:29], v[28:29] op_sel:[0,1]
	v_pk_mov_b32 v[34:35], v[28:29], v[28:29] op_sel:[0,1]
.LBB99_164:                             ; =>This Inner Loop Header: Depth=1
	global_load_dwordx2 v[38:39], v[36:37], off
	v_add_u32_e32 v1, -1, v1
	v_cmp_eq_u32_e32 vcc, 0, v1
	s_or_b64 s[8:9], vcc, s[8:9]
	s_waitcnt vmcnt(0)
	v_add_f64 v[38:39], v[38:39], -v[30:31]
	global_store_dwordx2 v[36:37], v[38:39], off
	global_load_dwordx2 v[40:41], v[26:27], off
	v_add_co_u32_e32 v36, vcc, 8, v36
	v_addc_co_u32_e32 v37, vcc, 0, v37, vcc
	v_add_co_u32_e32 v26, vcc, 8, v26
	v_addc_co_u32_e32 v27, vcc, 0, v27, vcc
	s_waitcnt vmcnt(0)
	v_div_scale_f64 v[42:43], s[10:11], v[38:39], v[38:39], v[40:41]
	v_rcp_f64_e32 v[44:45], v[42:43]
	v_div_scale_f64 v[46:47], vcc, v[40:41], v[38:39], v[40:41]
	v_fma_f64 v[48:49], -v[42:43], v[44:45], 1.0
	v_fmac_f64_e32 v[44:45], v[44:45], v[48:49]
	v_fma_f64 v[48:49], -v[42:43], v[44:45], 1.0
	v_fmac_f64_e32 v[44:45], v[44:45], v[48:49]
	v_mul_f64 v[48:49], v[46:47], v[44:45]
	v_fma_f64 v[42:43], -v[42:43], v[48:49], v[46:47]
	v_div_fmas_f64 v[42:43], v[42:43], v[44:45], v[48:49]
	v_div_fixup_f64 v[38:39], v[42:43], v[38:39], v[40:41]
	v_fmac_f64_e32 v[34:35], v[40:41], v[38:39]
	v_fmac_f64_e32 v[28:29], v[38:39], v[38:39]
	v_add_f64 v[32:33], v[32:33], v[34:35]
	s_andn2_b64 exec, exec, s[8:9]
	s_cbranch_execnz .LBB99_164
; %bb.165:
	s_or_b64 exec, exec, s[8:9]
	global_load_dwordx2 v[26:27], v[10:11], off
.LBB99_166:
	s_or_b64 exec, exec, s[2:3]
	s_waitcnt vmcnt(0)
	v_add_f64 v[26:27], v[26:27], -v[30:31]
	global_store_dwordx2 v[10:11], v[26:27], off
	global_load_dwordx2 v[38:39], v[14:15], off
	v_add_f64 v[20:21], v[20:21], v[30:31]
	v_add_f64 v[40:41], v[18:19], v[34:35]
	s_waitcnt vmcnt(0)
	v_div_scale_f64 v[30:31], s[2:3], v[26:27], v[26:27], v[38:39]
	v_rcp_f64_e32 v[36:37], v[30:31]
	v_div_scale_f64 v[42:43], vcc, v[38:39], v[26:27], v[38:39]
	v_fma_f64 v[44:45], -v[30:31], v[36:37], 1.0
	v_fmac_f64_e32 v[36:37], v[36:37], v[44:45]
	v_fma_f64 v[44:45], -v[30:31], v[36:37], 1.0
	v_fmac_f64_e32 v[36:37], v[36:37], v[44:45]
	v_mul_f64 v[44:45], v[42:43], v[36:37]
	v_fma_f64 v[30:31], -v[30:31], v[44:45], v[42:43]
	v_div_fmas_f64 v[30:31], v[30:31], v[36:37], v[44:45]
	v_div_fixup_f64 v[36:37], v[30:31], v[26:27], v[38:39]
	v_fma_f64 v[38:39], v[38:39], v[36:37], 0
	v_add_f64 v[34:35], v[34:35], v[38:39]
	v_fma_f64 v[42:43], v[36:37], v[36:37], v[28:29]
	v_ldexp_f64 v[34:35], -v[34:35], 3
	v_fma_f64 v[34:35], |v[20:21]|, v[42:43], v[34:35]
	v_add_f64 v[34:35], v[34:35], -v[38:39]
	v_add_f64 v[32:33], |v[32:33]|, v[38:39]
	v_add_f64 v[34:35], v[18:19], v[34:35]
	v_add_f64 v[32:33], v[32:33], v[34:35]
	;; [unrolled: 1-line block ×3, first 2 shown]
	v_mul_f64 v[32:33], v[32:33], s[18:19]
	v_cmp_nle_f64_e64 s[2:3], |v[30:31]|, v[32:33]
	s_and_saveexec_b64 s[8:9], s[2:3]
	s_cbranch_execz .LBB99_186
; %bb.167:
	s_mov_b32 s12, 0
	v_mul_f64 v[32:33], v[36:37], v[36:37]
	s_mov_b32 s16, 1
	s_mov_b64 s[10:11], 0
	s_brev_b32 s13, 8
	v_mov_b32_e32 v1, 0xffffff80
	v_mov_b32_e32 v42, 0x260
	s_branch .LBB99_169
.LBB99_168:                             ;   in Loop: Header=BB99_169 Depth=1
	s_or_b64 exec, exec, s[2:3]
	s_waitcnt vmcnt(0)
	v_add_f64 v[26:27], v[26:27], -v[32:33]
	global_store_dwordx2 v[10:11], v[26:27], off
	global_load_dwordx2 v[36:37], v[14:15], off
	v_add_f64 v[20:21], v[20:21], v[32:33]
	v_add_f64 v[38:39], v[18:19], v[34:35]
	s_add_i32 s14, s16, 1
	s_cmp_gt_u32 s16, 48
	s_mov_b32 s16, s14
	s_waitcnt vmcnt(0)
	v_div_scale_f64 v[32:33], s[2:3], v[26:27], v[26:27], v[36:37]
	v_rcp_f64_e32 v[40:41], v[32:33]
	v_div_scale_f64 v[44:45], vcc, v[36:37], v[26:27], v[36:37]
	s_cselect_b64 s[2:3], -1, 0
	v_fma_f64 v[46:47], -v[32:33], v[40:41], 1.0
	v_fmac_f64_e32 v[40:41], v[40:41], v[46:47]
	v_fma_f64 v[46:47], -v[32:33], v[40:41], 1.0
	v_fmac_f64_e32 v[40:41], v[40:41], v[46:47]
	v_mul_f64 v[46:47], v[44:45], v[40:41]
	v_fma_f64 v[32:33], -v[32:33], v[46:47], v[44:45]
	v_div_fmas_f64 v[32:33], v[32:33], v[40:41], v[46:47]
	v_div_fixup_f64 v[40:41], v[32:33], v[26:27], v[36:37]
	v_fma_f64 v[36:37], v[36:37], v[40:41], 0
	v_add_f64 v[34:35], v[34:35], v[36:37]
	v_mul_f64 v[32:33], v[40:41], v[40:41]
	v_fma_f64 v[40:41], v[40:41], v[40:41], v[28:29]
	v_ldexp_f64 v[34:35], -v[34:35], 3
	v_fma_f64 v[34:35], |v[20:21]|, v[40:41], v[34:35]
	v_add_f64 v[34:35], v[34:35], -v[36:37]
	v_add_f64 v[44:45], |v[30:31]|, v[36:37]
	v_add_f64 v[34:35], v[18:19], v[34:35]
	v_add_f64 v[30:31], v[38:39], v[36:37]
	;; [unrolled: 1-line block ×3, first 2 shown]
	v_and_b32_e32 v39, 0x7fffffff, v31
	v_mov_b32_e32 v38, v30
	v_mul_f64 v[34:35], v[34:35], s[18:19]
	v_cmp_le_f64_e32 vcc, v[38:39], v[34:35]
	s_or_b64 s[2:3], s[2:3], vcc
	s_and_b64 s[2:3], exec, s[2:3]
	s_or_b64 s[10:11], s[2:3], s[10:11]
	s_andn2_b64 exec, exec, s[10:11]
	s_cbranch_execz .LBB99_185
.LBB99_169:                             ; =>This Loop Header: Depth=1
                                        ;     Child Loop BB99_183 Depth 2
	global_load_dwordx2 v[36:37], v[2:3], off offset:-16
	v_add_f64 v[34:35], v[32:33], v[28:29]
	s_waitcnt vmcnt(0)
	v_fma_f64 v[28:29], -v[28:29], v[36:37], v[30:31]
	v_add_f64 v[40:41], v[26:27], v[36:37]
	v_mul_f64 v[36:37], v[26:27], v[36:37]
	v_fma_f64 v[38:39], -v[26:27], v[32:33], v[28:29]
	v_mul_f64 v[28:29], v[34:35], v[36:37]
	v_mul_f64 v[36:37], v[30:31], v[36:37]
	v_mul_f64 v[32:33], v[36:37], -4.0
	v_fma_f64 v[28:29], v[30:31], v[40:41], -v[28:29]
	v_mul_f64 v[32:33], v[32:33], v[38:39]
	v_fmac_f64_e32 v[32:33], v[28:29], v[28:29]
	v_cmp_lt_f64_e64 vcc, |v[32:33]|, s[12:13]
	v_cndmask_b32_e64 v40, 0, 1, vcc
	v_lshlrev_b32_e32 v40, 8, v40
	v_ldexp_f64 v[32:33], |v[32:33]|, v40
	v_rsq_f64_e32 v[40:41], v[32:33]
	v_cndmask_b32_e32 v43, 0, v1, vcc
	v_cmp_class_f64_e32 vcc, v[32:33], v42
	v_mul_f64 v[44:45], v[32:33], v[40:41]
	v_mul_f64 v[40:41], v[40:41], 0.5
	v_fma_f64 v[46:47], -v[40:41], v[44:45], 0.5
	v_fmac_f64_e32 v[44:45], v[44:45], v[46:47]
	v_fmac_f64_e32 v[40:41], v[40:41], v[46:47]
	v_fma_f64 v[46:47], -v[44:45], v[44:45], v[32:33]
	v_fmac_f64_e32 v[44:45], v[46:47], v[40:41]
	v_fma_f64 v[46:47], -v[44:45], v[44:45], v[32:33]
	v_fmac_f64_e32 v[44:45], v[46:47], v[40:41]
	v_ldexp_f64 v[40:41], v[44:45], v43
	v_cndmask_b32_e32 v41, v41, v33, vcc
	v_cndmask_b32_e32 v40, v40, v32, vcc
	v_cmp_le_f64_e32 vcc, 0, v[28:29]
                                        ; implicit-def: $vgpr32_vgpr33
	s_and_saveexec_b64 s[2:3], vcc
	s_xor_b64 s[2:3], exec, s[2:3]
	s_cbranch_execz .LBB99_171
; %bb.170:                              ;   in Loop: Header=BB99_169 Depth=1
	v_add_f64 v[28:29], v[28:29], v[40:41]
	v_add_f64 v[32:33], v[38:39], v[38:39]
	v_div_scale_f64 v[36:37], s[14:15], v[32:33], v[32:33], v[28:29]
	v_rcp_f64_e32 v[38:39], v[36:37]
	v_fma_f64 v[40:41], -v[36:37], v[38:39], 1.0
	v_fmac_f64_e32 v[38:39], v[38:39], v[40:41]
	v_fma_f64 v[40:41], -v[36:37], v[38:39], 1.0
	v_fmac_f64_e32 v[38:39], v[38:39], v[40:41]
	v_div_scale_f64 v[40:41], vcc, v[28:29], v[32:33], v[28:29]
	v_mul_f64 v[44:45], v[40:41], v[38:39]
	v_fma_f64 v[36:37], -v[36:37], v[44:45], v[40:41]
                                        ; implicit-def: $vgpr40_vgpr41
	s_nop 1
	v_div_fmas_f64 v[36:37], v[36:37], v[38:39], v[44:45]
	v_div_fixup_f64 v[32:33], v[36:37], v[32:33], v[28:29]
                                        ; implicit-def: $vgpr36_vgpr37
                                        ; implicit-def: $vgpr28_vgpr29
.LBB99_171:                             ;   in Loop: Header=BB99_169 Depth=1
	s_andn2_saveexec_b64 s[2:3], s[2:3]
	s_cbranch_execz .LBB99_173
; %bb.172:                              ;   in Loop: Header=BB99_169 Depth=1
	v_add_f64 v[32:33], v[36:37], v[36:37]
	v_add_f64 v[28:29], v[28:29], -v[40:41]
	v_div_scale_f64 v[36:37], s[14:15], v[28:29], v[28:29], v[32:33]
	v_rcp_f64_e32 v[38:39], v[36:37]
	v_fma_f64 v[40:41], -v[36:37], v[38:39], 1.0
	v_fmac_f64_e32 v[38:39], v[38:39], v[40:41]
	v_fma_f64 v[40:41], -v[36:37], v[38:39], 1.0
	v_fmac_f64_e32 v[38:39], v[38:39], v[40:41]
	v_div_scale_f64 v[40:41], vcc, v[32:33], v[28:29], v[32:33]
	v_mul_f64 v[44:45], v[40:41], v[38:39]
	v_fma_f64 v[36:37], -v[36:37], v[44:45], v[40:41]
	s_nop 1
	v_div_fmas_f64 v[36:37], v[36:37], v[38:39], v[44:45]
	v_div_fixup_f64 v[32:33], v[36:37], v[28:29], v[32:33]
.LBB99_173:                             ;   in Loop: Header=BB99_169 Depth=1
	s_or_b64 exec, exec, s[2:3]
	v_mul_f64 v[28:29], v[30:31], v[32:33]
	v_cmp_lt_f64_e32 vcc, 0, v[28:29]
	s_and_saveexec_b64 s[2:3], vcc
; %bb.174:                              ;   in Loop: Header=BB99_169 Depth=1
	v_div_scale_f64 v[28:29], s[14:15], v[34:35], v[34:35], -v[30:31]
	v_rcp_f64_e32 v[32:33], v[28:29]
	v_div_scale_f64 v[36:37], vcc, -v[30:31], v[34:35], -v[30:31]
	v_fma_f64 v[38:39], -v[28:29], v[32:33], 1.0
	v_fmac_f64_e32 v[32:33], v[32:33], v[38:39]
	v_fma_f64 v[38:39], -v[28:29], v[32:33], 1.0
	v_fmac_f64_e32 v[32:33], v[32:33], v[38:39]
	v_mul_f64 v[38:39], v[36:37], v[32:33]
	v_fma_f64 v[28:29], -v[28:29], v[38:39], v[36:37]
	v_div_fmas_f64 v[28:29], v[28:29], v[32:33], v[38:39]
	v_div_fixup_f64 v[32:33], v[28:29], v[34:35], -v[30:31]
; %bb.175:                              ;   in Loop: Header=BB99_169 Depth=1
	s_or_b64 exec, exec, s[2:3]
	v_cmp_lt_f64_e32 vcc, v[22:23], v[20:21]
	v_cndmask_b32_e32 v28, v22, v20, vcc
	v_cndmask_b32_e32 v29, v23, v21, vcc
	v_cmp_nge_f64_e32 vcc, 0, v[30:31]
	v_cndmask_b32_e32 v23, v29, v23, vcc
	v_cndmask_b32_e32 v22, v28, v22, vcc
	v_cmp_lt_f64_e32 vcc, 0, v[30:31]
	v_cmp_lt_f64_e64 s[2:3], v[20:21], v[24:25]
	s_and_b64 vcc, vcc, s[2:3]
	v_cndmask_b32_e32 v25, v25, v21, vcc
	v_cndmask_b32_e32 v24, v24, v20, vcc
	v_add_f64 v[28:29], v[20:21], v[32:33]
	v_cmp_gt_f64_e32 vcc, v[28:29], v[24:25]
	v_cmp_lt_f64_e64 s[2:3], v[28:29], v[22:23]
	s_or_b64 s[14:15], vcc, s[2:3]
	s_and_saveexec_b64 s[2:3], s[14:15]
	s_cbranch_execz .LBB99_181
; %bb.176:                              ;   in Loop: Header=BB99_169 Depth=1
	v_cmp_ngt_f64_e32 vcc, 0, v[30:31]
                                        ; implicit-def: $vgpr32_vgpr33
	s_and_saveexec_b64 s[14:15], vcc
	s_xor_b64 s[14:15], exec, s[14:15]
; %bb.177:                              ;   in Loop: Header=BB99_169 Depth=1
	v_add_f64 v[28:29], v[22:23], -v[20:21]
	v_mul_f64 v[32:33], v[28:29], 0.5
; %bb.178:                              ;   in Loop: Header=BB99_169 Depth=1
	s_andn2_saveexec_b64 s[14:15], s[14:15]
; %bb.179:                              ;   in Loop: Header=BB99_169 Depth=1
	v_add_f64 v[28:29], v[24:25], -v[20:21]
	v_mul_f64 v[32:33], v[28:29], 0.5
; %bb.180:                              ;   in Loop: Header=BB99_169 Depth=1
	s_or_b64 exec, exec, s[14:15]
.LBB99_181:                             ;   in Loop: Header=BB99_169 Depth=1
	s_or_b64 exec, exec, s[2:3]
	v_pk_mov_b32 v[28:29], 0, 0
	v_pk_mov_b32 v[30:31], v[28:29], v[28:29] op_sel:[0,1]
	v_pk_mov_b32 v[34:35], v[28:29], v[28:29] op_sel:[0,1]
	s_and_saveexec_b64 s[2:3], s[0:1]
	s_cbranch_execz .LBB99_168
; %bb.182:                              ;   in Loop: Header=BB99_169 Depth=1
	v_pk_mov_b32 v[28:29], 0, 0
	s_mov_b64 s[14:15], 0
	v_pk_mov_b32 v[26:27], v[12:13], v[12:13] op_sel:[0,1]
	v_pk_mov_b32 v[36:37], v[8:9], v[8:9] op_sel:[0,1]
	v_mov_b32_e32 v38, v0
	v_pk_mov_b32 v[30:31], v[28:29], v[28:29] op_sel:[0,1]
	v_pk_mov_b32 v[34:35], v[28:29], v[28:29] op_sel:[0,1]
.LBB99_183:                             ;   Parent Loop BB99_169 Depth=1
                                        ; =>  This Inner Loop Header: Depth=2
	global_load_dwordx2 v[40:41], v[36:37], off
	v_add_u32_e32 v38, -1, v38
	v_cmp_eq_u32_e32 vcc, 0, v38
	s_or_b64 s[14:15], vcc, s[14:15]
	s_waitcnt vmcnt(0)
	v_add_f64 v[40:41], v[40:41], -v[32:33]
	global_store_dwordx2 v[36:37], v[40:41], off
	global_load_dwordx2 v[44:45], v[26:27], off
	v_add_co_u32_e32 v36, vcc, 8, v36
	v_addc_co_u32_e32 v37, vcc, 0, v37, vcc
	v_add_co_u32_e32 v26, vcc, 8, v26
	v_addc_co_u32_e32 v27, vcc, 0, v27, vcc
	s_waitcnt vmcnt(0)
	v_div_scale_f64 v[46:47], s[20:21], v[40:41], v[40:41], v[44:45]
	v_rcp_f64_e32 v[48:49], v[46:47]
	v_div_scale_f64 v[50:51], vcc, v[44:45], v[40:41], v[44:45]
	v_fma_f64 v[52:53], -v[46:47], v[48:49], 1.0
	v_fmac_f64_e32 v[48:49], v[48:49], v[52:53]
	v_fma_f64 v[52:53], -v[46:47], v[48:49], 1.0
	v_fmac_f64_e32 v[48:49], v[48:49], v[52:53]
	v_mul_f64 v[52:53], v[50:51], v[48:49]
	v_fma_f64 v[46:47], -v[46:47], v[52:53], v[50:51]
	v_div_fmas_f64 v[46:47], v[46:47], v[48:49], v[52:53]
	v_div_fixup_f64 v[40:41], v[46:47], v[40:41], v[44:45]
	v_fmac_f64_e32 v[34:35], v[44:45], v[40:41]
	v_fmac_f64_e32 v[28:29], v[40:41], v[40:41]
	v_add_f64 v[30:31], v[30:31], v[34:35]
	s_andn2_b64 exec, exec, s[14:15]
	s_cbranch_execnz .LBB99_183
; %bb.184:                              ;   in Loop: Header=BB99_169 Depth=1
	s_or_b64 exec, exec, s[14:15]
	global_load_dwordx2 v[26:27], v[10:11], off
	s_branch .LBB99_168
.LBB99_185:
	s_or_b64 exec, exec, s[10:11]
.LBB99_186:
	s_or_b64 exec, exec, s[8:9]
.LBB99_187:
	s_or_b64 exec, exec, s[6:7]
	v_add_f64 v[2:3], v[16:17], v[20:21]
.LBB99_188:
	s_or_b64 exec, exec, s[4:5]
	v_mov_b32_e32 v1, s40
	v_add_co_u32_e32 v0, vcc, s33, v4
	v_addc_co_u32_e32 v1, vcc, v1, v5, vcc
	s_waitcnt vmcnt(1)
	v_cmp_gt_f64_e32 vcc, 0, v[6:7]
	global_store_dwordx2 v[0:1], v[2:3], off
	s_and_b64 exec, exec, vcc
	s_cbranch_execz .LBB99_190
; %bb.189:
	v_xor_b32_e32 v3, 0x80000000, v3
	global_store_dwordx2 v[0:1], v[2:3], off
.LBB99_190:
	s_endpgm
	.section	.rodata,"a",@progbits
	.p2align	6, 0x0
	.amdhsa_kernel _ZN9rocsolver6v33100L30stedc_mergeValues_Solve_kernelIdEEviiPT_lS3_lS3_S3_PiS2_S2_S2_
		.amdhsa_group_segment_fixed_size 0
		.amdhsa_private_segment_fixed_size 0
		.amdhsa_kernarg_size 344
		.amdhsa_user_sgpr_count 6
		.amdhsa_user_sgpr_private_segment_buffer 1
		.amdhsa_user_sgpr_dispatch_ptr 0
		.amdhsa_user_sgpr_queue_ptr 0
		.amdhsa_user_sgpr_kernarg_segment_ptr 1
		.amdhsa_user_sgpr_dispatch_id 0
		.amdhsa_user_sgpr_flat_scratch_init 0
		.amdhsa_user_sgpr_kernarg_preload_length 0
		.amdhsa_user_sgpr_kernarg_preload_offset 0
		.amdhsa_user_sgpr_private_segment_size 0
		.amdhsa_uses_dynamic_stack 0
		.amdhsa_system_sgpr_private_segment_wavefront_offset 0
		.amdhsa_system_sgpr_workgroup_id_x 1
		.amdhsa_system_sgpr_workgroup_id_y 1
		.amdhsa_system_sgpr_workgroup_id_z 0
		.amdhsa_system_sgpr_workgroup_info 0
		.amdhsa_system_vgpr_workitem_id 0
		.amdhsa_next_free_vgpr 72
		.amdhsa_next_free_sgpr 42
		.amdhsa_accum_offset 72
		.amdhsa_reserve_vcc 1
		.amdhsa_reserve_flat_scratch 0
		.amdhsa_float_round_mode_32 0
		.amdhsa_float_round_mode_16_64 0
		.amdhsa_float_denorm_mode_32 3
		.amdhsa_float_denorm_mode_16_64 3
		.amdhsa_dx10_clamp 1
		.amdhsa_ieee_mode 1
		.amdhsa_fp16_overflow 0
		.amdhsa_tg_split 0
		.amdhsa_exception_fp_ieee_invalid_op 0
		.amdhsa_exception_fp_denorm_src 0
		.amdhsa_exception_fp_ieee_div_zero 0
		.amdhsa_exception_fp_ieee_overflow 0
		.amdhsa_exception_fp_ieee_underflow 0
		.amdhsa_exception_fp_ieee_inexact 0
		.amdhsa_exception_int_div_zero 0
	.end_amdhsa_kernel
	.section	.text._ZN9rocsolver6v33100L30stedc_mergeValues_Solve_kernelIdEEviiPT_lS3_lS3_S3_PiS2_S2_S2_,"axG",@progbits,_ZN9rocsolver6v33100L30stedc_mergeValues_Solve_kernelIdEEviiPT_lS3_lS3_S3_PiS2_S2_S2_,comdat
.Lfunc_end99:
	.size	_ZN9rocsolver6v33100L30stedc_mergeValues_Solve_kernelIdEEviiPT_lS3_lS3_S3_PiS2_S2_S2_, .Lfunc_end99-_ZN9rocsolver6v33100L30stedc_mergeValues_Solve_kernelIdEEviiPT_lS3_lS3_S3_PiS2_S2_S2_
                                        ; -- End function
	.section	.AMDGPU.csdata,"",@progbits
; Kernel info:
; codeLenInByte = 12600
; NumSgprs: 46
; NumVgprs: 72
; NumAgprs: 0
; TotalNumVgprs: 72
; ScratchSize: 0
; MemoryBound: 1
; FloatMode: 240
; IeeeMode: 1
; LDSByteSize: 0 bytes/workgroup (compile time only)
; SGPRBlocks: 5
; VGPRBlocks: 8
; NumSGPRsForWavesPerEU: 46
; NumVGPRsForWavesPerEU: 72
; AccumOffset: 72
; Occupancy: 7
; WaveLimiterHint : 1
; COMPUTE_PGM_RSRC2:SCRATCH_EN: 0
; COMPUTE_PGM_RSRC2:USER_SGPR: 6
; COMPUTE_PGM_RSRC2:TRAP_HANDLER: 0
; COMPUTE_PGM_RSRC2:TGID_X_EN: 1
; COMPUTE_PGM_RSRC2:TGID_Y_EN: 1
; COMPUTE_PGM_RSRC2:TGID_Z_EN: 0
; COMPUTE_PGM_RSRC2:TIDIG_COMP_CNT: 0
; COMPUTE_PGM_RSRC3_GFX90A:ACCUM_OFFSET: 17
; COMPUTE_PGM_RSRC3_GFX90A:TG_SPLIT: 0
	.section	.text._ZN9rocsolver6v33100L32stedc_mergeValues_Rescale_kernelIdEEviiPT_lS3_lS3_S3_PiS2_S2_S2_,"axG",@progbits,_ZN9rocsolver6v33100L32stedc_mergeValues_Rescale_kernelIdEEviiPT_lS3_lS3_S3_PiS2_S2_S2_,comdat
	.globl	_ZN9rocsolver6v33100L32stedc_mergeValues_Rescale_kernelIdEEviiPT_lS3_lS3_S3_PiS2_S2_S2_ ; -- Begin function _ZN9rocsolver6v33100L32stedc_mergeValues_Rescale_kernelIdEEviiPT_lS3_lS3_S3_PiS2_S2_S2_
	.p2align	8
	.type	_ZN9rocsolver6v33100L32stedc_mergeValues_Rescale_kernelIdEEviiPT_lS3_lS3_S3_PiS2_S2_S2_,@function
_ZN9rocsolver6v33100L32stedc_mergeValues_Rescale_kernelIdEEviiPT_lS3_lS3_S3_PiS2_S2_S2_: ; @_ZN9rocsolver6v33100L32stedc_mergeValues_Rescale_kernelIdEEviiPT_lS3_lS3_S3_PiS2_S2_S2_
; %bb.0:
	s_load_dword s2, s[4:5], 0x4
	s_load_dwordx2 s[8:9], s[4:5], 0x38
	s_mov_b32 s0, s7
	s_waitcnt lgkmcnt(0)
	s_mul_i32 s16, s7, s2
	s_mul_i32 s10, s16, 13
	s_ashr_i32 s11, s10, 31
	s_ashr_i32 s3, s2, 31
	s_lshl_b64 s[10:11], s[10:11], 2
	s_add_u32 s1, s8, s10
	s_mul_i32 s8, s2, 6
	s_addc_u32 s7, s9, s11
	s_ashr_i32 s9, s8, 31
	s_lshl_b64 s[8:9], s[8:9], 2
	s_add_u32 s1, s1, s8
	s_addc_u32 s12, s7, s9
	s_ashr_i32 s7, s6, 31
	s_lshl_b64 s[8:9], s[2:3], 2
	s_lshl_b64 s[10:11], s[6:7], 2
	s_add_u32 s10, s1, s10
	s_addc_u32 s11, s12, s11
	s_add_u32 s8, s10, s8
	s_addc_u32 s9, s11, s9
	s_load_dword s3, s[10:11], 0x0
	s_load_dword s17, s[8:9], 0x0
	s_waitcnt lgkmcnt(0)
	s_sub_i32 s1, s6, s3
	s_cmp_ge_i32 s1, s17
	s_cbranch_scc1 .LBB100_17
; %bb.1:
	s_load_dwordx4 s[8:11], s[4:5], 0x28
	v_cmp_le_i32_e32 vcc, s17, v0
                                        ; implicit-def: $sgpr14_sgpr15
                                        ; implicit-def: $sgpr1
	s_and_saveexec_b64 s[12:13], vcc
	s_xor_b64 s[12:13], exec, s[12:13]
	s_cbranch_execz .LBB100_3
; %bb.2:
	s_load_dword s1, s[4:5], 0x64
	s_mov_b64 s[14:15], 1.0
.LBB100_3:
	s_or_saveexec_b64 s[12:13], s[12:13]
	v_pk_mov_b32 v[2:3], s[14:15], s[14:15] op_sel:[0,1]
	s_waitcnt lgkmcnt(0)
	v_mov_b32_e32 v4, s1
	s_xor_b64 exec, exec, s[12:13]
	s_cbranch_execz .LBB100_9
; %bb.4:
	s_load_dwordx4 s[20:23], s[4:5], 0x8
	s_load_dword s14, s[4:5], 0x64
	s_ashr_i32 s1, s0, 31
	v_add_u32_e32 v1, s3, v0
	v_mul_lo_u32 v1, s2, v1
	s_waitcnt lgkmcnt(0)
	s_mul_i32 s4, s0, s23
	s_mul_hi_u32 s5, s0, s22
	s_mul_i32 s1, s1, s22
	s_add_i32 s4, s5, s4
	s_add_i32 s1, s4, s1
	s_mul_i32 s0, s0, s22
	s_lshl_b64 s[0:1], s[0:1], 3
	s_add_u32 s15, s20, s0
	s_mul_i32 s0, s16, s2
	s_addc_u32 s18, s21, s1
	s_lshl_b32 s0, s0, 1
	s_ashr_i32 s1, s0, 31
	s_lshl_b64 s[0:1], s[0:1], 3
	s_add_u32 s4, s10, s0
	s_addc_u32 s5, s11, s1
	s_mul_i32 s0, s2, s2
	s_mov_b32 s1, 0
	s_lshl_b64 s[0:1], s[0:1], 3
	s_add_u32 s19, s4, s0
	s_addc_u32 s10, s5, s1
	s_lshl_b64 s[0:1], s[6:7], 3
	s_add_u32 s0, s15, s0
	s_addc_u32 s1, s18, s1
	s_and_b32 s20, s14, 0xffff
	v_add_u32_e32 v1, s6, v1
	v_mov_b32_e32 v2, 0
	s_sub_i32 s21, s3, s6
	v_subrev_u32_e32 v4, s3, v1
	s_mul_i32 s22, s2, s20
	s_mov_b64 s[4:5], 0
	v_mov_b32_e32 v3, 0x3ff00000
	v_mov_b32_e32 v1, s10
	;; [unrolled: 1-line block ×3, first 2 shown]
	s_branch .LBB100_6
.LBB100_5:                              ;   in Loop: Header=BB100_6 Depth=1
	s_or_b64 exec, exec, s[10:11]
	v_add_u32_e32 v8, s20, v8
	v_cmp_le_i32_e32 vcc, s17, v8
	s_waitcnt vmcnt(0)
	v_mul_f64 v[2:3], v[2:3], v[6:7]
	s_or_b64 s[4:5], vcc, s[4:5]
	v_add_u32_e32 v4, s22, v4
	s_andn2_b64 exec, exec, s[4:5]
	s_cbranch_execz .LBB100_8
.LBB100_6:                              ; =>This Inner Loop Header: Depth=1
	v_ashrrev_i32_e32 v5, 31, v4
	v_lshlrev_b64 v[6:7], 3, v[4:5]
	v_add_co_u32_e32 v6, vcc, s19, v6
	v_addc_co_u32_e32 v7, vcc, v1, v7, vcc
	global_load_dwordx2 v[6:7], v[6:7], off
	v_add_u32_e32 v5, s21, v8
	v_cmp_ne_u32_e32 vcc, 0, v5
	s_and_saveexec_b64 s[10:11], vcc
	s_cbranch_execz .LBB100_5
; %bb.7:                                ;   in Loop: Header=BB100_6 Depth=1
	v_add_u32_e32 v10, s3, v8
	v_ashrrev_i32_e32 v11, 31, v10
	v_lshlrev_b64 v[10:11], 3, v[10:11]
	v_mov_b32_e32 v5, s18
	v_add_co_u32_e32 v10, vcc, s15, v10
	v_addc_co_u32_e32 v11, vcc, v5, v11, vcc
	global_load_dwordx2 v[10:11], v[10:11], off
	s_load_dwordx2 s[24:25], s[0:1], 0x0
	s_waitcnt vmcnt(0) lgkmcnt(0)
	v_add_f64 v[10:11], s[24:25], -v[10:11]
	v_div_scale_f64 v[12:13], s[24:25], v[10:11], v[10:11], v[6:7]
	v_rcp_f64_e32 v[14:15], v[12:13]
	v_div_scale_f64 v[16:17], vcc, v[6:7], v[10:11], v[6:7]
	v_fma_f64 v[18:19], -v[12:13], v[14:15], 1.0
	v_fmac_f64_e32 v[14:15], v[14:15], v[18:19]
	v_fma_f64 v[18:19], -v[12:13], v[14:15], 1.0
	v_fmac_f64_e32 v[14:15], v[14:15], v[18:19]
	v_mul_f64 v[18:19], v[16:17], v[14:15]
	v_fma_f64 v[12:13], -v[12:13], v[18:19], v[16:17]
	v_div_fmas_f64 v[12:13], v[12:13], v[14:15], v[18:19]
	v_div_fixup_f64 v[6:7], v[12:13], v[10:11], v[6:7]
	s_branch .LBB100_5
.LBB100_8:
	s_or_b64 exec, exec, s[4:5]
	v_mov_b32_e32 v4, s14
.LBB100_9:
	s_or_b64 exec, exec, s[12:13]
	v_lshlrev_b32_e32 v1, 3, v0
	v_cmp_lt_u16_e32 vcc, 1, v4
	ds_write_b64 v1, v[2:3]
	s_waitcnt lgkmcnt(0)
	s_barrier
	s_and_saveexec_b64 s[0:1], vcc
	s_cbranch_execz .LBB100_15
; %bb.10:
	v_lshrrev_b16_e32 v4, 1, v4
	s_mov_b64 s[4:5], 0
	s_branch .LBB100_12
.LBB100_11:                             ;   in Loop: Header=BB100_12 Depth=1
	s_or_b64 exec, exec, s[10:11]
	v_lshrrev_b32_e32 v5, 1, v4
	v_cmp_gt_u32_e32 vcc, 2, v4
	s_or_b64 s[4:5], vcc, s[4:5]
	v_mov_b32_e32 v4, v5
	s_waitcnt lgkmcnt(0)
	s_barrier
	s_andn2_b64 exec, exec, s[4:5]
	s_cbranch_execz .LBB100_14
.LBB100_12:                             ; =>This Inner Loop Header: Depth=1
	v_cmp_lt_u32_e32 vcc, v0, v4
	s_and_saveexec_b64 s[10:11], vcc
	s_cbranch_execz .LBB100_11
; %bb.13:                               ;   in Loop: Header=BB100_12 Depth=1
	v_lshl_add_u32 v5, v4, 3, v1
	ds_read_b64 v[6:7], v5
	s_waitcnt lgkmcnt(0)
	v_mul_f64 v[2:3], v[2:3], v[6:7]
	ds_write_b64 v1, v[2:3]
	s_branch .LBB100_11
.LBB100_14:
	s_or_b64 exec, exec, s[4:5]
.LBB100_15:
	s_or_b64 exec, exec, s[0:1]
	v_cmp_eq_u32_e32 vcc, 0, v0
	s_and_saveexec_b64 s[0:1], vcc
	s_cbranch_execz .LBB100_17
; %bb.16:
	s_mul_i32 s0, s16, 10
	s_ashr_i32 s1, s0, 31
	s_lshl_b64 s[0:1], s[0:1], 3
	s_add_u32 s4, s8, s0
	s_addc_u32 s5, s9, s1
	s_lshl_b32 s0, s2, 3
	s_mov_b32 s2, 0
	s_brev_b32 s3, 8
	v_cmp_lt_f64_e64 vcc, |v[2:3]|, s[2:3]
	v_cndmask_b32_e64 v0, 0, 1, vcc
	v_lshlrev_b32_e32 v0, 8, v0
	v_ldexp_f64 v[0:1], |v[2:3]|, v0
	v_rsq_f64_e32 v[2:3], v[0:1]
	s_ashr_i32 s1, s0, 31
	s_lshl_b64 s[0:1], s[0:1], 3
	s_add_u32 s2, s4, s0
	v_mul_f64 v[4:5], v[0:1], v[2:3]
	v_mul_f64 v[2:3], v[2:3], 0.5
	v_fma_f64 v[6:7], -v[2:3], v[4:5], 0.5
	v_fmac_f64_e32 v[4:5], v[4:5], v[6:7]
	s_addc_u32 s3, s5, s1
	v_fma_f64 v[8:9], -v[4:5], v[4:5], v[0:1]
	v_fmac_f64_e32 v[2:3], v[2:3], v[6:7]
	s_lshl_b64 s[0:1], s[6:7], 3
	v_fmac_f64_e32 v[4:5], v[8:9], v[2:3]
	s_add_u32 s0, s2, s0
	v_fma_f64 v[6:7], -v[4:5], v[4:5], v[0:1]
	s_addc_u32 s1, s3, s1
	v_fmac_f64_e32 v[4:5], v[6:7], v[2:3]
	v_mov_b32_e32 v2, 0xffffff80
	s_load_dwordx2 s[2:3], s[0:1], 0x0
	v_cndmask_b32_e32 v2, 0, v2, vcc
	v_ldexp_f64 v[2:3], v[4:5], v2
	v_mov_b32_e32 v4, 0x260
	v_cmp_class_f64_e32 vcc, v[0:1], v4
	v_cndmask_b32_e32 v1, v3, v1, vcc
	v_cndmask_b32_e32 v0, v2, v0, vcc
	v_xor_b32_e32 v2, 0x80000000, v1
	s_waitcnt lgkmcnt(0)
	v_cmp_lt_f64_e64 vcc, s[2:3], 0
	v_mov_b32_e32 v3, 0
	v_cndmask_b32_e32 v1, v1, v2, vcc
	global_store_dwordx2 v3, v[0:1], s[0:1]
.LBB100_17:
	s_endpgm
	.section	.rodata,"a",@progbits
	.p2align	6, 0x0
	.amdhsa_kernel _ZN9rocsolver6v33100L32stedc_mergeValues_Rescale_kernelIdEEviiPT_lS3_lS3_S3_PiS2_S2_S2_
		.amdhsa_group_segment_fixed_size 4096
		.amdhsa_private_segment_fixed_size 0
		.amdhsa_kernarg_size 344
		.amdhsa_user_sgpr_count 6
		.amdhsa_user_sgpr_private_segment_buffer 1
		.amdhsa_user_sgpr_dispatch_ptr 0
		.amdhsa_user_sgpr_queue_ptr 0
		.amdhsa_user_sgpr_kernarg_segment_ptr 1
		.amdhsa_user_sgpr_dispatch_id 0
		.amdhsa_user_sgpr_flat_scratch_init 0
		.amdhsa_user_sgpr_kernarg_preload_length 0
		.amdhsa_user_sgpr_kernarg_preload_offset 0
		.amdhsa_user_sgpr_private_segment_size 0
		.amdhsa_uses_dynamic_stack 0
		.amdhsa_system_sgpr_private_segment_wavefront_offset 0
		.amdhsa_system_sgpr_workgroup_id_x 1
		.amdhsa_system_sgpr_workgroup_id_y 1
		.amdhsa_system_sgpr_workgroup_id_z 0
		.amdhsa_system_sgpr_workgroup_info 0
		.amdhsa_system_vgpr_workitem_id 0
		.amdhsa_next_free_vgpr 20
		.amdhsa_next_free_sgpr 26
		.amdhsa_accum_offset 20
		.amdhsa_reserve_vcc 1
		.amdhsa_reserve_flat_scratch 0
		.amdhsa_float_round_mode_32 0
		.amdhsa_float_round_mode_16_64 0
		.amdhsa_float_denorm_mode_32 3
		.amdhsa_float_denorm_mode_16_64 3
		.amdhsa_dx10_clamp 1
		.amdhsa_ieee_mode 1
		.amdhsa_fp16_overflow 0
		.amdhsa_tg_split 0
		.amdhsa_exception_fp_ieee_invalid_op 0
		.amdhsa_exception_fp_denorm_src 0
		.amdhsa_exception_fp_ieee_div_zero 0
		.amdhsa_exception_fp_ieee_overflow 0
		.amdhsa_exception_fp_ieee_underflow 0
		.amdhsa_exception_fp_ieee_inexact 0
		.amdhsa_exception_int_div_zero 0
	.end_amdhsa_kernel
	.section	.text._ZN9rocsolver6v33100L32stedc_mergeValues_Rescale_kernelIdEEviiPT_lS3_lS3_S3_PiS2_S2_S2_,"axG",@progbits,_ZN9rocsolver6v33100L32stedc_mergeValues_Rescale_kernelIdEEviiPT_lS3_lS3_S3_PiS2_S2_S2_,comdat
.Lfunc_end100:
	.size	_ZN9rocsolver6v33100L32stedc_mergeValues_Rescale_kernelIdEEviiPT_lS3_lS3_S3_PiS2_S2_S2_, .Lfunc_end100-_ZN9rocsolver6v33100L32stedc_mergeValues_Rescale_kernelIdEEviiPT_lS3_lS3_S3_PiS2_S2_S2_
                                        ; -- End function
	.section	.AMDGPU.csdata,"",@progbits
; Kernel info:
; codeLenInByte = 996
; NumSgprs: 30
; NumVgprs: 20
; NumAgprs: 0
; TotalNumVgprs: 20
; ScratchSize: 0
; MemoryBound: 0
; FloatMode: 240
; IeeeMode: 1
; LDSByteSize: 4096 bytes/workgroup (compile time only)
; SGPRBlocks: 3
; VGPRBlocks: 2
; NumSGPRsForWavesPerEU: 30
; NumVGPRsForWavesPerEU: 20
; AccumOffset: 20
; Occupancy: 8
; WaveLimiterHint : 1
; COMPUTE_PGM_RSRC2:SCRATCH_EN: 0
; COMPUTE_PGM_RSRC2:USER_SGPR: 6
; COMPUTE_PGM_RSRC2:TRAP_HANDLER: 0
; COMPUTE_PGM_RSRC2:TGID_X_EN: 1
; COMPUTE_PGM_RSRC2:TGID_Y_EN: 1
; COMPUTE_PGM_RSRC2:TGID_Z_EN: 0
; COMPUTE_PGM_RSRC2:TIDIG_COMP_CNT: 0
; COMPUTE_PGM_RSRC3_GFX90A:ACCUM_OFFSET: 4
; COMPUTE_PGM_RSRC3_GFX90A:TG_SPLIT: 0
	.section	.text._ZN9rocsolver6v33100L25stedc_mergeVectors_kernelILb1EdEEviiPT0_iilS3_S3_Pi,"axG",@progbits,_ZN9rocsolver6v33100L25stedc_mergeVectors_kernelILb1EdEEviiPT0_iilS3_S3_Pi,comdat
	.globl	_ZN9rocsolver6v33100L25stedc_mergeVectors_kernelILb1EdEEviiPT0_iilS3_S3_Pi ; -- Begin function _ZN9rocsolver6v33100L25stedc_mergeVectors_kernelILb1EdEEviiPT0_iilS3_S3_Pi
	.p2align	8
	.type	_ZN9rocsolver6v33100L25stedc_mergeVectors_kernelILb1EdEEviiPT0_iilS3_S3_Pi,@function
_ZN9rocsolver6v33100L25stedc_mergeVectors_kernelILb1EdEEviiPT0_iilS3_S3_Pi: ; @_ZN9rocsolver6v33100L25stedc_mergeVectors_kernelILb1EdEEviiPT0_iilS3_S3_Pi
; %bb.0:
	s_load_dword s8, s[4:5], 0x4
	s_load_dword s12, s[4:5], 0x44
	s_load_dwordx2 s[10:11], s[4:5], 0x30
	s_load_dwordx4 s[0:3], s[4:5], 0x20
	s_waitcnt lgkmcnt(0)
	s_mul_i32 s16, s7, s8
	s_mul_i32 s4, s16, 13
	s_ashr_i32 s5, s4, 31
	s_ashr_i32 s9, s8, 31
	s_and_b32 s20, s12, 0xffff
	s_lshl_b64 s[4:5], s[4:5], 2
	s_add_u32 s7, s10, s4
	s_mul_i32 s4, s8, 5
	s_addc_u32 s10, s11, s5
	s_ashr_i32 s5, s4, 31
	s_lshl_b64 s[4:5], s[4:5], 2
	s_add_u32 s17, s7, s4
	s_mul_i32 s4, s16, s8
	s_addc_u32 s18, s10, s5
	s_lshl_b32 s4, s4, 1
	s_ashr_i32 s7, s6, 31
	s_lshl_b64 s[12:13], s[8:9], 2
	s_ashr_i32 s5, s4, 31
	s_lshl_b64 s[14:15], s[6:7], 2
	s_add_u32 s14, s17, s14
	s_addc_u32 s15, s18, s15
	s_add_u32 s18, s14, s12
	s_addc_u32 s19, s15, s13
	s_add_u32 s12, s18, s12
	s_addc_u32 s13, s19, s13
	s_load_dword s9, s[12:13], 0x0
	s_load_dword s21, s[18:19], 0x0
	s_load_dword s7, s[14:15], 0x0
	s_mul_i32 s10, s8, s8
	s_mov_b32 s11, 0
	s_waitcnt lgkmcnt(0)
	s_sub_i32 s12, s6, s21
	s_cmp_ge_i32 s12, s9
	s_cselect_b64 s[12:13], -1, 0
	s_and_b64 vcc, exec, s[12:13]
	s_barrier
	s_cbranch_vccnz .LBB101_10
; %bb.1:
	v_cmp_gt_i32_e32 vcc, s9, v0
	v_pk_mov_b32 v[2:3], 0, 0
	s_and_saveexec_b64 s[14:15], vcc
	s_cbranch_execz .LBB101_5
; %bb.2:
	s_mul_i32 s24, s6, s8
	v_add_u32_e32 v2, s24, v0
	v_ashrrev_i32_e32 v3, 31, v2
	s_mul_i32 s16, s16, 10
	s_lshl_b32 s18, s8, 3
	s_lshl_b64 s[22:23], s[4:5], 3
	v_lshlrev_b64 v[2:3], 3, v[2:3]
	s_ashr_i32 s17, s16, 31
	s_ashr_i32 s19, s18, 31
	v_mov_b32_e32 v1, s23
	v_add_co_u32_e32 v2, vcc, s22, v2
	s_lshl_b64 s[22:23], s[10:11], 3
	s_add_u32 s22, s2, s22
	v_addc_co_u32_e32 v3, vcc, v1, v3, vcc
	s_addc_u32 s23, s3, s23
	v_mov_b32_e32 v4, s23
	v_add_co_u32_e32 v1, vcc, s22, v2
	s_lshl_b32 s22, s20, 3
	s_lshl_b64 s[16:17], s[16:17], 3
	s_lshl_b64 s[18:19], s[18:19], 3
	v_addc_co_u32_e32 v4, vcc, v4, v3, vcc
	s_add_u32 s16, s16, s18
	v_mov_b32_e32 v6, s3
	v_add_co_u32_e32 v5, vcc, s2, v2
	s_addc_u32 s17, s17, s19
	v_add_u32_e32 v2, s21, v0
	v_addc_co_u32_e32 v6, vcc, v6, v3, vcc
	v_ashrrev_i32_e32 v3, 31, v2
	s_add_u32 s0, s0, s16
	v_lshlrev_b64 v[2:3], 3, v[2:3]
	s_addc_u32 s1, s1, s17
	v_mov_b32_e32 v8, s1
	v_add_co_u32_e32 v7, vcc, s0, v2
	v_addc_co_u32_e32 v8, vcc, v8, v3, vcc
	s_mov_b64 s[16:17], 0
	v_pk_mov_b32 v[2:3], 0, 0
	s_mov_b64 s[18:19], 0
	v_mov_b32_e32 v9, v0
.LBB101_3:                              ; =>This Inner Loop Header: Depth=1
	v_mov_b32_e32 v18, s19
	v_add_co_u32_e64 v12, s[0:1], s18, v7
	v_add_co_u32_e32 v10, vcc, s18, v1
	v_addc_co_u32_e64 v13, s[0:1], v8, v18, s[0:1]
	v_addc_co_u32_e32 v11, vcc, v4, v18, vcc
	global_load_dwordx2 v[14:15], v[12:13], off
	global_load_dwordx2 v[16:17], v[10:11], off
	v_add_co_u32_e32 v10, vcc, s18, v5
	v_addc_co_u32_e32 v11, vcc, v6, v18, vcc
	v_add_u32_e32 v9, s20, v9
	s_add_u32 s18, s18, s22
	s_addc_u32 s19, s19, 0
	v_cmp_le_i32_e32 vcc, s9, v9
	s_or_b64 s[16:17], vcc, s[16:17]
	s_waitcnt vmcnt(0)
	v_div_scale_f64 v[12:13], s[0:1], v[16:17], v[16:17], v[14:15]
	v_rcp_f64_e32 v[18:19], v[12:13]
	v_div_scale_f64 v[20:21], vcc, v[14:15], v[16:17], v[14:15]
	v_fma_f64 v[22:23], -v[12:13], v[18:19], 1.0
	v_fmac_f64_e32 v[18:19], v[18:19], v[22:23]
	v_fma_f64 v[22:23], -v[12:13], v[18:19], 1.0
	v_fmac_f64_e32 v[18:19], v[18:19], v[22:23]
	v_mul_f64 v[22:23], v[20:21], v[18:19]
	v_fma_f64 v[12:13], -v[12:13], v[22:23], v[20:21]
	v_div_fmas_f64 v[12:13], v[12:13], v[18:19], v[22:23]
	v_div_fixup_f64 v[12:13], v[12:13], v[16:17], v[14:15]
	v_fmac_f64_e32 v[2:3], v[12:13], v[12:13]
	global_store_dwordx2 v[10:11], v[12:13], off
	s_andn2_b64 exec, exec, s[16:17]
	s_cbranch_execnz .LBB101_3
; %bb.4:
	s_or_b64 exec, exec, s[16:17]
.LBB101_5:
	s_or_b64 exec, exec, s[14:15]
	v_lshlrev_b32_e32 v1, 3, v0
	s_cmp_lt_u32 s20, 2
	ds_write_b64 v1, v[2:3]
	s_cbranch_scc1 .LBB101_11
; %bb.6:
	s_mov_b32 s14, s20
	s_branch .LBB101_8
.LBB101_7:                              ;   in Loop: Header=BB101_8 Depth=1
	s_or_b64 exec, exec, s[0:1]
	s_cmp_lt_u32 s14, 4
	s_mov_b32 s14, s15
	s_cbranch_scc1 .LBB101_11
.LBB101_8:                              ; =>This Inner Loop Header: Depth=1
	s_lshr_b32 s15, s14, 1
	v_cmp_gt_u32_e32 vcc, s15, v0
	s_waitcnt lgkmcnt(0)
	s_barrier
	s_and_saveexec_b64 s[0:1], vcc
	s_cbranch_execz .LBB101_7
; %bb.9:                                ;   in Loop: Header=BB101_8 Depth=1
	v_lshl_add_u32 v4, s15, 3, v1
	ds_read_b64 v[4:5], v4
	s_waitcnt lgkmcnt(0)
	v_add_f64 v[2:3], v[2:3], v[4:5]
	ds_write_b64 v1, v[2:3]
	s_branch .LBB101_7
.LBB101_10:
                                        ; implicit-def: $vgpr2_vgpr3
	s_add_i32 s14, s7, s21
	v_cmp_gt_i32_e32 vcc, s14, v0
	s_and_saveexec_b64 s[0:1], vcc
	s_cbranch_execnz .LBB101_12
	s_branch .LBB101_18
.LBB101_11:
	v_mov_b32_e32 v1, 0
	s_waitcnt lgkmcnt(0)
	s_barrier
	ds_read_b64 v[2:3], v1
	s_mov_b32 s0, 0
	s_brev_b32 s1, 8
	s_waitcnt lgkmcnt(0)
	v_cmp_gt_f64_e32 vcc, s[0:1], v[2:3]
	v_cndmask_b32_e64 v1, 0, 1, vcc
	v_lshlrev_b32_e32 v1, 8, v1
	v_ldexp_f64 v[2:3], v[2:3], v1
	v_rsq_f64_e32 v[4:5], v[2:3]
	s_and_b64 s[0:1], vcc, exec
	s_cselect_b32 s0, 0xffffff80, 0
	v_mov_b32_e32 v1, 0x260
	v_mul_f64 v[6:7], v[2:3], v[4:5]
	v_mul_f64 v[4:5], v[4:5], 0.5
	v_fma_f64 v[8:9], -v[4:5], v[6:7], 0.5
	v_fmac_f64_e32 v[6:7], v[6:7], v[8:9]
	v_fma_f64 v[10:11], -v[6:7], v[6:7], v[2:3]
	v_fmac_f64_e32 v[4:5], v[4:5], v[8:9]
	v_fmac_f64_e32 v[6:7], v[10:11], v[4:5]
	v_fma_f64 v[8:9], -v[6:7], v[6:7], v[2:3]
	v_fmac_f64_e32 v[6:7], v[8:9], v[4:5]
	v_ldexp_f64 v[4:5], v[6:7], s0
	v_cmp_class_f64_e32 vcc, v[2:3], v1
	v_cndmask_b32_e32 v3, v5, v3, vcc
	v_cndmask_b32_e32 v2, v4, v2, vcc
	s_add_i32 s14, s7, s21
	v_cmp_gt_i32_e32 vcc, s14, v0
	s_and_saveexec_b64 s[0:1], vcc
	s_cbranch_execz .LBB101_18
.LBB101_12:
	s_lshl_b64 s[0:1], s[4:5], 3
	s_add_u32 s15, s2, s0
	s_addc_u32 s16, s3, s1
	s_lshl_b64 s[0:1], s[10:11], 3
	s_add_u32 s10, s15, s0
	s_addc_u32 s4, s16, s1
	s_mul_i32 s8, s6, s8
	s_sub_i32 s11, 0, s21
	s_sub_i32 s17, s8, s21
	s_mov_b64 s[0:1], 0
	s_xor_b64 s[2:3], s[12:13], -1
	v_mov_b32_e32 v1, s4
	s_branch .LBB101_15
.LBB101_13:                             ;   in Loop: Header=BB101_15 Depth=1
	s_or_b64 exec, exec, s[6:7]
.LBB101_14:                             ;   in Loop: Header=BB101_15 Depth=1
	s_or_b64 exec, exec, s[4:5]
	v_add_u32_e32 v6, s8, v0
	v_ashrrev_i32_e32 v7, 31, v6
	v_lshlrev_b64 v[6:7], 3, v[6:7]
	v_add_co_u32_e32 v6, vcc, s10, v6
	v_addc_co_u32_e32 v7, vcc, v1, v7, vcc
	v_add_u32_e32 v0, s20, v0
	v_cmp_le_i32_e32 vcc, s14, v0
	s_or_b64 s[0:1], vcc, s[0:1]
	global_store_dwordx2 v[6:7], v[4:5], off
	s_andn2_b64 exec, exec, s[0:1]
	s_cbranch_execz .LBB101_18
.LBB101_15:                             ; =>This Inner Loop Header: Depth=1
	v_cmp_le_i32_e32 vcc, s21, v0
	s_and_b64 s[6:7], s[2:3], vcc
	v_pk_mov_b32 v[4:5], 0, 0
	s_and_saveexec_b64 s[4:5], s[6:7]
	s_cbranch_execz .LBB101_14
; %bb.16:                               ;   in Loop: Header=BB101_15 Depth=1
	v_add_u32_e32 v4, s11, v0
	v_cmp_gt_i32_e32 vcc, s9, v4
	v_pk_mov_b32 v[4:5], 0, 0
	s_and_saveexec_b64 s[6:7], vcc
	s_cbranch_execz .LBB101_13
; %bb.17:                               ;   in Loop: Header=BB101_15 Depth=1
	v_add_u32_e32 v4, s17, v0
	v_ashrrev_i32_e32 v5, 31, v4
	v_lshlrev_b64 v[4:5], 3, v[4:5]
	v_mov_b32_e32 v6, s16
	v_add_co_u32_e32 v4, vcc, s15, v4
	v_addc_co_u32_e32 v5, vcc, v6, v5, vcc
	global_load_dwordx2 v[4:5], v[4:5], off
	s_waitcnt vmcnt(0)
	v_div_scale_f64 v[6:7], s[12:13], v[2:3], v[2:3], v[4:5]
	v_rcp_f64_e32 v[8:9], v[6:7]
	v_div_scale_f64 v[10:11], vcc, v[4:5], v[2:3], v[4:5]
	v_fma_f64 v[12:13], -v[6:7], v[8:9], 1.0
	v_fmac_f64_e32 v[8:9], v[8:9], v[12:13]
	v_fma_f64 v[12:13], -v[6:7], v[8:9], 1.0
	v_fmac_f64_e32 v[8:9], v[8:9], v[12:13]
	v_mul_f64 v[12:13], v[10:11], v[8:9]
	v_fma_f64 v[6:7], -v[6:7], v[12:13], v[10:11]
	v_div_fmas_f64 v[6:7], v[6:7], v[8:9], v[12:13]
	v_div_fixup_f64 v[4:5], v[6:7], v[2:3], v[4:5]
	s_branch .LBB101_13
.LBB101_18:
	s_endpgm
	.section	.rodata,"a",@progbits
	.p2align	6, 0x0
	.amdhsa_kernel _ZN9rocsolver6v33100L25stedc_mergeVectors_kernelILb1EdEEviiPT0_iilS3_S3_Pi
		.amdhsa_group_segment_fixed_size 4096
		.amdhsa_private_segment_fixed_size 0
		.amdhsa_kernarg_size 312
		.amdhsa_user_sgpr_count 6
		.amdhsa_user_sgpr_private_segment_buffer 1
		.amdhsa_user_sgpr_dispatch_ptr 0
		.amdhsa_user_sgpr_queue_ptr 0
		.amdhsa_user_sgpr_kernarg_segment_ptr 1
		.amdhsa_user_sgpr_dispatch_id 0
		.amdhsa_user_sgpr_flat_scratch_init 0
		.amdhsa_user_sgpr_kernarg_preload_length 0
		.amdhsa_user_sgpr_kernarg_preload_offset 0
		.amdhsa_user_sgpr_private_segment_size 0
		.amdhsa_uses_dynamic_stack 0
		.amdhsa_system_sgpr_private_segment_wavefront_offset 0
		.amdhsa_system_sgpr_workgroup_id_x 1
		.amdhsa_system_sgpr_workgroup_id_y 1
		.amdhsa_system_sgpr_workgroup_id_z 0
		.amdhsa_system_sgpr_workgroup_info 0
		.amdhsa_system_vgpr_workitem_id 0
		.amdhsa_next_free_vgpr 24
		.amdhsa_next_free_sgpr 25
		.amdhsa_accum_offset 24
		.amdhsa_reserve_vcc 1
		.amdhsa_reserve_flat_scratch 0
		.amdhsa_float_round_mode_32 0
		.amdhsa_float_round_mode_16_64 0
		.amdhsa_float_denorm_mode_32 3
		.amdhsa_float_denorm_mode_16_64 3
		.amdhsa_dx10_clamp 1
		.amdhsa_ieee_mode 1
		.amdhsa_fp16_overflow 0
		.amdhsa_tg_split 0
		.amdhsa_exception_fp_ieee_invalid_op 0
		.amdhsa_exception_fp_denorm_src 0
		.amdhsa_exception_fp_ieee_div_zero 0
		.amdhsa_exception_fp_ieee_overflow 0
		.amdhsa_exception_fp_ieee_underflow 0
		.amdhsa_exception_fp_ieee_inexact 0
		.amdhsa_exception_int_div_zero 0
	.end_amdhsa_kernel
	.section	.text._ZN9rocsolver6v33100L25stedc_mergeVectors_kernelILb1EdEEviiPT0_iilS3_S3_Pi,"axG",@progbits,_ZN9rocsolver6v33100L25stedc_mergeVectors_kernelILb1EdEEviiPT0_iilS3_S3_Pi,comdat
.Lfunc_end101:
	.size	_ZN9rocsolver6v33100L25stedc_mergeVectors_kernelILb1EdEEviiPT0_iilS3_S3_Pi, .Lfunc_end101-_ZN9rocsolver6v33100L25stedc_mergeVectors_kernelILb1EdEEviiPT0_iilS3_S3_Pi
                                        ; -- End function
	.section	.AMDGPU.csdata,"",@progbits
; Kernel info:
; codeLenInByte = 1148
; NumSgprs: 29
; NumVgprs: 24
; NumAgprs: 0
; TotalNumVgprs: 24
; ScratchSize: 0
; MemoryBound: 0
; FloatMode: 240
; IeeeMode: 1
; LDSByteSize: 4096 bytes/workgroup (compile time only)
; SGPRBlocks: 3
; VGPRBlocks: 2
; NumSGPRsForWavesPerEU: 29
; NumVGPRsForWavesPerEU: 24
; AccumOffset: 24
; Occupancy: 8
; WaveLimiterHint : 1
; COMPUTE_PGM_RSRC2:SCRATCH_EN: 0
; COMPUTE_PGM_RSRC2:USER_SGPR: 6
; COMPUTE_PGM_RSRC2:TRAP_HANDLER: 0
; COMPUTE_PGM_RSRC2:TGID_X_EN: 1
; COMPUTE_PGM_RSRC2:TGID_Y_EN: 1
; COMPUTE_PGM_RSRC2:TGID_Z_EN: 0
; COMPUTE_PGM_RSRC2:TIDIG_COMP_CNT: 0
; COMPUTE_PGM_RSRC3_GFX90A:ACCUM_OFFSET: 5
; COMPUTE_PGM_RSRC3_GFX90A:TG_SPLIT: 0
	.section	.text._ZN9rocsolver6v33100L24stedc_mergeUpdate_kernelIdEEviiPT_lS3_iilS3_S3_Pi,"axG",@progbits,_ZN9rocsolver6v33100L24stedc_mergeUpdate_kernelIdEEviiPT_lS3_iilS3_S3_Pi,comdat
	.globl	_ZN9rocsolver6v33100L24stedc_mergeUpdate_kernelIdEEviiPT_lS3_iilS3_S3_Pi ; -- Begin function _ZN9rocsolver6v33100L24stedc_mergeUpdate_kernelIdEEviiPT_lS3_iilS3_S3_Pi
	.p2align	8
	.type	_ZN9rocsolver6v33100L24stedc_mergeUpdate_kernelIdEEviiPT_lS3_iilS3_S3_Pi,@function
_ZN9rocsolver6v33100L24stedc_mergeUpdate_kernelIdEEviiPT_lS3_iilS3_S3_Pi: ; @_ZN9rocsolver6v33100L24stedc_mergeUpdate_kernelIdEEviiPT_lS3_iilS3_S3_Pi
; %bb.0:
	s_load_dword s2, s[4:5], 0x4
	s_load_dwordx8 s[8:15], s[4:5], 0x28
	s_mov_b32 s0, s7
	s_waitcnt lgkmcnt(0)
	s_mul_i32 s1, s7, s2
	s_mul_i32 s16, s1, 13
	s_ashr_i32 s17, s16, 31
	s_lshl_b64 s[16:17], s[16:17], 2
	s_add_u32 s3, s14, s16
	s_mul_i32 s14, s2, 7
	s_addc_u32 s7, s15, s17
	s_ashr_i32 s15, s14, 31
	s_lshl_b64 s[14:15], s[14:15], 2
	s_add_u32 s16, s3, s14
	s_addc_u32 s17, s7, s15
	s_ashr_i32 s3, s2, 31
	s_lshl_b64 s[20:21], s[2:3], 3
	s_sub_u32 s25, s16, s20
	s_subb_u32 s26, s17, s21
	s_lshl_b64 s[14:15], s[2:3], 2
	s_add_u32 s3, s25, s14
	s_addc_u32 s15, s26, s15
	s_ashr_i32 s7, s6, 31
	s_lshl_b64 s[22:23], s[6:7], 2
	s_add_u32 s14, s3, s22
	s_addc_u32 s15, s15, s23
	s_add_u32 s16, s16, s22
	s_addc_u32 s17, s17, s23
	s_load_dword s3, s[14:15], 0x0
	s_load_dword s18, s[16:17], 0x0
	s_waitcnt lgkmcnt(0)
	s_sub_i32 s14, s6, s3
	s_cmp_ge_i32 s14, s18
	s_cbranch_scc1 .LBB102_6
; %bb.1:
	s_ashr_i32 s24, s0, 31
	s_add_u32 s22, s25, s22
	s_addc_u32 s23, s26, s23
	s_load_dwordx4 s[16:19], s[4:5], 0x8
	s_load_dwordx2 s[14:15], s[4:5], 0x18
	s_load_dword s25, s[22:23], 0x0
	v_cmp_eq_u32_e32 vcc, 0, v0
	s_and_saveexec_b64 s[22:23], vcc
	s_cbranch_execz .LBB102_3
; %bb.2:
	s_waitcnt lgkmcnt(0)
	s_mul_i32 s19, s0, s19
	s_mul_hi_u32 s26, s0, s18
	s_add_i32 s19, s26, s19
	s_mul_i32 s26, s24, s18
	s_add_i32 s19, s19, s26
	s_mul_i32 s18, s0, s18
	s_lshl_b64 s[18:19], s[18:19], 3
	s_add_u32 s18, s16, s18
	s_addc_u32 s19, s17, s19
	s_lshl_b64 s[16:17], s[6:7], 3
	s_add_u32 s18, s18, s16
	s_mul_i32 s26, s1, 10
	s_addc_u32 s19, s19, s17
	s_ashr_i32 s27, s26, 31
	s_lshl_b64 s[26:27], s[26:27], 3
	s_add_u32 s7, s10, s26
	s_addc_u32 s10, s11, s27
	s_add_u32 s7, s7, s20
	s_addc_u32 s11, s10, s21
	;; [unrolled: 2-line block ×3, first 2 shown]
	s_load_dwordx2 s[10:11], s[10:11], 0x0
	v_mov_b32_e32 v1, 0
	s_waitcnt lgkmcnt(0)
	v_pk_mov_b32 v[2:3], s[10:11], s[10:11] op_sel:[0,1]
	global_store_dwordx2 v1, v[2:3], s[18:19]
.LBB102_3:
	s_or_b64 exec, exec, s[22:23]
	v_add_u32_e32 v0, s3, v0
	s_waitcnt lgkmcnt(0)
	s_add_i32 s3, s25, s3
	v_cmp_gt_i32_e32 vcc, s3, v0
	s_and_saveexec_b64 s[10:11], vcc
	s_cbranch_execz .LBB102_6
; %bb.4:
	s_load_dwordx2 s[10:11], s[4:5], 0x20
	s_load_dword s16, s[4:5], 0x54
	s_mul_i32 s7, s0, s9
	s_mul_hi_u32 s9, s0, s8
	s_add_i32 s7, s9, s7
	s_mul_i32 s24, s24, s8
	s_add_i32 s9, s7, s24
	s_mul_i32 s8, s0, s8
	s_waitcnt lgkmcnt(0)
	s_ashr_i32 s5, s10, 31
	s_lshl_b64 s[8:9], s[8:9], 3
	s_mov_b32 s4, s10
	s_add_u32 s0, s14, s8
	s_addc_u32 s7, s15, s9
	s_lshl_b64 s[4:5], s[4:5], 3
	s_add_u32 s4, s0, s4
	s_mul_i32 s1, s1, s2
	s_addc_u32 s8, s7, s5
	s_lshl_b32 s0, s1, 1
	s_ashr_i32 s1, s0, 31
	s_lshl_b64 s[0:1], s[0:1], 3
	s_add_u32 s5, s12, s0
	s_addc_u32 s9, s13, s1
	s_mul_i32 s2, s6, s2
	s_mul_i32 s6, s6, s11
	s_and_b32 s7, s16, 0xffff
	s_mov_b64 s[0:1], 0
	v_mov_b32_e32 v1, s9
	v_mov_b32_e32 v2, s8
.LBB102_5:                              ; =>This Inner Loop Header: Depth=1
	v_add_u32_e32 v4, s2, v0
	v_ashrrev_i32_e32 v5, 31, v4
	v_lshlrev_b64 v[4:5], 3, v[4:5]
	v_add_co_u32_e32 v4, vcc, s5, v4
	v_addc_co_u32_e32 v5, vcc, v1, v5, vcc
	global_load_dwordx2 v[4:5], v[4:5], off
	v_add_u32_e32 v6, s6, v0
	v_add_u32_e32 v0, s7, v0
	v_ashrrev_i32_e32 v7, 31, v6
	v_cmp_le_i32_e32 vcc, s3, v0
	v_lshlrev_b64 v[6:7], 3, v[6:7]
	s_or_b64 s[0:1], vcc, s[0:1]
	v_add_co_u32_e32 v6, vcc, s4, v6
	v_addc_co_u32_e32 v7, vcc, v2, v7, vcc
	s_waitcnt vmcnt(0)
	global_store_dwordx2 v[6:7], v[4:5], off
	s_andn2_b64 exec, exec, s[0:1]
	s_cbranch_execnz .LBB102_5
.LBB102_6:
	s_endpgm
	.section	.rodata,"a",@progbits
	.p2align	6, 0x0
	.amdhsa_kernel _ZN9rocsolver6v33100L24stedc_mergeUpdate_kernelIdEEviiPT_lS3_iilS3_S3_Pi
		.amdhsa_group_segment_fixed_size 0
		.amdhsa_private_segment_fixed_size 0
		.amdhsa_kernarg_size 328
		.amdhsa_user_sgpr_count 6
		.amdhsa_user_sgpr_private_segment_buffer 1
		.amdhsa_user_sgpr_dispatch_ptr 0
		.amdhsa_user_sgpr_queue_ptr 0
		.amdhsa_user_sgpr_kernarg_segment_ptr 1
		.amdhsa_user_sgpr_dispatch_id 0
		.amdhsa_user_sgpr_flat_scratch_init 0
		.amdhsa_user_sgpr_kernarg_preload_length 0
		.amdhsa_user_sgpr_kernarg_preload_offset 0
		.amdhsa_user_sgpr_private_segment_size 0
		.amdhsa_uses_dynamic_stack 0
		.amdhsa_system_sgpr_private_segment_wavefront_offset 0
		.amdhsa_system_sgpr_workgroup_id_x 1
		.amdhsa_system_sgpr_workgroup_id_y 1
		.amdhsa_system_sgpr_workgroup_id_z 0
		.amdhsa_system_sgpr_workgroup_info 0
		.amdhsa_system_vgpr_workitem_id 0
		.amdhsa_next_free_vgpr 8
		.amdhsa_next_free_sgpr 28
		.amdhsa_accum_offset 8
		.amdhsa_reserve_vcc 1
		.amdhsa_reserve_flat_scratch 0
		.amdhsa_float_round_mode_32 0
		.amdhsa_float_round_mode_16_64 0
		.amdhsa_float_denorm_mode_32 3
		.amdhsa_float_denorm_mode_16_64 3
		.amdhsa_dx10_clamp 1
		.amdhsa_ieee_mode 1
		.amdhsa_fp16_overflow 0
		.amdhsa_tg_split 0
		.amdhsa_exception_fp_ieee_invalid_op 0
		.amdhsa_exception_fp_denorm_src 0
		.amdhsa_exception_fp_ieee_div_zero 0
		.amdhsa_exception_fp_ieee_overflow 0
		.amdhsa_exception_fp_ieee_underflow 0
		.amdhsa_exception_fp_ieee_inexact 0
		.amdhsa_exception_int_div_zero 0
	.end_amdhsa_kernel
	.section	.text._ZN9rocsolver6v33100L24stedc_mergeUpdate_kernelIdEEviiPT_lS3_iilS3_S3_Pi,"axG",@progbits,_ZN9rocsolver6v33100L24stedc_mergeUpdate_kernelIdEEviiPT_lS3_iilS3_S3_Pi,comdat
.Lfunc_end102:
	.size	_ZN9rocsolver6v33100L24stedc_mergeUpdate_kernelIdEEviiPT_lS3_iilS3_S3_Pi, .Lfunc_end102-_ZN9rocsolver6v33100L24stedc_mergeUpdate_kernelIdEEviiPT_lS3_iilS3_S3_Pi
                                        ; -- End function
	.section	.AMDGPU.csdata,"",@progbits
; Kernel info:
; codeLenInByte = 568
; NumSgprs: 32
; NumVgprs: 8
; NumAgprs: 0
; TotalNumVgprs: 8
; ScratchSize: 0
; MemoryBound: 0
; FloatMode: 240
; IeeeMode: 1
; LDSByteSize: 0 bytes/workgroup (compile time only)
; SGPRBlocks: 3
; VGPRBlocks: 0
; NumSGPRsForWavesPerEU: 32
; NumVGPRsForWavesPerEU: 8
; AccumOffset: 8
; Occupancy: 8
; WaveLimiterHint : 0
; COMPUTE_PGM_RSRC2:SCRATCH_EN: 0
; COMPUTE_PGM_RSRC2:USER_SGPR: 6
; COMPUTE_PGM_RSRC2:TRAP_HANDLER: 0
; COMPUTE_PGM_RSRC2:TGID_X_EN: 1
; COMPUTE_PGM_RSRC2:TGID_Y_EN: 1
; COMPUTE_PGM_RSRC2:TGID_Z_EN: 0
; COMPUTE_PGM_RSRC2:TIDIG_COMP_CNT: 0
; COMPUTE_PGM_RSRC3_GFX90A:ACCUM_OFFSET: 1
; COMPUTE_PGM_RSRC3_GFX90A:TG_SPLIT: 0
	.section	.text._ZN9rocsolver6v33100L11stedc_copyDIdEEviPT_lS3_l,"axG",@progbits,_ZN9rocsolver6v33100L11stedc_copyDIdEEviPT_lS3_l,comdat
	.globl	_ZN9rocsolver6v33100L11stedc_copyDIdEEviPT_lS3_l ; -- Begin function _ZN9rocsolver6v33100L11stedc_copyDIdEEviPT_lS3_l
	.p2align	8
	.type	_ZN9rocsolver6v33100L11stedc_copyDIdEEviPT_lS3_l,@function
_ZN9rocsolver6v33100L11stedc_copyDIdEEviPT_lS3_l: ; @_ZN9rocsolver6v33100L11stedc_copyDIdEEviPT_lS3_l
; %bb.0:
	s_load_dword s0, s[4:5], 0x34
	s_load_dword s37, s[4:5], 0x0
	s_waitcnt lgkmcnt(0)
	s_and_b32 s33, s0, 0xffff
	s_lshl_b32 s36, s33, 4
	v_cvt_f32_u32_e32 v1, s36
	s_sub_i32 s2, 0, s36
	s_add_i32 s0, s37, -1
	s_ashr_i32 s1, s0, 31
	v_rcp_iflag_f32_e32 v1, v1
	s_abs_i32 s0, s0
	v_mul_f32_e32 v1, 0x4f7ffffe, v1
	v_cvt_u32_f32_e32 v1, v1
	v_readfirstlane_b32 s3, v1
	s_mul_i32 s2, s2, s3
	s_mul_hi_u32 s2, s3, s2
	s_add_i32 s3, s3, s2
	s_mul_hi_u32 s2, s0, s3
	s_mul_i32 s3, s2, s36
	s_sub_i32 s0, s0, s3
	s_add_i32 s6, s2, 1
	s_sub_i32 s3, s0, s36
	s_cmp_ge_u32 s0, s36
	s_cselect_b32 s2, s6, s2
	s_cselect_b32 s0, s3, s0
	s_add_i32 s3, s2, 1
	s_cmp_ge_u32 s0, s36
	s_cselect_b32 s0, s3, s2
	s_xor_b32 s0, s0, s1
	s_sub_i32 s0, s0, s1
	s_cmp_lt_i32 s0, 0
	s_cbranch_scc1 .LBB103_67
; %bb.1:
	s_load_dwordx8 s[8:15], s[4:5], 0x8
	s_ashr_i32 s1, s7, 31
	s_mul_i32 s44, s33, 3
	s_mul_i32 s46, s33, 5
	;; [unrolled: 1-line block ×3, first 2 shown]
	s_waitcnt lgkmcnt(0)
	s_mul_i32 s3, s7, s11
	s_mul_hi_u32 s4, s7, s10
	s_mul_i32 s5, s1, s10
	s_add_i32 s3, s4, s3
	s_mul_i32 s2, s7, s10
	s_add_i32 s3, s3, s5
	s_lshl_b64 s[2:3], s[2:3], 3
	s_add_u32 s38, s8, s2
	s_addc_u32 s39, s9, s3
	s_mul_i32 s2, s7, s15
	s_mul_hi_u32 s3, s7, s14
	s_add_i32 s2, s3, s2
	s_mul_i32 s1, s1, s14
	s_add_i32 s3, s2, s1
	s_mul_i32 s2, s7, s14
	s_lshl_b64 s[2:3], s[2:3], 3
	s_add_u32 s40, s12, s2
	s_addc_u32 s41, s13, s3
	s_add_i32 s42, s0, 1
	s_lshl_b32 s43, s33, 1
	s_lshl_b32 s45, s33, 2
	s_mul_i32 s48, s33, 7
	s_lshl_b32 s49, s33, 3
	s_mul_i32 s50, s33, 9
	s_mul_i32 s51, s33, 10
	;; [unrolled: 1-line block ×7, first 2 shown]
                                        ; implicit-def: $vgpr2_vgpr3_vgpr4_vgpr5_vgpr6_vgpr7_vgpr8_vgpr9_vgpr10_vgpr11_vgpr12_vgpr13_vgpr14_vgpr15_vgpr16_vgpr17_vgpr18_vgpr19_vgpr20_vgpr21_vgpr22_vgpr23_vgpr24_vgpr25_vgpr26_vgpr27_vgpr28_vgpr29_vgpr30_vgpr31_vgpr32_vgpr33
	s_branch .LBB103_3
.LBB103_2:                              ;   in Loop: Header=BB103_3 Depth=1
	s_or_b64 exec, exec, s[0:1]
	s_add_i32 s42, s42, -1
	s_cmp_eq_u32 s42, 0
	v_add_u32_e32 v0, s36, v0
	s_cbranch_scc1 .LBB103_67
.LBB103_3:                              ; =>This Inner Loop Header: Depth=1
	v_cmp_gt_i32_e32 vcc, s37, v0
	v_ashrrev_i32_e32 v1, 31, v0
	s_and_saveexec_b64 s[2:3], vcc
	s_cbranch_execz .LBB103_5
; %bb.4:                                ;   in Loop: Header=BB103_3 Depth=1
	s_waitcnt vmcnt(0)
	v_lshlrev_b64 v[2:3], 3, v[0:1]
	v_mov_b32_e32 v34, s39
	v_add_co_u32_e64 v2, s[0:1], s38, v2
	v_addc_co_u32_e64 v3, s[0:1], v34, v3, s[0:1]
	global_load_dwordx2 v[2:3], v[2:3], off
.LBB103_5:                              ;   in Loop: Header=BB103_3 Depth=1
	s_or_b64 exec, exec, s[2:3]
	v_add_u32_e32 v34, s33, v0
	v_cmp_gt_i32_e64 s[0:1], s37, v34
	v_ashrrev_i32_e32 v35, 31, v34
	s_and_saveexec_b64 s[4:5], s[0:1]
	s_cbranch_execz .LBB103_7
; %bb.6:                                ;   in Loop: Header=BB103_3 Depth=1
	s_waitcnt vmcnt(0)
	v_lshlrev_b64 v[4:5], 3, v[34:35]
	v_mov_b32_e32 v36, s39
	v_add_co_u32_e64 v4, s[2:3], s38, v4
	v_addc_co_u32_e64 v5, s[2:3], v36, v5, s[2:3]
	global_load_dwordx2 v[4:5], v[4:5], off
.LBB103_7:                              ;   in Loop: Header=BB103_3 Depth=1
	s_or_b64 exec, exec, s[4:5]
	v_add_u32_e32 v36, s43, v0
	v_add_u32_e32 v39, s33, v34
	v_cmp_gt_i32_e64 s[2:3], s37, v39
	v_ashrrev_i32_e32 v37, 31, v36
	s_and_saveexec_b64 s[6:7], s[2:3]
	s_cbranch_execz .LBB103_9
; %bb.8:                                ;   in Loop: Header=BB103_3 Depth=1
	s_waitcnt vmcnt(0)
	v_lshlrev_b64 v[6:7], 3, v[36:37]
	v_mov_b32_e32 v38, s39
	v_add_co_u32_e64 v6, s[4:5], s38, v6
	v_addc_co_u32_e64 v7, s[4:5], v38, v7, s[4:5]
	global_load_dwordx2 v[6:7], v[6:7], off
.LBB103_9:                              ;   in Loop: Header=BB103_3 Depth=1
	s_or_b64 exec, exec, s[6:7]
	v_add_u32_e32 v38, s44, v0
	v_add_u32_e32 v41, s33, v39
	v_cmp_gt_i32_e64 s[4:5], s37, v41
	v_ashrrev_i32_e32 v39, 31, v38
	s_and_saveexec_b64 s[8:9], s[4:5]
	s_cbranch_execz .LBB103_11
; %bb.10:                               ;   in Loop: Header=BB103_3 Depth=1
	s_waitcnt vmcnt(0)
	v_lshlrev_b64 v[8:9], 3, v[38:39]
	v_mov_b32_e32 v40, s39
	v_add_co_u32_e64 v8, s[6:7], s38, v8
	v_addc_co_u32_e64 v9, s[6:7], v40, v9, s[6:7]
	global_load_dwordx2 v[8:9], v[8:9], off
.LBB103_11:                             ;   in Loop: Header=BB103_3 Depth=1
	s_or_b64 exec, exec, s[8:9]
	v_add_u32_e32 v40, s45, v0
	v_add_u32_e32 v43, s33, v41
	v_cmp_gt_i32_e64 s[6:7], s37, v43
	v_ashrrev_i32_e32 v41, 31, v40
	s_and_saveexec_b64 s[10:11], s[6:7]
	s_cbranch_execz .LBB103_13
; %bb.12:                               ;   in Loop: Header=BB103_3 Depth=1
	s_waitcnt vmcnt(0)
	v_lshlrev_b64 v[10:11], 3, v[40:41]
	v_mov_b32_e32 v42, s39
	v_add_co_u32_e64 v10, s[8:9], s38, v10
	v_addc_co_u32_e64 v11, s[8:9], v42, v11, s[8:9]
	global_load_dwordx2 v[10:11], v[10:11], off
.LBB103_13:                             ;   in Loop: Header=BB103_3 Depth=1
	;; [unrolled: 15-line block ×12, first 2 shown]
	s_or_b64 exec, exec, s[30:31]
	v_add_u32_e32 v62, s56, v0
	v_add_u32_e32 v63, s33, v63
	v_cmp_gt_i32_e64 s[28:29], s37, v63
	v_ashrrev_i32_e32 v63, 31, v62
	s_and_saveexec_b64 s[34:35], s[28:29]
	s_cbranch_execnz .LBB103_50
; %bb.34:                               ;   in Loop: Header=BB103_3 Depth=1
	s_or_b64 exec, exec, s[34:35]
	s_and_saveexec_b64 s[30:31], vcc
	s_cbranch_execnz .LBB103_51
.LBB103_35:                             ;   in Loop: Header=BB103_3 Depth=1
	s_or_b64 exec, exec, s[30:31]
	s_and_saveexec_b64 s[30:31], s[0:1]
	s_cbranch_execnz .LBB103_52
.LBB103_36:                             ;   in Loop: Header=BB103_3 Depth=1
	s_or_b64 exec, exec, s[30:31]
	s_and_saveexec_b64 s[0:1], s[2:3]
	s_cbranch_execnz .LBB103_53
.LBB103_37:                             ;   in Loop: Header=BB103_3 Depth=1
	s_or_b64 exec, exec, s[0:1]
	s_and_saveexec_b64 s[0:1], s[4:5]
	s_cbranch_execnz .LBB103_54
.LBB103_38:                             ;   in Loop: Header=BB103_3 Depth=1
	s_or_b64 exec, exec, s[0:1]
	s_and_saveexec_b64 s[0:1], s[6:7]
	s_cbranch_execnz .LBB103_55
.LBB103_39:                             ;   in Loop: Header=BB103_3 Depth=1
	s_or_b64 exec, exec, s[0:1]
	s_and_saveexec_b64 s[0:1], s[8:9]
	s_cbranch_execnz .LBB103_56
.LBB103_40:                             ;   in Loop: Header=BB103_3 Depth=1
	s_or_b64 exec, exec, s[0:1]
	s_and_saveexec_b64 s[0:1], s[10:11]
	s_cbranch_execnz .LBB103_57
.LBB103_41:                             ;   in Loop: Header=BB103_3 Depth=1
	s_or_b64 exec, exec, s[0:1]
	s_and_saveexec_b64 s[0:1], s[12:13]
	s_cbranch_execnz .LBB103_58
.LBB103_42:                             ;   in Loop: Header=BB103_3 Depth=1
	s_or_b64 exec, exec, s[0:1]
	s_and_saveexec_b64 s[0:1], s[14:15]
	s_cbranch_execnz .LBB103_59
.LBB103_43:                             ;   in Loop: Header=BB103_3 Depth=1
	s_or_b64 exec, exec, s[0:1]
	s_and_saveexec_b64 s[0:1], s[16:17]
	s_cbranch_execnz .LBB103_60
.LBB103_44:                             ;   in Loop: Header=BB103_3 Depth=1
	s_or_b64 exec, exec, s[0:1]
	s_and_saveexec_b64 s[0:1], s[18:19]
	s_cbranch_execnz .LBB103_61
.LBB103_45:                             ;   in Loop: Header=BB103_3 Depth=1
	s_or_b64 exec, exec, s[0:1]
	s_and_saveexec_b64 s[0:1], s[20:21]
	s_cbranch_execnz .LBB103_62
.LBB103_46:                             ;   in Loop: Header=BB103_3 Depth=1
	s_or_b64 exec, exec, s[0:1]
	s_and_saveexec_b64 s[0:1], s[22:23]
	s_cbranch_execnz .LBB103_63
.LBB103_47:                             ;   in Loop: Header=BB103_3 Depth=1
	s_or_b64 exec, exec, s[0:1]
	s_and_saveexec_b64 s[0:1], s[24:25]
	s_cbranch_execnz .LBB103_64
.LBB103_48:                             ;   in Loop: Header=BB103_3 Depth=1
	s_or_b64 exec, exec, s[0:1]
	s_and_saveexec_b64 s[0:1], s[26:27]
	s_cbranch_execnz .LBB103_65
.LBB103_49:                             ;   in Loop: Header=BB103_3 Depth=1
	s_or_b64 exec, exec, s[0:1]
	s_and_saveexec_b64 s[0:1], s[28:29]
	s_cbranch_execz .LBB103_2
	s_branch .LBB103_66
.LBB103_50:                             ;   in Loop: Header=BB103_3 Depth=1
	s_waitcnt vmcnt(0)
	v_lshlrev_b64 v[32:33], 3, v[62:63]
	v_mov_b32_e32 v64, s39
	v_add_co_u32_e64 v32, s[30:31], s38, v32
	v_addc_co_u32_e64 v33, s[30:31], v64, v33, s[30:31]
	global_load_dwordx2 v[32:33], v[32:33], off
	s_or_b64 exec, exec, s[34:35]
	s_and_saveexec_b64 s[30:31], vcc
	s_cbranch_execz .LBB103_35
.LBB103_51:                             ;   in Loop: Header=BB103_3 Depth=1
	v_lshlrev_b64 v[64:65], 3, v[0:1]
	v_mov_b32_e32 v1, s41
	v_add_co_u32_e32 v64, vcc, s40, v64
	v_addc_co_u32_e32 v65, vcc, v1, v65, vcc
	s_waitcnt vmcnt(0)
	global_store_dwordx2 v[64:65], v[2:3], off
	s_or_b64 exec, exec, s[30:31]
	s_and_saveexec_b64 s[30:31], s[0:1]
	s_cbranch_execz .LBB103_36
.LBB103_52:                             ;   in Loop: Header=BB103_3 Depth=1
	v_lshlrev_b64 v[34:35], 3, v[34:35]
	v_mov_b32_e32 v1, s41
	v_add_co_u32_e32 v34, vcc, s40, v34
	v_addc_co_u32_e32 v35, vcc, v1, v35, vcc
	s_waitcnt vmcnt(0)
	global_store_dwordx2 v[34:35], v[4:5], off
	s_or_b64 exec, exec, s[30:31]
	s_and_saveexec_b64 s[0:1], s[2:3]
	s_cbranch_execz .LBB103_37
.LBB103_53:                             ;   in Loop: Header=BB103_3 Depth=1
	v_lshlrev_b64 v[34:35], 3, v[36:37]
	v_mov_b32_e32 v1, s41
	v_add_co_u32_e32 v34, vcc, s40, v34
	v_addc_co_u32_e32 v35, vcc, v1, v35, vcc
	s_waitcnt vmcnt(0)
	global_store_dwordx2 v[34:35], v[6:7], off
	s_or_b64 exec, exec, s[0:1]
	s_and_saveexec_b64 s[0:1], s[4:5]
	s_cbranch_execz .LBB103_38
.LBB103_54:                             ;   in Loop: Header=BB103_3 Depth=1
	v_lshlrev_b64 v[34:35], 3, v[38:39]
	v_mov_b32_e32 v1, s41
	v_add_co_u32_e32 v34, vcc, s40, v34
	v_addc_co_u32_e32 v35, vcc, v1, v35, vcc
	s_waitcnt vmcnt(0)
	global_store_dwordx2 v[34:35], v[8:9], off
	s_or_b64 exec, exec, s[0:1]
	s_and_saveexec_b64 s[0:1], s[6:7]
	s_cbranch_execz .LBB103_39
.LBB103_55:                             ;   in Loop: Header=BB103_3 Depth=1
	v_lshlrev_b64 v[34:35], 3, v[40:41]
	v_mov_b32_e32 v1, s41
	v_add_co_u32_e32 v34, vcc, s40, v34
	v_addc_co_u32_e32 v35, vcc, v1, v35, vcc
	s_waitcnt vmcnt(0)
	global_store_dwordx2 v[34:35], v[10:11], off
	s_or_b64 exec, exec, s[0:1]
	s_and_saveexec_b64 s[0:1], s[8:9]
	s_cbranch_execz .LBB103_40
.LBB103_56:                             ;   in Loop: Header=BB103_3 Depth=1
	v_lshlrev_b64 v[34:35], 3, v[42:43]
	v_mov_b32_e32 v1, s41
	v_add_co_u32_e32 v34, vcc, s40, v34
	v_addc_co_u32_e32 v35, vcc, v1, v35, vcc
	s_waitcnt vmcnt(0)
	global_store_dwordx2 v[34:35], v[12:13], off
	s_or_b64 exec, exec, s[0:1]
	s_and_saveexec_b64 s[0:1], s[10:11]
	s_cbranch_execz .LBB103_41
.LBB103_57:                             ;   in Loop: Header=BB103_3 Depth=1
	v_lshlrev_b64 v[34:35], 3, v[44:45]
	v_mov_b32_e32 v1, s41
	v_add_co_u32_e32 v34, vcc, s40, v34
	v_addc_co_u32_e32 v35, vcc, v1, v35, vcc
	s_waitcnt vmcnt(0)
	global_store_dwordx2 v[34:35], v[14:15], off
	s_or_b64 exec, exec, s[0:1]
	s_and_saveexec_b64 s[0:1], s[12:13]
	s_cbranch_execz .LBB103_42
.LBB103_58:                             ;   in Loop: Header=BB103_3 Depth=1
	v_lshlrev_b64 v[34:35], 3, v[46:47]
	v_mov_b32_e32 v1, s41
	v_add_co_u32_e32 v34, vcc, s40, v34
	v_addc_co_u32_e32 v35, vcc, v1, v35, vcc
	s_waitcnt vmcnt(0)
	global_store_dwordx2 v[34:35], v[16:17], off
	s_or_b64 exec, exec, s[0:1]
	s_and_saveexec_b64 s[0:1], s[14:15]
	s_cbranch_execz .LBB103_43
.LBB103_59:                             ;   in Loop: Header=BB103_3 Depth=1
	v_lshlrev_b64 v[34:35], 3, v[48:49]
	v_mov_b32_e32 v1, s41
	v_add_co_u32_e32 v34, vcc, s40, v34
	v_addc_co_u32_e32 v35, vcc, v1, v35, vcc
	s_waitcnt vmcnt(0)
	global_store_dwordx2 v[34:35], v[18:19], off
	s_or_b64 exec, exec, s[0:1]
	s_and_saveexec_b64 s[0:1], s[16:17]
	s_cbranch_execz .LBB103_44
.LBB103_60:                             ;   in Loop: Header=BB103_3 Depth=1
	v_lshlrev_b64 v[34:35], 3, v[50:51]
	v_mov_b32_e32 v1, s41
	v_add_co_u32_e32 v34, vcc, s40, v34
	v_addc_co_u32_e32 v35, vcc, v1, v35, vcc
	s_waitcnt vmcnt(0)
	global_store_dwordx2 v[34:35], v[20:21], off
	s_or_b64 exec, exec, s[0:1]
	s_and_saveexec_b64 s[0:1], s[18:19]
	s_cbranch_execz .LBB103_45
.LBB103_61:                             ;   in Loop: Header=BB103_3 Depth=1
	v_lshlrev_b64 v[34:35], 3, v[52:53]
	v_mov_b32_e32 v1, s41
	v_add_co_u32_e32 v34, vcc, s40, v34
	v_addc_co_u32_e32 v35, vcc, v1, v35, vcc
	s_waitcnt vmcnt(0)
	global_store_dwordx2 v[34:35], v[22:23], off
	s_or_b64 exec, exec, s[0:1]
	s_and_saveexec_b64 s[0:1], s[20:21]
	s_cbranch_execz .LBB103_46
.LBB103_62:                             ;   in Loop: Header=BB103_3 Depth=1
	v_lshlrev_b64 v[34:35], 3, v[54:55]
	v_mov_b32_e32 v1, s41
	v_add_co_u32_e32 v34, vcc, s40, v34
	v_addc_co_u32_e32 v35, vcc, v1, v35, vcc
	s_waitcnt vmcnt(0)
	global_store_dwordx2 v[34:35], v[24:25], off
	s_or_b64 exec, exec, s[0:1]
	s_and_saveexec_b64 s[0:1], s[22:23]
	s_cbranch_execz .LBB103_47
.LBB103_63:                             ;   in Loop: Header=BB103_3 Depth=1
	v_lshlrev_b64 v[34:35], 3, v[56:57]
	v_mov_b32_e32 v1, s41
	v_add_co_u32_e32 v34, vcc, s40, v34
	v_addc_co_u32_e32 v35, vcc, v1, v35, vcc
	s_waitcnt vmcnt(0)
	global_store_dwordx2 v[34:35], v[26:27], off
	s_or_b64 exec, exec, s[0:1]
	s_and_saveexec_b64 s[0:1], s[24:25]
	s_cbranch_execz .LBB103_48
.LBB103_64:                             ;   in Loop: Header=BB103_3 Depth=1
	v_lshlrev_b64 v[34:35], 3, v[58:59]
	v_mov_b32_e32 v1, s41
	v_add_co_u32_e32 v34, vcc, s40, v34
	v_addc_co_u32_e32 v35, vcc, v1, v35, vcc
	s_waitcnt vmcnt(0)
	global_store_dwordx2 v[34:35], v[28:29], off
	s_or_b64 exec, exec, s[0:1]
	s_and_saveexec_b64 s[0:1], s[26:27]
	s_cbranch_execz .LBB103_49
.LBB103_65:                             ;   in Loop: Header=BB103_3 Depth=1
	v_lshlrev_b64 v[34:35], 3, v[60:61]
	v_mov_b32_e32 v1, s41
	v_add_co_u32_e32 v34, vcc, s40, v34
	v_addc_co_u32_e32 v35, vcc, v1, v35, vcc
	s_waitcnt vmcnt(0)
	global_store_dwordx2 v[34:35], v[30:31], off
	s_or_b64 exec, exec, s[0:1]
	s_and_saveexec_b64 s[0:1], s[28:29]
	s_cbranch_execz .LBB103_2
.LBB103_66:                             ;   in Loop: Header=BB103_3 Depth=1
	v_lshlrev_b64 v[34:35], 3, v[62:63]
	v_mov_b32_e32 v1, s41
	v_add_co_u32_e32 v34, vcc, s40, v34
	v_addc_co_u32_e32 v35, vcc, v1, v35, vcc
	s_waitcnt vmcnt(0)
	global_store_dwordx2 v[34:35], v[32:33], off
	s_branch .LBB103_2
.LBB103_67:
	s_endpgm
	.section	.rodata,"a",@progbits
	.p2align	6, 0x0
	.amdhsa_kernel _ZN9rocsolver6v33100L11stedc_copyDIdEEviPT_lS3_l
		.amdhsa_group_segment_fixed_size 0
		.amdhsa_private_segment_fixed_size 0
		.amdhsa_kernarg_size 296
		.amdhsa_user_sgpr_count 6
		.amdhsa_user_sgpr_private_segment_buffer 1
		.amdhsa_user_sgpr_dispatch_ptr 0
		.amdhsa_user_sgpr_queue_ptr 0
		.amdhsa_user_sgpr_kernarg_segment_ptr 1
		.amdhsa_user_sgpr_dispatch_id 0
		.amdhsa_user_sgpr_flat_scratch_init 0
		.amdhsa_user_sgpr_kernarg_preload_length 0
		.amdhsa_user_sgpr_kernarg_preload_offset 0
		.amdhsa_user_sgpr_private_segment_size 0
		.amdhsa_uses_dynamic_stack 0
		.amdhsa_system_sgpr_private_segment_wavefront_offset 0
		.amdhsa_system_sgpr_workgroup_id_x 1
		.amdhsa_system_sgpr_workgroup_id_y 1
		.amdhsa_system_sgpr_workgroup_id_z 0
		.amdhsa_system_sgpr_workgroup_info 0
		.amdhsa_system_vgpr_workitem_id 0
		.amdhsa_next_free_vgpr 66
		.amdhsa_next_free_sgpr 57
		.amdhsa_accum_offset 68
		.amdhsa_reserve_vcc 1
		.amdhsa_reserve_flat_scratch 0
		.amdhsa_float_round_mode_32 0
		.amdhsa_float_round_mode_16_64 0
		.amdhsa_float_denorm_mode_32 3
		.amdhsa_float_denorm_mode_16_64 3
		.amdhsa_dx10_clamp 1
		.amdhsa_ieee_mode 1
		.amdhsa_fp16_overflow 0
		.amdhsa_tg_split 0
		.amdhsa_exception_fp_ieee_invalid_op 0
		.amdhsa_exception_fp_denorm_src 0
		.amdhsa_exception_fp_ieee_div_zero 0
		.amdhsa_exception_fp_ieee_overflow 0
		.amdhsa_exception_fp_ieee_underflow 0
		.amdhsa_exception_fp_ieee_inexact 0
		.amdhsa_exception_int_div_zero 0
	.end_amdhsa_kernel
	.section	.text._ZN9rocsolver6v33100L11stedc_copyDIdEEviPT_lS3_l,"axG",@progbits,_ZN9rocsolver6v33100L11stedc_copyDIdEEviPT_lS3_l,comdat
.Lfunc_end103:
	.size	_ZN9rocsolver6v33100L11stedc_copyDIdEEviPT_lS3_l, .Lfunc_end103-_ZN9rocsolver6v33100L11stedc_copyDIdEEviPT_lS3_l
                                        ; -- End function
	.section	.AMDGPU.csdata,"",@progbits
; Kernel info:
; codeLenInByte = 2356
; NumSgprs: 61
; NumVgprs: 66
; NumAgprs: 0
; TotalNumVgprs: 66
; ScratchSize: 0
; MemoryBound: 0
; FloatMode: 240
; IeeeMode: 1
; LDSByteSize: 0 bytes/workgroup (compile time only)
; SGPRBlocks: 7
; VGPRBlocks: 8
; NumSGPRsForWavesPerEU: 61
; NumVGPRsForWavesPerEU: 66
; AccumOffset: 68
; Occupancy: 7
; WaveLimiterHint : 0
; COMPUTE_PGM_RSRC2:SCRATCH_EN: 0
; COMPUTE_PGM_RSRC2:USER_SGPR: 6
; COMPUTE_PGM_RSRC2:TRAP_HANDLER: 0
; COMPUTE_PGM_RSRC2:TGID_X_EN: 1
; COMPUTE_PGM_RSRC2:TGID_Y_EN: 1
; COMPUTE_PGM_RSRC2:TGID_Z_EN: 0
; COMPUTE_PGM_RSRC2:TIDIG_COMP_CNT: 0
; COMPUTE_PGM_RSRC3_GFX90A:ACCUM_OFFSET: 16
; COMPUTE_PGM_RSRC3_GFX90A:TG_SPLIT: 0
	.section	.text._ZN9rocsolver6v33100L10stedc_sortIddPdS2_EEviPT0_lS4_lT1_iilT2_iil,"axG",@progbits,_ZN9rocsolver6v33100L10stedc_sortIddPdS2_EEviPT0_lS4_lT1_iilT2_iil,comdat
	.globl	_ZN9rocsolver6v33100L10stedc_sortIddPdS2_EEviPT0_lS4_lT1_iilT2_iil ; -- Begin function _ZN9rocsolver6v33100L10stedc_sortIddPdS2_EEviPT0_lS4_lT1_iilT2_iil
	.p2align	8
	.type	_ZN9rocsolver6v33100L10stedc_sortIddPdS2_EEviPT0_lS4_lT1_iilT2_iil,@function
_ZN9rocsolver6v33100L10stedc_sortIddPdS2_EEviPT0_lS4_lT1_iilT2_iil: ; @_ZN9rocsolver6v33100L10stedc_sortIddPdS2_EEviPT0_lS4_lT1_iilT2_iil
; %bb.0:
	s_load_dwordx8 s[36:43], s[4:5], 0x8
	s_ashr_i32 s66, s7, 31
	s_load_dword s2, s[4:5], 0x64
	s_mov_b32 s33, s7
	s_load_dword s54, s[4:5], 0x0
	s_waitcnt lgkmcnt(0)
	s_mul_i32 s0, s7, s39
	s_mul_hi_u32 s1, s7, s38
	s_add_i32 s0, s1, s0
	s_mul_i32 s1, s66, s38
	s_add_i32 s1, s0, s1
	s_mul_i32 s0, s7, s38
	s_lshl_b64 s[0:1], s[0:1], 3
	s_add_u32 s67, s36, s0
	s_addc_u32 s68, s37, s1
	s_ashr_i32 s7, s6, 31
	s_lshl_b64 s[44:45], s[6:7], 3
	s_add_u32 s0, s67, s44
	s_addc_u32 s1, s68, s45
	s_and_b32 s52, s2, 0xffff
	s_lshl_b32 s53, s52, 4
	v_cvt_f32_u32_e32 v1, s53
	s_sub_i32 s2, 0, s53
	s_load_dwordx2 s[38:39], s[4:5], 0x28
	s_load_dwordx2 s[46:47], s[0:1], 0x0
	s_add_i32 s0, s54, -1
	v_rcp_iflag_f32_e32 v1, v1
	s_ashr_i32 s1, s0, 31
	s_abs_i32 s0, s0
	v_mov_b32_e32 v34, 0
	v_mul_f32_e32 v1, 0x4f7ffffe, v1
	v_cvt_u32_f32_e32 v1, v1
	s_mul_i32 s55, s52, 3
	s_mul_i32 s56, s52, 5
	;; [unrolled: 1-line block ×3, first 2 shown]
	v_readfirstlane_b32 s3, v1
	s_mul_i32 s2, s2, s3
	s_mul_hi_u32 s2, s3, s2
	s_add_i32 s3, s3, s2
	s_mul_hi_u32 s2, s0, s3
	s_mul_i32 s3, s2, s53
	s_sub_i32 s0, s0, s3
	s_add_i32 s3, s2, 1
	s_sub_i32 s7, s0, s53
	s_cmp_ge_u32 s0, s53
	s_cselect_b32 s2, s3, s2
	s_cselect_b32 s0, s7, s0
	s_add_i32 s3, s2, 1
	s_cmp_ge_u32 s0, s53
	s_cselect_b32 s0, s3, s2
	s_xor_b32 s0, s0, s1
	s_sub_i32 s7, s0, s1
	s_cmp_gt_i32 s7, -1
	s_cselect_b64 s[48:49], -1, 0
	s_cmp_lt_i32 s7, 0
	s_mul_i32 s58, s52, 7
	s_mul_i32 s59, s52, 9
	;; [unrolled: 1-line block ×8, first 2 shown]
	s_cbranch_scc1 .LBB104_67
; %bb.1:
	s_add_i32 s69, s7, 1
	s_lshl_b32 s70, s52, 1
	s_lshl_b32 s71, s52, 2
	;; [unrolled: 1-line block ×3, first 2 shown]
	v_mov_b32_e32 v1, 0
	v_mov_b32_e32 v34, v0
	;; [unrolled: 1-line block ×4, first 2 shown]
                                        ; implicit-def: $vgpr2_vgpr3_vgpr4_vgpr5_vgpr6_vgpr7_vgpr8_vgpr9_vgpr10_vgpr11_vgpr12_vgpr13_vgpr14_vgpr15_vgpr16_vgpr17_vgpr18_vgpr19_vgpr20_vgpr21_vgpr22_vgpr23_vgpr24_vgpr25_vgpr26_vgpr27_vgpr28_vgpr29_vgpr30_vgpr31_vgpr32_vgpr33
	s_branch .LBB104_3
.LBB104_2:                              ;   in Loop: Header=BB104_3 Depth=1
	s_or_b64 exec, exec, s[2:3]
	s_add_i32 s69, s69, -1
	s_cmp_eq_u32 s69, 0
	v_add_u32_e32 v34, s53, v34
	s_cbranch_scc1 .LBB104_68
.LBB104_3:                              ; =>This Inner Loop Header: Depth=1
	v_cmp_gt_i32_e32 vcc, s54, v34
	s_and_saveexec_b64 s[2:3], vcc
	s_cbranch_execz .LBB104_5
; %bb.4:                                ;   in Loop: Header=BB104_3 Depth=1
	v_ashrrev_i32_e32 v35, 31, v34
	s_waitcnt vmcnt(0)
	v_lshlrev_b64 v[2:3], 3, v[34:35]
	v_mov_b32_e32 v35, s68
	v_add_co_u32_e64 v2, s[0:1], s67, v2
	v_addc_co_u32_e64 v3, s[0:1], v35, v3, s[0:1]
	global_load_dwordx2 v[2:3], v[2:3], off
.LBB104_5:                              ;   in Loop: Header=BB104_3 Depth=1
	s_or_b64 exec, exec, s[2:3]
	v_add_u32_e32 v36, s52, v34
	v_cmp_gt_i32_e64 s[0:1], s54, v36
	s_and_saveexec_b64 s[8:9], s[0:1]
	s_cbranch_execz .LBB104_7
; %bb.6:                                ;   in Loop: Header=BB104_3 Depth=1
	v_ashrrev_i32_e32 v37, 31, v36
	s_waitcnt vmcnt(0)
	v_lshlrev_b64 v[4:5], 3, v[36:37]
	v_mov_b32_e32 v35, s68
	v_add_co_u32_e64 v4, s[2:3], s67, v4
	v_addc_co_u32_e64 v5, s[2:3], v35, v5, s[2:3]
	global_load_dwordx2 v[4:5], v[4:5], off
.LBB104_7:                              ;   in Loop: Header=BB104_3 Depth=1
	s_or_b64 exec, exec, s[8:9]
	v_add_u32_e32 v38, s70, v34
	v_cmp_gt_i32_e64 s[2:3], s54, v38
	s_and_saveexec_b64 s[10:11], s[2:3]
	;; [unrolled: 14-line block ×3, first 2 shown]
	s_cbranch_execz .LBB104_11
; %bb.10:                               ;   in Loop: Header=BB104_3 Depth=1
	v_ashrrev_i32_e32 v41, 31, v40
	s_waitcnt vmcnt(0)
	v_lshlrev_b64 v[8:9], 3, v[40:41]
	v_mov_b32_e32 v35, s68
	v_add_co_u32_e64 v8, s[10:11], s67, v8
	v_addc_co_u32_e64 v9, s[10:11], v35, v9, s[10:11]
	global_load_dwordx2 v[8:9], v[8:9], off
.LBB104_11:                             ;   in Loop: Header=BB104_3 Depth=1
	s_or_b64 exec, exec, s[12:13]
	v_add_u32_e32 v42, s71, v34
	v_cmp_gt_i32_e64 s[10:11], s54, v42
	s_and_saveexec_b64 s[14:15], s[10:11]
	s_cbranch_execz .LBB104_13
; %bb.12:                               ;   in Loop: Header=BB104_3 Depth=1
	v_ashrrev_i32_e32 v43, 31, v42
	s_waitcnt vmcnt(0)
	v_lshlrev_b64 v[10:11], 3, v[42:43]
	v_mov_b32_e32 v35, s68
	v_add_co_u32_e64 v10, s[12:13], s67, v10
	v_addc_co_u32_e64 v11, s[12:13], v35, v11, s[12:13]
	global_load_dwordx2 v[10:11], v[10:11], off
.LBB104_13:                             ;   in Loop: Header=BB104_3 Depth=1
	s_or_b64 exec, exec, s[14:15]
	v_add_u32_e32 v44, s56, v34
	v_cmp_gt_i32_e64 s[12:13], s54, v44
	s_and_saveexec_b64 s[16:17], s[12:13]
	s_cbranch_execz .LBB104_15
; %bb.14:                               ;   in Loop: Header=BB104_3 Depth=1
	v_ashrrev_i32_e32 v45, 31, v44
	s_waitcnt vmcnt(0)
	v_lshlrev_b64 v[12:13], 3, v[44:45]
	v_mov_b32_e32 v35, s68
	v_add_co_u32_e64 v12, s[14:15], s67, v12
	v_addc_co_u32_e64 v13, s[14:15], v35, v13, s[14:15]
	global_load_dwordx2 v[12:13], v[12:13], off
.LBB104_15:                             ;   in Loop: Header=BB104_3 Depth=1
	s_or_b64 exec, exec, s[16:17]
	v_add_u32_e32 v46, s57, v34
	v_cmp_gt_i32_e64 s[14:15], s54, v46
	s_and_saveexec_b64 s[18:19], s[14:15]
	s_cbranch_execz .LBB104_17
; %bb.16:                               ;   in Loop: Header=BB104_3 Depth=1
	v_ashrrev_i32_e32 v47, 31, v46
	s_waitcnt vmcnt(0)
	v_lshlrev_b64 v[14:15], 3, v[46:47]
	v_mov_b32_e32 v35, s68
	v_add_co_u32_e64 v14, s[16:17], s67, v14
	v_addc_co_u32_e64 v15, s[16:17], v35, v15, s[16:17]
	global_load_dwordx2 v[14:15], v[14:15], off
.LBB104_17:                             ;   in Loop: Header=BB104_3 Depth=1
	s_or_b64 exec, exec, s[18:19]
	v_add_u32_e32 v48, s58, v34
	v_cmp_gt_i32_e64 s[16:17], s54, v48
	s_and_saveexec_b64 s[20:21], s[16:17]
	s_cbranch_execz .LBB104_19
; %bb.18:                               ;   in Loop: Header=BB104_3 Depth=1
	v_ashrrev_i32_e32 v49, 31, v48
	s_waitcnt vmcnt(0)
	v_lshlrev_b64 v[16:17], 3, v[48:49]
	v_mov_b32_e32 v35, s68
	v_add_co_u32_e64 v16, s[18:19], s67, v16
	v_addc_co_u32_e64 v17, s[18:19], v35, v17, s[18:19]
	global_load_dwordx2 v[16:17], v[16:17], off
.LBB104_19:                             ;   in Loop: Header=BB104_3 Depth=1
	s_or_b64 exec, exec, s[20:21]
	v_add_u32_e32 v50, s72, v34
	v_cmp_gt_i32_e64 s[18:19], s54, v50
	s_and_saveexec_b64 s[22:23], s[18:19]
	s_cbranch_execz .LBB104_21
; %bb.20:                               ;   in Loop: Header=BB104_3 Depth=1
	v_ashrrev_i32_e32 v51, 31, v50
	s_waitcnt vmcnt(0)
	v_lshlrev_b64 v[18:19], 3, v[50:51]
	v_mov_b32_e32 v35, s68
	v_add_co_u32_e64 v18, s[20:21], s67, v18
	v_addc_co_u32_e64 v19, s[20:21], v35, v19, s[20:21]
	global_load_dwordx2 v[18:19], v[18:19], off
.LBB104_21:                             ;   in Loop: Header=BB104_3 Depth=1
	s_or_b64 exec, exec, s[22:23]
	v_add_u32_e32 v52, s59, v34
	v_cmp_gt_i32_e64 s[20:21], s54, v52
	s_and_saveexec_b64 s[24:25], s[20:21]
	s_cbranch_execz .LBB104_23
; %bb.22:                               ;   in Loop: Header=BB104_3 Depth=1
	v_ashrrev_i32_e32 v53, 31, v52
	s_waitcnt vmcnt(0)
	v_lshlrev_b64 v[20:21], 3, v[52:53]
	v_mov_b32_e32 v35, s68
	v_add_co_u32_e64 v20, s[22:23], s67, v20
	v_addc_co_u32_e64 v21, s[22:23], v35, v21, s[22:23]
	global_load_dwordx2 v[20:21], v[20:21], off
.LBB104_23:                             ;   in Loop: Header=BB104_3 Depth=1
	s_or_b64 exec, exec, s[24:25]
	v_add_u32_e32 v54, s60, v34
	v_cmp_gt_i32_e64 s[22:23], s54, v54
	s_and_saveexec_b64 s[26:27], s[22:23]
	s_cbranch_execz .LBB104_25
; %bb.24:                               ;   in Loop: Header=BB104_3 Depth=1
	v_ashrrev_i32_e32 v55, 31, v54
	s_waitcnt vmcnt(0)
	v_lshlrev_b64 v[22:23], 3, v[54:55]
	v_mov_b32_e32 v35, s68
	v_add_co_u32_e64 v22, s[24:25], s67, v22
	v_addc_co_u32_e64 v23, s[24:25], v35, v23, s[24:25]
	global_load_dwordx2 v[22:23], v[22:23], off
.LBB104_25:                             ;   in Loop: Header=BB104_3 Depth=1
	s_or_b64 exec, exec, s[26:27]
	v_add_u32_e32 v56, s61, v34
	v_cmp_gt_i32_e64 s[24:25], s54, v56
	s_and_saveexec_b64 s[28:29], s[24:25]
	s_cbranch_execz .LBB104_27
; %bb.26:                               ;   in Loop: Header=BB104_3 Depth=1
	v_ashrrev_i32_e32 v57, 31, v56
	s_waitcnt vmcnt(0)
	v_lshlrev_b64 v[24:25], 3, v[56:57]
	v_mov_b32_e32 v35, s68
	v_add_co_u32_e64 v24, s[26:27], s67, v24
	v_addc_co_u32_e64 v25, s[26:27], v35, v25, s[26:27]
	global_load_dwordx2 v[24:25], v[24:25], off
.LBB104_27:                             ;   in Loop: Header=BB104_3 Depth=1
	s_or_b64 exec, exec, s[28:29]
	v_add_u32_e32 v58, s62, v34
	v_cmp_gt_i32_e64 s[26:27], s54, v58
	s_and_saveexec_b64 s[30:31], s[26:27]
	s_cbranch_execz .LBB104_29
; %bb.28:                               ;   in Loop: Header=BB104_3 Depth=1
	v_ashrrev_i32_e32 v59, 31, v58
	s_waitcnt vmcnt(0)
	v_lshlrev_b64 v[26:27], 3, v[58:59]
	v_mov_b32_e32 v35, s68
	v_add_co_u32_e64 v26, s[28:29], s67, v26
	v_addc_co_u32_e64 v27, s[28:29], v35, v27, s[28:29]
	global_load_dwordx2 v[26:27], v[26:27], off
.LBB104_29:                             ;   in Loop: Header=BB104_3 Depth=1
	s_or_b64 exec, exec, s[30:31]
	v_add_u32_e32 v60, s63, v34
	v_cmp_gt_i32_e64 s[28:29], s54, v60
	s_and_saveexec_b64 s[34:35], s[28:29]
	s_cbranch_execz .LBB104_31
; %bb.30:                               ;   in Loop: Header=BB104_3 Depth=1
	v_ashrrev_i32_e32 v61, 31, v60
	s_waitcnt vmcnt(0)
	v_lshlrev_b64 v[28:29], 3, v[60:61]
	v_mov_b32_e32 v35, s68
	v_add_co_u32_e64 v28, s[30:31], s67, v28
	v_addc_co_u32_e64 v29, s[30:31], v35, v29, s[30:31]
	global_load_dwordx2 v[28:29], v[28:29], off
.LBB104_31:                             ;   in Loop: Header=BB104_3 Depth=1
	s_or_b64 exec, exec, s[34:35]
	v_add_u32_e32 v62, s64, v34
	v_cmp_gt_i32_e64 s[30:31], s54, v62
	s_and_saveexec_b64 s[36:37], s[30:31]
	s_cbranch_execz .LBB104_33
; %bb.32:                               ;   in Loop: Header=BB104_3 Depth=1
	v_ashrrev_i32_e32 v63, 31, v62
	s_waitcnt vmcnt(0)
	v_lshlrev_b64 v[30:31], 3, v[62:63]
	v_mov_b32_e32 v35, s68
	v_add_co_u32_e64 v30, s[34:35], s67, v30
	v_addc_co_u32_e64 v31, s[34:35], v35, v31, s[34:35]
	global_load_dwordx2 v[30:31], v[30:31], off
.LBB104_33:                             ;   in Loop: Header=BB104_3 Depth=1
	s_or_b64 exec, exec, s[36:37]
	v_add_u32_e32 v64, s65, v34
	v_cmp_gt_i32_e64 s[34:35], s54, v64
	s_and_saveexec_b64 s[50:51], s[34:35]
	s_cbranch_execnz .LBB104_50
; %bb.34:                               ;   in Loop: Header=BB104_3 Depth=1
	s_or_b64 exec, exec, s[50:51]
	s_and_saveexec_b64 s[50:51], vcc
	s_cbranch_execnz .LBB104_51
.LBB104_35:                             ;   in Loop: Header=BB104_3 Depth=1
	s_or_b64 exec, exec, s[50:51]
	s_and_saveexec_b64 s[36:37], s[0:1]
	s_cbranch_execnz .LBB104_52
.LBB104_36:                             ;   in Loop: Header=BB104_3 Depth=1
	s_or_b64 exec, exec, s[36:37]
	s_and_saveexec_b64 s[36:37], s[2:3]
	s_cbranch_execnz .LBB104_53
.LBB104_37:                             ;   in Loop: Header=BB104_3 Depth=1
	s_or_b64 exec, exec, s[36:37]
	s_and_saveexec_b64 s[2:3], s[8:9]
	s_cbranch_execnz .LBB104_54
.LBB104_38:                             ;   in Loop: Header=BB104_3 Depth=1
	s_or_b64 exec, exec, s[2:3]
	s_and_saveexec_b64 s[2:3], s[10:11]
	s_cbranch_execnz .LBB104_55
.LBB104_39:                             ;   in Loop: Header=BB104_3 Depth=1
	s_or_b64 exec, exec, s[2:3]
	s_and_saveexec_b64 s[2:3], s[12:13]
	s_cbranch_execnz .LBB104_56
.LBB104_40:                             ;   in Loop: Header=BB104_3 Depth=1
	s_or_b64 exec, exec, s[2:3]
	s_and_saveexec_b64 s[2:3], s[14:15]
	s_cbranch_execnz .LBB104_57
.LBB104_41:                             ;   in Loop: Header=BB104_3 Depth=1
	s_or_b64 exec, exec, s[2:3]
	s_and_saveexec_b64 s[2:3], s[16:17]
	s_cbranch_execnz .LBB104_58
.LBB104_42:                             ;   in Loop: Header=BB104_3 Depth=1
	s_or_b64 exec, exec, s[2:3]
	s_and_saveexec_b64 s[2:3], s[18:19]
	s_cbranch_execnz .LBB104_59
.LBB104_43:                             ;   in Loop: Header=BB104_3 Depth=1
	s_or_b64 exec, exec, s[2:3]
	s_and_saveexec_b64 s[2:3], s[20:21]
	s_cbranch_execnz .LBB104_60
.LBB104_44:                             ;   in Loop: Header=BB104_3 Depth=1
	s_or_b64 exec, exec, s[2:3]
	s_and_saveexec_b64 s[2:3], s[22:23]
	s_cbranch_execnz .LBB104_61
.LBB104_45:                             ;   in Loop: Header=BB104_3 Depth=1
	s_or_b64 exec, exec, s[2:3]
	s_and_saveexec_b64 s[2:3], s[24:25]
	s_cbranch_execnz .LBB104_62
.LBB104_46:                             ;   in Loop: Header=BB104_3 Depth=1
	s_or_b64 exec, exec, s[2:3]
	s_and_saveexec_b64 s[2:3], s[26:27]
	s_cbranch_execnz .LBB104_63
.LBB104_47:                             ;   in Loop: Header=BB104_3 Depth=1
	s_or_b64 exec, exec, s[2:3]
	s_and_saveexec_b64 s[2:3], s[28:29]
	s_cbranch_execnz .LBB104_64
.LBB104_48:                             ;   in Loop: Header=BB104_3 Depth=1
	s_or_b64 exec, exec, s[2:3]
	s_and_saveexec_b64 s[2:3], s[30:31]
	s_cbranch_execnz .LBB104_65
.LBB104_49:                             ;   in Loop: Header=BB104_3 Depth=1
	s_or_b64 exec, exec, s[2:3]
	s_and_saveexec_b64 s[2:3], s[34:35]
	s_cbranch_execz .LBB104_2
	s_branch .LBB104_66
.LBB104_50:                             ;   in Loop: Header=BB104_3 Depth=1
	v_ashrrev_i32_e32 v65, 31, v64
	s_waitcnt vmcnt(0)
	v_lshlrev_b64 v[32:33], 3, v[64:65]
	v_mov_b32_e32 v35, s68
	v_add_co_u32_e64 v32, s[36:37], s67, v32
	v_addc_co_u32_e64 v33, s[36:37], v35, v33, s[36:37]
	global_load_dwordx2 v[32:33], v[32:33], off
	s_or_b64 exec, exec, s[50:51]
	s_and_saveexec_b64 s[50:51], vcc
	s_cbranch_execz .LBB104_35
.LBB104_51:                             ;   in Loop: Header=BB104_3 Depth=1
	s_waitcnt vmcnt(0)
	v_cmp_u_f64_e32 vcc, v[2:3], v[2:3]
	v_addc_co_u32_e32 v1, vcc, 0, v1, vcc
	s_waitcnt lgkmcnt(0)
	v_cmp_gt_f64_e32 vcc, s[46:47], v[2:3]
	v_addc_co_u32_e32 v66, vcc, 0, v66, vcc
	v_cmp_eq_f64_e32 vcc, s[46:47], v[2:3]
	v_cmp_gt_i32_e64 s[36:37], s6, v34
	s_and_b64 vcc, vcc, s[36:37]
	v_addc_co_u32_e32 v67, vcc, 0, v67, vcc
	s_or_b64 exec, exec, s[50:51]
	s_and_saveexec_b64 s[36:37], s[0:1]
	s_cbranch_execz .LBB104_36
.LBB104_52:                             ;   in Loop: Header=BB104_3 Depth=1
	s_waitcnt vmcnt(0)
	v_cmp_u_f64_e32 vcc, v[4:5], v[4:5]
	v_addc_co_u32_e32 v1, vcc, 0, v1, vcc
	s_waitcnt lgkmcnt(0)
	v_cmp_gt_f64_e32 vcc, s[46:47], v[4:5]
	v_addc_co_u32_e32 v66, vcc, 0, v66, vcc
	v_cmp_eq_f64_e32 vcc, s[46:47], v[4:5]
	v_cmp_gt_i32_e64 s[0:1], s6, v36
	s_and_b64 vcc, vcc, s[0:1]
	v_addc_co_u32_e32 v67, vcc, 0, v67, vcc
	s_or_b64 exec, exec, s[36:37]
	s_and_saveexec_b64 s[36:37], s[2:3]
	s_cbranch_execz .LBB104_37
.LBB104_53:                             ;   in Loop: Header=BB104_3 Depth=1
	s_waitcnt vmcnt(0)
	v_cmp_u_f64_e32 vcc, v[6:7], v[6:7]
	v_addc_co_u32_e32 v1, vcc, 0, v1, vcc
	s_waitcnt lgkmcnt(0)
	v_cmp_gt_f64_e32 vcc, s[46:47], v[6:7]
	v_addc_co_u32_e32 v66, vcc, 0, v66, vcc
	v_cmp_eq_f64_e32 vcc, s[46:47], v[6:7]
	v_cmp_gt_i32_e64 s[0:1], s6, v38
	s_and_b64 vcc, vcc, s[0:1]
	v_addc_co_u32_e32 v67, vcc, 0, v67, vcc
	s_or_b64 exec, exec, s[36:37]
	s_and_saveexec_b64 s[2:3], s[8:9]
	s_cbranch_execz .LBB104_38
.LBB104_54:                             ;   in Loop: Header=BB104_3 Depth=1
	s_waitcnt vmcnt(0)
	v_cmp_u_f64_e32 vcc, v[8:9], v[8:9]
	v_addc_co_u32_e32 v1, vcc, 0, v1, vcc
	s_waitcnt lgkmcnt(0)
	v_cmp_gt_f64_e32 vcc, s[46:47], v[8:9]
	v_addc_co_u32_e32 v66, vcc, 0, v66, vcc
	v_cmp_eq_f64_e32 vcc, s[46:47], v[8:9]
	v_cmp_gt_i32_e64 s[0:1], s6, v40
	s_and_b64 vcc, vcc, s[0:1]
	v_addc_co_u32_e32 v67, vcc, 0, v67, vcc
	s_or_b64 exec, exec, s[2:3]
	s_and_saveexec_b64 s[2:3], s[10:11]
	s_cbranch_execz .LBB104_39
.LBB104_55:                             ;   in Loop: Header=BB104_3 Depth=1
	s_waitcnt vmcnt(0)
	v_cmp_u_f64_e32 vcc, v[10:11], v[10:11]
	v_addc_co_u32_e32 v1, vcc, 0, v1, vcc
	s_waitcnt lgkmcnt(0)
	v_cmp_gt_f64_e32 vcc, s[46:47], v[10:11]
	v_addc_co_u32_e32 v66, vcc, 0, v66, vcc
	v_cmp_eq_f64_e32 vcc, s[46:47], v[10:11]
	v_cmp_gt_i32_e64 s[0:1], s6, v42
	s_and_b64 vcc, vcc, s[0:1]
	v_addc_co_u32_e32 v67, vcc, 0, v67, vcc
	s_or_b64 exec, exec, s[2:3]
	s_and_saveexec_b64 s[2:3], s[12:13]
	s_cbranch_execz .LBB104_40
.LBB104_56:                             ;   in Loop: Header=BB104_3 Depth=1
	s_waitcnt vmcnt(0)
	v_cmp_u_f64_e32 vcc, v[12:13], v[12:13]
	v_addc_co_u32_e32 v1, vcc, 0, v1, vcc
	s_waitcnt lgkmcnt(0)
	v_cmp_gt_f64_e32 vcc, s[46:47], v[12:13]
	v_addc_co_u32_e32 v66, vcc, 0, v66, vcc
	v_cmp_eq_f64_e32 vcc, s[46:47], v[12:13]
	v_cmp_gt_i32_e64 s[0:1], s6, v44
	s_and_b64 vcc, vcc, s[0:1]
	v_addc_co_u32_e32 v67, vcc, 0, v67, vcc
	s_or_b64 exec, exec, s[2:3]
	s_and_saveexec_b64 s[2:3], s[14:15]
	s_cbranch_execz .LBB104_41
.LBB104_57:                             ;   in Loop: Header=BB104_3 Depth=1
	s_waitcnt vmcnt(0)
	v_cmp_u_f64_e32 vcc, v[14:15], v[14:15]
	v_addc_co_u32_e32 v1, vcc, 0, v1, vcc
	s_waitcnt lgkmcnt(0)
	v_cmp_gt_f64_e32 vcc, s[46:47], v[14:15]
	v_addc_co_u32_e32 v66, vcc, 0, v66, vcc
	v_cmp_eq_f64_e32 vcc, s[46:47], v[14:15]
	v_cmp_gt_i32_e64 s[0:1], s6, v46
	s_and_b64 vcc, vcc, s[0:1]
	v_addc_co_u32_e32 v67, vcc, 0, v67, vcc
	s_or_b64 exec, exec, s[2:3]
	s_and_saveexec_b64 s[2:3], s[16:17]
	s_cbranch_execz .LBB104_42
.LBB104_58:                             ;   in Loop: Header=BB104_3 Depth=1
	s_waitcnt vmcnt(0)
	v_cmp_u_f64_e32 vcc, v[16:17], v[16:17]
	v_addc_co_u32_e32 v1, vcc, 0, v1, vcc
	s_waitcnt lgkmcnt(0)
	v_cmp_gt_f64_e32 vcc, s[46:47], v[16:17]
	v_addc_co_u32_e32 v66, vcc, 0, v66, vcc
	v_cmp_eq_f64_e32 vcc, s[46:47], v[16:17]
	v_cmp_gt_i32_e64 s[0:1], s6, v48
	s_and_b64 vcc, vcc, s[0:1]
	v_addc_co_u32_e32 v67, vcc, 0, v67, vcc
	s_or_b64 exec, exec, s[2:3]
	s_and_saveexec_b64 s[2:3], s[18:19]
	s_cbranch_execz .LBB104_43
.LBB104_59:                             ;   in Loop: Header=BB104_3 Depth=1
	s_waitcnt vmcnt(0)
	v_cmp_u_f64_e32 vcc, v[18:19], v[18:19]
	v_addc_co_u32_e32 v1, vcc, 0, v1, vcc
	s_waitcnt lgkmcnt(0)
	v_cmp_gt_f64_e32 vcc, s[46:47], v[18:19]
	v_addc_co_u32_e32 v66, vcc, 0, v66, vcc
	v_cmp_eq_f64_e32 vcc, s[46:47], v[18:19]
	v_cmp_gt_i32_e64 s[0:1], s6, v50
	s_and_b64 vcc, vcc, s[0:1]
	v_addc_co_u32_e32 v67, vcc, 0, v67, vcc
	s_or_b64 exec, exec, s[2:3]
	s_and_saveexec_b64 s[2:3], s[20:21]
	s_cbranch_execz .LBB104_44
.LBB104_60:                             ;   in Loop: Header=BB104_3 Depth=1
	s_waitcnt vmcnt(0)
	v_cmp_u_f64_e32 vcc, v[20:21], v[20:21]
	v_addc_co_u32_e32 v1, vcc, 0, v1, vcc
	s_waitcnt lgkmcnt(0)
	v_cmp_gt_f64_e32 vcc, s[46:47], v[20:21]
	v_addc_co_u32_e32 v66, vcc, 0, v66, vcc
	v_cmp_eq_f64_e32 vcc, s[46:47], v[20:21]
	v_cmp_gt_i32_e64 s[0:1], s6, v52
	s_and_b64 vcc, vcc, s[0:1]
	v_addc_co_u32_e32 v67, vcc, 0, v67, vcc
	s_or_b64 exec, exec, s[2:3]
	s_and_saveexec_b64 s[2:3], s[22:23]
	s_cbranch_execz .LBB104_45
.LBB104_61:                             ;   in Loop: Header=BB104_3 Depth=1
	s_waitcnt vmcnt(0)
	v_cmp_u_f64_e32 vcc, v[22:23], v[22:23]
	v_addc_co_u32_e32 v1, vcc, 0, v1, vcc
	s_waitcnt lgkmcnt(0)
	v_cmp_gt_f64_e32 vcc, s[46:47], v[22:23]
	v_addc_co_u32_e32 v66, vcc, 0, v66, vcc
	v_cmp_eq_f64_e32 vcc, s[46:47], v[22:23]
	v_cmp_gt_i32_e64 s[0:1], s6, v54
	s_and_b64 vcc, vcc, s[0:1]
	v_addc_co_u32_e32 v67, vcc, 0, v67, vcc
	s_or_b64 exec, exec, s[2:3]
	s_and_saveexec_b64 s[2:3], s[24:25]
	s_cbranch_execz .LBB104_46
.LBB104_62:                             ;   in Loop: Header=BB104_3 Depth=1
	s_waitcnt vmcnt(0)
	v_cmp_u_f64_e32 vcc, v[24:25], v[24:25]
	v_addc_co_u32_e32 v1, vcc, 0, v1, vcc
	s_waitcnt lgkmcnt(0)
	v_cmp_gt_f64_e32 vcc, s[46:47], v[24:25]
	v_addc_co_u32_e32 v66, vcc, 0, v66, vcc
	v_cmp_eq_f64_e32 vcc, s[46:47], v[24:25]
	v_cmp_gt_i32_e64 s[0:1], s6, v56
	s_and_b64 vcc, vcc, s[0:1]
	v_addc_co_u32_e32 v67, vcc, 0, v67, vcc
	s_or_b64 exec, exec, s[2:3]
	s_and_saveexec_b64 s[2:3], s[26:27]
	s_cbranch_execz .LBB104_47
.LBB104_63:                             ;   in Loop: Header=BB104_3 Depth=1
	s_waitcnt vmcnt(0)
	v_cmp_u_f64_e32 vcc, v[26:27], v[26:27]
	v_addc_co_u32_e32 v1, vcc, 0, v1, vcc
	s_waitcnt lgkmcnt(0)
	v_cmp_gt_f64_e32 vcc, s[46:47], v[26:27]
	v_addc_co_u32_e32 v66, vcc, 0, v66, vcc
	v_cmp_eq_f64_e32 vcc, s[46:47], v[26:27]
	v_cmp_gt_i32_e64 s[0:1], s6, v58
	s_and_b64 vcc, vcc, s[0:1]
	v_addc_co_u32_e32 v67, vcc, 0, v67, vcc
	s_or_b64 exec, exec, s[2:3]
	s_and_saveexec_b64 s[2:3], s[28:29]
	s_cbranch_execz .LBB104_48
.LBB104_64:                             ;   in Loop: Header=BB104_3 Depth=1
	s_waitcnt vmcnt(0)
	v_cmp_u_f64_e32 vcc, v[28:29], v[28:29]
	v_addc_co_u32_e32 v1, vcc, 0, v1, vcc
	s_waitcnt lgkmcnt(0)
	v_cmp_gt_f64_e32 vcc, s[46:47], v[28:29]
	v_addc_co_u32_e32 v66, vcc, 0, v66, vcc
	v_cmp_eq_f64_e32 vcc, s[46:47], v[28:29]
	v_cmp_gt_i32_e64 s[0:1], s6, v60
	s_and_b64 vcc, vcc, s[0:1]
	v_addc_co_u32_e32 v67, vcc, 0, v67, vcc
	s_or_b64 exec, exec, s[2:3]
	s_and_saveexec_b64 s[2:3], s[30:31]
	s_cbranch_execz .LBB104_49
.LBB104_65:                             ;   in Loop: Header=BB104_3 Depth=1
	s_waitcnt vmcnt(0)
	v_cmp_u_f64_e32 vcc, v[30:31], v[30:31]
	v_addc_co_u32_e32 v1, vcc, 0, v1, vcc
	s_waitcnt lgkmcnt(0)
	v_cmp_gt_f64_e32 vcc, s[46:47], v[30:31]
	v_addc_co_u32_e32 v66, vcc, 0, v66, vcc
	v_cmp_eq_f64_e32 vcc, s[46:47], v[30:31]
	v_cmp_gt_i32_e64 s[0:1], s6, v62
	s_and_b64 vcc, vcc, s[0:1]
	v_addc_co_u32_e32 v67, vcc, 0, v67, vcc
	s_or_b64 exec, exec, s[2:3]
	s_and_saveexec_b64 s[2:3], s[34:35]
	s_cbranch_execz .LBB104_2
.LBB104_66:                             ;   in Loop: Header=BB104_3 Depth=1
	s_waitcnt vmcnt(0)
	v_cmp_u_f64_e32 vcc, v[32:33], v[32:33]
	v_addc_co_u32_e32 v1, vcc, 0, v1, vcc
	s_waitcnt lgkmcnt(0)
	v_cmp_gt_f64_e32 vcc, s[46:47], v[32:33]
	v_addc_co_u32_e32 v66, vcc, 0, v66, vcc
	v_cmp_eq_f64_e32 vcc, s[46:47], v[32:33]
	v_cmp_gt_i32_e64 s[0:1], s6, v64
	s_and_b64 vcc, vcc, s[0:1]
	v_addc_co_u32_e32 v67, vcc, 0, v67, vcc
	s_branch .LBB104_2
.LBB104_67:
	s_mov_b64 s[0:1], -1
                                        ; implicit-def: $vgpr2_vgpr3_vgpr4_vgpr5_vgpr6_vgpr7_vgpr8_vgpr9_vgpr10_vgpr11_vgpr12_vgpr13_vgpr14_vgpr15_vgpr16_vgpr17_vgpr18_vgpr19_vgpr20_vgpr21_vgpr22_vgpr23_vgpr24_vgpr25_vgpr26_vgpr27_vgpr28_vgpr29_vgpr30_vgpr31_vgpr32_vgpr33
	v_lshlrev_b32_e32 v1, 2, v0
	s_cmp_lt_u32 s52, 2
	ds_write_b32 v1, v34
	s_cbranch_scc0 .LBB104_69
	s_branch .LBB104_73
.LBB104_68:
	v_add_u32_e32 v34, v66, v67
	v_cmp_eq_u32_e64 s[0:1], 0, v1
	v_lshlrev_b32_e32 v1, 2, v0
	s_cmp_lt_u32 s52, 2
	ds_write_b32 v1, v34
	s_cbranch_scc1 .LBB104_73
.LBB104_69:
	s_mov_b32 s8, s52
	s_branch .LBB104_71
.LBB104_70:                             ;   in Loop: Header=BB104_71 Depth=1
	s_or_b64 exec, exec, s[2:3]
	s_cmp_lt_u32 s8, 4
	s_mov_b32 s8, s9
	s_cbranch_scc1 .LBB104_73
.LBB104_71:                             ; =>This Inner Loop Header: Depth=1
	s_lshr_b32 s9, s8, 1
	v_cmp_gt_u32_e32 vcc, s9, v0
	s_waitcnt lgkmcnt(0)
	s_barrier
	s_and_saveexec_b64 s[2:3], vcc
	s_cbranch_execz .LBB104_70
; %bb.72:                               ;   in Loop: Header=BB104_71 Depth=1
	v_lshl_add_u32 v35, s9, 2, v1
	ds_read_b32 v35, v35
	s_waitcnt lgkmcnt(0)
	v_add_u32_e32 v34, v35, v34
	ds_write_b32 v1, v34
	s_branch .LBB104_70
.LBB104_73:
	v_mov_b32_e32 v1, 0
	s_xor_b64 s[2:3], s[0:1], -1
	s_mul_i32 s0, s33, s43
	s_mul_hi_u32 s1, s33, s42
	s_waitcnt lgkmcnt(0)
	s_barrier
	ds_read_b32 v34, v1
	s_add_i32 s0, s1, s0
	s_mul_i32 s1, s66, s42
	s_add_i32 s1, s0, s1
	s_mul_i32 s0, s33, s42
	s_lshl_b64 s[0:1], s[0:1], 3
	s_add_u32 s10, s40, s0
	s_addc_u32 s11, s41, s1
	s_waitcnt lgkmcnt(0)
	v_readfirstlane_b32 s0, v34
	v_cmp_eq_u32_e32 vcc, 0, v0
	s_and_saveexec_b64 s[8:9], vcc
	s_cbranch_execnz .LBB104_76
; %bb.74:
	s_or_b64 exec, exec, s[8:9]
	s_and_saveexec_b64 s[8:9], s[2:3]
	s_cbranch_execnz .LBB104_77
.LBB104_75:
	s_or_b64 exec, exec, s[8:9]
	s_andn2_b64 vcc, exec, s[48:49]
	s_cbranch_vccz .LBB104_78
	s_branch .LBB104_144
.LBB104_76:
	s_ashr_i32 s1, s0, 31
	s_lshl_b64 s[12:13], s[0:1], 3
	s_add_u32 s12, s10, s12
	s_addc_u32 s13, s11, s13
	v_pk_mov_b32 v[34:35], s[46:47], s[46:47] op_sel:[0,1]
	global_store_dwordx2 v1, v[34:35], s[12:13]
	s_or_b64 exec, exec, s[8:9]
	s_and_saveexec_b64 s[8:9], s[2:3]
	s_cbranch_execz .LBB104_75
.LBB104_77:
	s_add_u32 s2, s10, s44
	s_addc_u32 s3, s11, s45
	v_mov_b32_e32 v34, 0
	v_mov_b32_e32 v35, 0x7ff80000
	global_store_dwordx2 v34, v[34:35], s[2:3]
	s_or_b64 exec, exec, s[8:9]
	s_andn2_b64 vcc, exec, s[48:49]
	s_cbranch_vccnz .LBB104_144
.LBB104_78:
	s_load_dwordx2 s[2:3], s[4:5], 0x30
	s_load_dwordx8 s[8:15], s[4:5], 0x38
	s_waitcnt lgkmcnt(0)
	s_ashr_i32 s5, s2, 31
	s_mov_b32 s4, s2
	s_mul_i32 s1, s33, s9
	s_mul_hi_u32 s2, s33, s8
	s_add_i32 s1, s2, s1
	s_mul_i32 s2, s66, s8
	s_add_i32 s9, s1, s2
	s_mul_i32 s8, s33, s8
	s_lshl_b64 s[8:9], s[8:9], 3
	s_add_u32 s1, s38, s8
	s_addc_u32 s2, s39, s9
	s_lshl_b64 s[4:5], s[4:5], 3
	s_add_u32 s1, s1, s4
	s_addc_u32 s16, s2, s5
	s_mul_i32 s2, s33, s15
	s_mul_hi_u32 s8, s33, s14
	s_add_i32 s2, s8, s2
	s_mul_i32 s8, s66, s14
	s_add_i32 s9, s2, s8
	s_mul_i32 s8, s33, s14
	s_ashr_i32 s5, s12, 31
	s_lshl_b64 s[8:9], s[8:9], 3
	s_mov_b32 s4, s12
	s_add_u32 s2, s10, s8
	s_addc_u32 s8, s11, s9
	s_lshl_b64 s[4:5], s[4:5], 3
	s_add_u32 s4, s2, s4
	s_mul_i32 s2, s6, s3
	s_addc_u32 s5, s8, s5
	s_ashr_i32 s3, s2, 31
	s_lshl_b64 s[2:3], s[2:3], 3
	s_add_u32 s33, s1, s2
	s_mul_i32 s0, s0, s13
	s_addc_u32 s36, s16, s3
	s_ashr_i32 s1, s0, 31
	s_lshl_b64 s[0:1], s[0:1], 3
	s_add_u32 s37, s4, s0
	s_addc_u32 s38, s5, s1
	s_add_i32 s39, s7, 1
	s_lshl_b32 s40, s52, 1
	s_lshl_b32 s41, s52, 2
	;; [unrolled: 1-line block ×3, first 2 shown]
	s_branch .LBB104_80
.LBB104_79:                             ;   in Loop: Header=BB104_80 Depth=1
	s_or_b64 exec, exec, s[0:1]
	s_add_i32 s39, s39, -1
	s_cmp_eq_u32 s39, 0
	v_add_u32_e32 v0, s53, v0
	s_cbranch_scc1 .LBB104_144
.LBB104_80:                             ; =>This Inner Loop Header: Depth=1
	v_cmp_gt_i32_e32 vcc, s54, v0
	v_ashrrev_i32_e32 v1, 31, v0
	s_and_saveexec_b64 s[2:3], vcc
	s_cbranch_execz .LBB104_82
; %bb.81:                               ;   in Loop: Header=BB104_80 Depth=1
	s_waitcnt vmcnt(0)
	v_lshlrev_b64 v[2:3], 3, v[0:1]
	v_mov_b32_e32 v34, s36
	v_add_co_u32_e64 v2, s[0:1], s33, v2
	v_addc_co_u32_e64 v3, s[0:1], v34, v3, s[0:1]
	global_load_dwordx2 v[2:3], v[2:3], off
.LBB104_82:                             ;   in Loop: Header=BB104_80 Depth=1
	s_or_b64 exec, exec, s[2:3]
	v_add_u32_e32 v34, s52, v0
	v_cmp_gt_i32_e64 s[0:1], s54, v34
	v_ashrrev_i32_e32 v35, 31, v34
	s_and_saveexec_b64 s[4:5], s[0:1]
	s_cbranch_execz .LBB104_84
; %bb.83:                               ;   in Loop: Header=BB104_80 Depth=1
	s_waitcnt vmcnt(0)
	v_lshlrev_b64 v[4:5], 3, v[34:35]
	v_mov_b32_e32 v36, s36
	v_add_co_u32_e64 v4, s[2:3], s33, v4
	v_addc_co_u32_e64 v5, s[2:3], v36, v5, s[2:3]
	global_load_dwordx2 v[4:5], v[4:5], off
.LBB104_84:                             ;   in Loop: Header=BB104_80 Depth=1
	s_or_b64 exec, exec, s[4:5]
	v_add_u32_e32 v36, s40, v0
	v_add_u32_e32 v39, s52, v34
	v_cmp_gt_i32_e64 s[2:3], s54, v39
	v_ashrrev_i32_e32 v37, 31, v36
	s_and_saveexec_b64 s[6:7], s[2:3]
	s_cbranch_execz .LBB104_86
; %bb.85:                               ;   in Loop: Header=BB104_80 Depth=1
	s_waitcnt vmcnt(0)
	v_lshlrev_b64 v[6:7], 3, v[36:37]
	v_mov_b32_e32 v38, s36
	v_add_co_u32_e64 v6, s[4:5], s33, v6
	v_addc_co_u32_e64 v7, s[4:5], v38, v7, s[4:5]
	global_load_dwordx2 v[6:7], v[6:7], off
.LBB104_86:                             ;   in Loop: Header=BB104_80 Depth=1
	s_or_b64 exec, exec, s[6:7]
	v_add_u32_e32 v38, s55, v0
	;; [unrolled: 15-line block ×8, first 2 shown]
	v_add_u32_e32 v53, s52, v51
	v_cmp_gt_i32_e64 s[16:17], s54, v53
	v_ashrrev_i32_e32 v51, 31, v50
	s_and_saveexec_b64 s[20:21], s[16:17]
	s_cbranch_execz .LBB104_100
; %bb.99:                               ;   in Loop: Header=BB104_80 Depth=1
	s_waitcnt vmcnt(0)
	v_lshlrev_b64 v[20:21], 3, v[50:51]
	v_mov_b32_e32 v52, s36
	v_add_co_u32_e64 v20, s[18:19], s33, v20
	v_addc_co_u32_e64 v21, s[18:19], v52, v21, s[18:19]
	global_load_dwordx2 v[20:21], v[20:21], off
.LBB104_100:                            ;   in Loop: Header=BB104_80 Depth=1
	s_or_b64 exec, exec, s[20:21]
	v_add_u32_e32 v52, s60, v0
	v_add_u32_e32 v55, s52, v53
	v_cmp_gt_i32_e64 s[18:19], s54, v55
	v_ashrrev_i32_e32 v53, 31, v52
	s_and_saveexec_b64 s[22:23], s[18:19]
	s_cbranch_execz .LBB104_102
; %bb.101:                              ;   in Loop: Header=BB104_80 Depth=1
	s_waitcnt vmcnt(0)
	v_lshlrev_b64 v[22:23], 3, v[52:53]
	v_mov_b32_e32 v54, s36
	v_add_co_u32_e64 v22, s[20:21], s33, v22
	v_addc_co_u32_e64 v23, s[20:21], v54, v23, s[20:21]
	global_load_dwordx2 v[22:23], v[22:23], off
.LBB104_102:                            ;   in Loop: Header=BB104_80 Depth=1
	s_or_b64 exec, exec, s[22:23]
	v_add_u32_e32 v54, s61, v0
	v_add_u32_e32 v57, s52, v55
	v_cmp_gt_i32_e64 s[20:21], s54, v57
	v_ashrrev_i32_e32 v55, 31, v54
	s_and_saveexec_b64 s[24:25], s[20:21]
	s_cbranch_execz .LBB104_104
; %bb.103:                              ;   in Loop: Header=BB104_80 Depth=1
	s_waitcnt vmcnt(0)
	v_lshlrev_b64 v[24:25], 3, v[54:55]
	v_mov_b32_e32 v56, s36
	v_add_co_u32_e64 v24, s[22:23], s33, v24
	v_addc_co_u32_e64 v25, s[22:23], v56, v25, s[22:23]
	global_load_dwordx2 v[24:25], v[24:25], off
.LBB104_104:                            ;   in Loop: Header=BB104_80 Depth=1
	;; [unrolled: 15-line block ×5, first 2 shown]
	s_or_b64 exec, exec, s[30:31]
	v_add_u32_e32 v62, s65, v0
	v_add_u32_e32 v63, s52, v63
	v_cmp_gt_i32_e64 s[28:29], s54, v63
	v_ashrrev_i32_e32 v63, 31, v62
	s_and_saveexec_b64 s[34:35], s[28:29]
	s_cbranch_execnz .LBB104_127
; %bb.111:                              ;   in Loop: Header=BB104_80 Depth=1
	s_or_b64 exec, exec, s[34:35]
	s_and_saveexec_b64 s[30:31], vcc
	s_cbranch_execnz .LBB104_128
.LBB104_112:                            ;   in Loop: Header=BB104_80 Depth=1
	s_or_b64 exec, exec, s[30:31]
	s_and_saveexec_b64 s[30:31], s[0:1]
	s_cbranch_execnz .LBB104_129
.LBB104_113:                            ;   in Loop: Header=BB104_80 Depth=1
	s_or_b64 exec, exec, s[30:31]
	s_and_saveexec_b64 s[0:1], s[2:3]
	s_cbranch_execnz .LBB104_130
.LBB104_114:                            ;   in Loop: Header=BB104_80 Depth=1
	s_or_b64 exec, exec, s[0:1]
	s_and_saveexec_b64 s[0:1], s[4:5]
	s_cbranch_execnz .LBB104_131
.LBB104_115:                            ;   in Loop: Header=BB104_80 Depth=1
	s_or_b64 exec, exec, s[0:1]
	s_and_saveexec_b64 s[0:1], s[6:7]
	s_cbranch_execnz .LBB104_132
.LBB104_116:                            ;   in Loop: Header=BB104_80 Depth=1
	s_or_b64 exec, exec, s[0:1]
	s_and_saveexec_b64 s[0:1], s[8:9]
	s_cbranch_execnz .LBB104_133
.LBB104_117:                            ;   in Loop: Header=BB104_80 Depth=1
	s_or_b64 exec, exec, s[0:1]
	s_and_saveexec_b64 s[0:1], s[10:11]
	s_cbranch_execnz .LBB104_134
.LBB104_118:                            ;   in Loop: Header=BB104_80 Depth=1
	s_or_b64 exec, exec, s[0:1]
	s_and_saveexec_b64 s[0:1], s[12:13]
	s_cbranch_execnz .LBB104_135
.LBB104_119:                            ;   in Loop: Header=BB104_80 Depth=1
	s_or_b64 exec, exec, s[0:1]
	s_and_saveexec_b64 s[0:1], s[14:15]
	s_cbranch_execnz .LBB104_136
.LBB104_120:                            ;   in Loop: Header=BB104_80 Depth=1
	s_or_b64 exec, exec, s[0:1]
	s_and_saveexec_b64 s[0:1], s[16:17]
	s_cbranch_execnz .LBB104_137
.LBB104_121:                            ;   in Loop: Header=BB104_80 Depth=1
	s_or_b64 exec, exec, s[0:1]
	s_and_saveexec_b64 s[0:1], s[18:19]
	s_cbranch_execnz .LBB104_138
.LBB104_122:                            ;   in Loop: Header=BB104_80 Depth=1
	s_or_b64 exec, exec, s[0:1]
	s_and_saveexec_b64 s[0:1], s[20:21]
	s_cbranch_execnz .LBB104_139
.LBB104_123:                            ;   in Loop: Header=BB104_80 Depth=1
	s_or_b64 exec, exec, s[0:1]
	s_and_saveexec_b64 s[0:1], s[22:23]
	s_cbranch_execnz .LBB104_140
.LBB104_124:                            ;   in Loop: Header=BB104_80 Depth=1
	s_or_b64 exec, exec, s[0:1]
	s_and_saveexec_b64 s[0:1], s[24:25]
	s_cbranch_execnz .LBB104_141
.LBB104_125:                            ;   in Loop: Header=BB104_80 Depth=1
	s_or_b64 exec, exec, s[0:1]
	s_and_saveexec_b64 s[0:1], s[26:27]
	s_cbranch_execnz .LBB104_142
.LBB104_126:                            ;   in Loop: Header=BB104_80 Depth=1
	s_or_b64 exec, exec, s[0:1]
	s_and_saveexec_b64 s[0:1], s[28:29]
	s_cbranch_execz .LBB104_79
	s_branch .LBB104_143
.LBB104_127:                            ;   in Loop: Header=BB104_80 Depth=1
	s_waitcnt vmcnt(0)
	v_lshlrev_b64 v[32:33], 3, v[62:63]
	v_mov_b32_e32 v64, s36
	v_add_co_u32_e64 v32, s[30:31], s33, v32
	v_addc_co_u32_e64 v33, s[30:31], v64, v33, s[30:31]
	global_load_dwordx2 v[32:33], v[32:33], off
	s_or_b64 exec, exec, s[34:35]
	s_and_saveexec_b64 s[30:31], vcc
	s_cbranch_execz .LBB104_112
.LBB104_128:                            ;   in Loop: Header=BB104_80 Depth=1
	v_lshlrev_b64 v[64:65], 3, v[0:1]
	v_mov_b32_e32 v1, s38
	v_add_co_u32_e32 v64, vcc, s37, v64
	v_addc_co_u32_e32 v65, vcc, v1, v65, vcc
	s_waitcnt vmcnt(0)
	global_store_dwordx2 v[64:65], v[2:3], off
	s_or_b64 exec, exec, s[30:31]
	s_and_saveexec_b64 s[30:31], s[0:1]
	s_cbranch_execz .LBB104_113
.LBB104_129:                            ;   in Loop: Header=BB104_80 Depth=1
	v_lshlrev_b64 v[34:35], 3, v[34:35]
	v_mov_b32_e32 v1, s38
	v_add_co_u32_e32 v34, vcc, s37, v34
	v_addc_co_u32_e32 v35, vcc, v1, v35, vcc
	s_waitcnt vmcnt(0)
	global_store_dwordx2 v[34:35], v[4:5], off
	s_or_b64 exec, exec, s[30:31]
	s_and_saveexec_b64 s[0:1], s[2:3]
	s_cbranch_execz .LBB104_114
.LBB104_130:                            ;   in Loop: Header=BB104_80 Depth=1
	v_lshlrev_b64 v[34:35], 3, v[36:37]
	v_mov_b32_e32 v1, s38
	v_add_co_u32_e32 v34, vcc, s37, v34
	v_addc_co_u32_e32 v35, vcc, v1, v35, vcc
	s_waitcnt vmcnt(0)
	global_store_dwordx2 v[34:35], v[6:7], off
	s_or_b64 exec, exec, s[0:1]
	s_and_saveexec_b64 s[0:1], s[4:5]
	s_cbranch_execz .LBB104_115
.LBB104_131:                            ;   in Loop: Header=BB104_80 Depth=1
	v_lshlrev_b64 v[34:35], 3, v[38:39]
	v_mov_b32_e32 v1, s38
	v_add_co_u32_e32 v34, vcc, s37, v34
	v_addc_co_u32_e32 v35, vcc, v1, v35, vcc
	s_waitcnt vmcnt(0)
	global_store_dwordx2 v[34:35], v[8:9], off
	s_or_b64 exec, exec, s[0:1]
	s_and_saveexec_b64 s[0:1], s[6:7]
	s_cbranch_execz .LBB104_116
.LBB104_132:                            ;   in Loop: Header=BB104_80 Depth=1
	v_lshlrev_b64 v[34:35], 3, v[40:41]
	v_mov_b32_e32 v1, s38
	v_add_co_u32_e32 v34, vcc, s37, v34
	v_addc_co_u32_e32 v35, vcc, v1, v35, vcc
	s_waitcnt vmcnt(0)
	global_store_dwordx2 v[34:35], v[10:11], off
	s_or_b64 exec, exec, s[0:1]
	s_and_saveexec_b64 s[0:1], s[8:9]
	s_cbranch_execz .LBB104_117
.LBB104_133:                            ;   in Loop: Header=BB104_80 Depth=1
	v_lshlrev_b64 v[34:35], 3, v[42:43]
	v_mov_b32_e32 v1, s38
	v_add_co_u32_e32 v34, vcc, s37, v34
	v_addc_co_u32_e32 v35, vcc, v1, v35, vcc
	s_waitcnt vmcnt(0)
	global_store_dwordx2 v[34:35], v[12:13], off
	s_or_b64 exec, exec, s[0:1]
	s_and_saveexec_b64 s[0:1], s[10:11]
	s_cbranch_execz .LBB104_118
.LBB104_134:                            ;   in Loop: Header=BB104_80 Depth=1
	v_lshlrev_b64 v[34:35], 3, v[44:45]
	v_mov_b32_e32 v1, s38
	v_add_co_u32_e32 v34, vcc, s37, v34
	v_addc_co_u32_e32 v35, vcc, v1, v35, vcc
	s_waitcnt vmcnt(0)
	global_store_dwordx2 v[34:35], v[14:15], off
	s_or_b64 exec, exec, s[0:1]
	s_and_saveexec_b64 s[0:1], s[12:13]
	s_cbranch_execz .LBB104_119
.LBB104_135:                            ;   in Loop: Header=BB104_80 Depth=1
	v_lshlrev_b64 v[34:35], 3, v[46:47]
	v_mov_b32_e32 v1, s38
	v_add_co_u32_e32 v34, vcc, s37, v34
	v_addc_co_u32_e32 v35, vcc, v1, v35, vcc
	s_waitcnt vmcnt(0)
	global_store_dwordx2 v[34:35], v[16:17], off
	s_or_b64 exec, exec, s[0:1]
	s_and_saveexec_b64 s[0:1], s[14:15]
	s_cbranch_execz .LBB104_120
.LBB104_136:                            ;   in Loop: Header=BB104_80 Depth=1
	v_lshlrev_b64 v[34:35], 3, v[48:49]
	v_mov_b32_e32 v1, s38
	v_add_co_u32_e32 v34, vcc, s37, v34
	v_addc_co_u32_e32 v35, vcc, v1, v35, vcc
	s_waitcnt vmcnt(0)
	global_store_dwordx2 v[34:35], v[18:19], off
	s_or_b64 exec, exec, s[0:1]
	s_and_saveexec_b64 s[0:1], s[16:17]
	s_cbranch_execz .LBB104_121
.LBB104_137:                            ;   in Loop: Header=BB104_80 Depth=1
	v_lshlrev_b64 v[34:35], 3, v[50:51]
	v_mov_b32_e32 v1, s38
	v_add_co_u32_e32 v34, vcc, s37, v34
	v_addc_co_u32_e32 v35, vcc, v1, v35, vcc
	s_waitcnt vmcnt(0)
	global_store_dwordx2 v[34:35], v[20:21], off
	s_or_b64 exec, exec, s[0:1]
	s_and_saveexec_b64 s[0:1], s[18:19]
	s_cbranch_execz .LBB104_122
.LBB104_138:                            ;   in Loop: Header=BB104_80 Depth=1
	v_lshlrev_b64 v[34:35], 3, v[52:53]
	v_mov_b32_e32 v1, s38
	v_add_co_u32_e32 v34, vcc, s37, v34
	v_addc_co_u32_e32 v35, vcc, v1, v35, vcc
	s_waitcnt vmcnt(0)
	global_store_dwordx2 v[34:35], v[22:23], off
	s_or_b64 exec, exec, s[0:1]
	s_and_saveexec_b64 s[0:1], s[20:21]
	s_cbranch_execz .LBB104_123
.LBB104_139:                            ;   in Loop: Header=BB104_80 Depth=1
	v_lshlrev_b64 v[34:35], 3, v[54:55]
	v_mov_b32_e32 v1, s38
	v_add_co_u32_e32 v34, vcc, s37, v34
	v_addc_co_u32_e32 v35, vcc, v1, v35, vcc
	s_waitcnt vmcnt(0)
	global_store_dwordx2 v[34:35], v[24:25], off
	s_or_b64 exec, exec, s[0:1]
	s_and_saveexec_b64 s[0:1], s[22:23]
	s_cbranch_execz .LBB104_124
.LBB104_140:                            ;   in Loop: Header=BB104_80 Depth=1
	v_lshlrev_b64 v[34:35], 3, v[56:57]
	v_mov_b32_e32 v1, s38
	v_add_co_u32_e32 v34, vcc, s37, v34
	v_addc_co_u32_e32 v35, vcc, v1, v35, vcc
	s_waitcnt vmcnt(0)
	global_store_dwordx2 v[34:35], v[26:27], off
	s_or_b64 exec, exec, s[0:1]
	s_and_saveexec_b64 s[0:1], s[24:25]
	s_cbranch_execz .LBB104_125
.LBB104_141:                            ;   in Loop: Header=BB104_80 Depth=1
	v_lshlrev_b64 v[34:35], 3, v[58:59]
	v_mov_b32_e32 v1, s38
	v_add_co_u32_e32 v34, vcc, s37, v34
	v_addc_co_u32_e32 v35, vcc, v1, v35, vcc
	s_waitcnt vmcnt(0)
	global_store_dwordx2 v[34:35], v[28:29], off
	s_or_b64 exec, exec, s[0:1]
	s_and_saveexec_b64 s[0:1], s[26:27]
	s_cbranch_execz .LBB104_126
.LBB104_142:                            ;   in Loop: Header=BB104_80 Depth=1
	v_lshlrev_b64 v[34:35], 3, v[60:61]
	v_mov_b32_e32 v1, s38
	v_add_co_u32_e32 v34, vcc, s37, v34
	v_addc_co_u32_e32 v35, vcc, v1, v35, vcc
	s_waitcnt vmcnt(0)
	global_store_dwordx2 v[34:35], v[30:31], off
	s_or_b64 exec, exec, s[0:1]
	s_and_saveexec_b64 s[0:1], s[28:29]
	s_cbranch_execz .LBB104_79
.LBB104_143:                            ;   in Loop: Header=BB104_80 Depth=1
	v_lshlrev_b64 v[34:35], 3, v[62:63]
	v_mov_b32_e32 v1, s38
	v_add_co_u32_e32 v34, vcc, s37, v34
	v_addc_co_u32_e32 v35, vcc, v1, v35, vcc
	s_waitcnt vmcnt(0)
	global_store_dwordx2 v[34:35], v[32:33], off
	s_branch .LBB104_79
.LBB104_144:
	s_endpgm
	.section	.rodata,"a",@progbits
	.p2align	6, 0x0
	.amdhsa_kernel _ZN9rocsolver6v33100L10stedc_sortIddPdS2_EEviPT0_lS4_lT1_iilT2_iil
		.amdhsa_group_segment_fixed_size 2048
		.amdhsa_private_segment_fixed_size 0
		.amdhsa_kernarg_size 344
		.amdhsa_user_sgpr_count 6
		.amdhsa_user_sgpr_private_segment_buffer 1
		.amdhsa_user_sgpr_dispatch_ptr 0
		.amdhsa_user_sgpr_queue_ptr 0
		.amdhsa_user_sgpr_kernarg_segment_ptr 1
		.amdhsa_user_sgpr_dispatch_id 0
		.amdhsa_user_sgpr_flat_scratch_init 0
		.amdhsa_user_sgpr_kernarg_preload_length 0
		.amdhsa_user_sgpr_kernarg_preload_offset 0
		.amdhsa_user_sgpr_private_segment_size 0
		.amdhsa_uses_dynamic_stack 0
		.amdhsa_system_sgpr_private_segment_wavefront_offset 0
		.amdhsa_system_sgpr_workgroup_id_x 1
		.amdhsa_system_sgpr_workgroup_id_y 1
		.amdhsa_system_sgpr_workgroup_id_z 0
		.amdhsa_system_sgpr_workgroup_info 0
		.amdhsa_system_vgpr_workitem_id 0
		.amdhsa_next_free_vgpr 68
		.amdhsa_next_free_sgpr 73
		.amdhsa_accum_offset 68
		.amdhsa_reserve_vcc 1
		.amdhsa_reserve_flat_scratch 0
		.amdhsa_float_round_mode_32 0
		.amdhsa_float_round_mode_16_64 0
		.amdhsa_float_denorm_mode_32 3
		.amdhsa_float_denorm_mode_16_64 3
		.amdhsa_dx10_clamp 1
		.amdhsa_ieee_mode 1
		.amdhsa_fp16_overflow 0
		.amdhsa_tg_split 0
		.amdhsa_exception_fp_ieee_invalid_op 0
		.amdhsa_exception_fp_denorm_src 0
		.amdhsa_exception_fp_ieee_div_zero 0
		.amdhsa_exception_fp_ieee_overflow 0
		.amdhsa_exception_fp_ieee_underflow 0
		.amdhsa_exception_fp_ieee_inexact 0
		.amdhsa_exception_int_div_zero 0
	.end_amdhsa_kernel
	.section	.text._ZN9rocsolver6v33100L10stedc_sortIddPdS2_EEviPT0_lS4_lT1_iilT2_iil,"axG",@progbits,_ZN9rocsolver6v33100L10stedc_sortIddPdS2_EEviPT0_lS4_lT1_iilT2_iil,comdat
.Lfunc_end104:
	.size	_ZN9rocsolver6v33100L10stedc_sortIddPdS2_EEviPT0_lS4_lT1_iilT2_iil, .Lfunc_end104-_ZN9rocsolver6v33100L10stedc_sortIddPdS2_EEviPT0_lS4_lT1_iilT2_iil
                                        ; -- End function
	.section	.AMDGPU.csdata,"",@progbits
; Kernel info:
; codeLenInByte = 5100
; NumSgprs: 77
; NumVgprs: 68
; NumAgprs: 0
; TotalNumVgprs: 68
; ScratchSize: 0
; MemoryBound: 0
; FloatMode: 240
; IeeeMode: 1
; LDSByteSize: 2048 bytes/workgroup (compile time only)
; SGPRBlocks: 9
; VGPRBlocks: 8
; NumSGPRsForWavesPerEU: 77
; NumVGPRsForWavesPerEU: 68
; AccumOffset: 68
; Occupancy: 7
; WaveLimiterHint : 0
; COMPUTE_PGM_RSRC2:SCRATCH_EN: 0
; COMPUTE_PGM_RSRC2:USER_SGPR: 6
; COMPUTE_PGM_RSRC2:TRAP_HANDLER: 0
; COMPUTE_PGM_RSRC2:TGID_X_EN: 1
; COMPUTE_PGM_RSRC2:TGID_Y_EN: 1
; COMPUTE_PGM_RSRC2:TGID_Z_EN: 0
; COMPUTE_PGM_RSRC2:TIDIG_COMP_CNT: 0
; COMPUTE_PGM_RSRC3_GFX90A:ACCUM_OFFSET: 16
; COMPUTE_PGM_RSRC3_GFX90A:TG_SPLIT: 0
	.section	.text._ZN9rocsolver6v33100L13conj_in_placeIdiPdTnNSt9enable_ifIXnt18rocblas_is_complexIT_EEiE4typeELi0EEEvT0_S7_T1_lS7_l,"axG",@progbits,_ZN9rocsolver6v33100L13conj_in_placeIdiPdTnNSt9enable_ifIXnt18rocblas_is_complexIT_EEiE4typeELi0EEEvT0_S7_T1_lS7_l,comdat
	.globl	_ZN9rocsolver6v33100L13conj_in_placeIdiPdTnNSt9enable_ifIXnt18rocblas_is_complexIT_EEiE4typeELi0EEEvT0_S7_T1_lS7_l ; -- Begin function _ZN9rocsolver6v33100L13conj_in_placeIdiPdTnNSt9enable_ifIXnt18rocblas_is_complexIT_EEiE4typeELi0EEEvT0_S7_T1_lS7_l
	.p2align	8
	.type	_ZN9rocsolver6v33100L13conj_in_placeIdiPdTnNSt9enable_ifIXnt18rocblas_is_complexIT_EEiE4typeELi0EEEvT0_S7_T1_lS7_l,@function
_ZN9rocsolver6v33100L13conj_in_placeIdiPdTnNSt9enable_ifIXnt18rocblas_is_complexIT_EEiE4typeELi0EEEvT0_S7_T1_lS7_l: ; @_ZN9rocsolver6v33100L13conj_in_placeIdiPdTnNSt9enable_ifIXnt18rocblas_is_complexIT_EEiE4typeELi0EEEvT0_S7_T1_lS7_l
; %bb.0:
	s_endpgm
	.section	.rodata,"a",@progbits
	.p2align	6, 0x0
	.amdhsa_kernel _ZN9rocsolver6v33100L13conj_in_placeIdiPdTnNSt9enable_ifIXnt18rocblas_is_complexIT_EEiE4typeELi0EEEvT0_S7_T1_lS7_l
		.amdhsa_group_segment_fixed_size 0
		.amdhsa_private_segment_fixed_size 0
		.amdhsa_kernarg_size 40
		.amdhsa_user_sgpr_count 6
		.amdhsa_user_sgpr_private_segment_buffer 1
		.amdhsa_user_sgpr_dispatch_ptr 0
		.amdhsa_user_sgpr_queue_ptr 0
		.amdhsa_user_sgpr_kernarg_segment_ptr 1
		.amdhsa_user_sgpr_dispatch_id 0
		.amdhsa_user_sgpr_flat_scratch_init 0
		.amdhsa_user_sgpr_kernarg_preload_length 0
		.amdhsa_user_sgpr_kernarg_preload_offset 0
		.amdhsa_user_sgpr_private_segment_size 0
		.amdhsa_uses_dynamic_stack 0
		.amdhsa_system_sgpr_private_segment_wavefront_offset 0
		.amdhsa_system_sgpr_workgroup_id_x 1
		.amdhsa_system_sgpr_workgroup_id_y 0
		.amdhsa_system_sgpr_workgroup_id_z 0
		.amdhsa_system_sgpr_workgroup_info 0
		.amdhsa_system_vgpr_workitem_id 0
		.amdhsa_next_free_vgpr 1
		.amdhsa_next_free_sgpr 0
		.amdhsa_accum_offset 4
		.amdhsa_reserve_vcc 0
		.amdhsa_reserve_flat_scratch 0
		.amdhsa_float_round_mode_32 0
		.amdhsa_float_round_mode_16_64 0
		.amdhsa_float_denorm_mode_32 3
		.amdhsa_float_denorm_mode_16_64 3
		.amdhsa_dx10_clamp 1
		.amdhsa_ieee_mode 1
		.amdhsa_fp16_overflow 0
		.amdhsa_tg_split 0
		.amdhsa_exception_fp_ieee_invalid_op 0
		.amdhsa_exception_fp_denorm_src 0
		.amdhsa_exception_fp_ieee_div_zero 0
		.amdhsa_exception_fp_ieee_overflow 0
		.amdhsa_exception_fp_ieee_underflow 0
		.amdhsa_exception_fp_ieee_inexact 0
		.amdhsa_exception_int_div_zero 0
	.end_amdhsa_kernel
	.section	.text._ZN9rocsolver6v33100L13conj_in_placeIdiPdTnNSt9enable_ifIXnt18rocblas_is_complexIT_EEiE4typeELi0EEEvT0_S7_T1_lS7_l,"axG",@progbits,_ZN9rocsolver6v33100L13conj_in_placeIdiPdTnNSt9enable_ifIXnt18rocblas_is_complexIT_EEiE4typeELi0EEEvT0_S7_T1_lS7_l,comdat
.Lfunc_end105:
	.size	_ZN9rocsolver6v33100L13conj_in_placeIdiPdTnNSt9enable_ifIXnt18rocblas_is_complexIT_EEiE4typeELi0EEEvT0_S7_T1_lS7_l, .Lfunc_end105-_ZN9rocsolver6v33100L13conj_in_placeIdiPdTnNSt9enable_ifIXnt18rocblas_is_complexIT_EEiE4typeELi0EEEvT0_S7_T1_lS7_l
                                        ; -- End function
	.section	.AMDGPU.csdata,"",@progbits
; Kernel info:
; codeLenInByte = 4
; NumSgprs: 4
; NumVgprs: 0
; NumAgprs: 0
; TotalNumVgprs: 0
; ScratchSize: 0
; MemoryBound: 0
; FloatMode: 240
; IeeeMode: 1
; LDSByteSize: 0 bytes/workgroup (compile time only)
; SGPRBlocks: 0
; VGPRBlocks: 0
; NumSGPRsForWavesPerEU: 4
; NumVGPRsForWavesPerEU: 1
; AccumOffset: 4
; Occupancy: 8
; WaveLimiterHint : 0
; COMPUTE_PGM_RSRC2:SCRATCH_EN: 0
; COMPUTE_PGM_RSRC2:USER_SGPR: 6
; COMPUTE_PGM_RSRC2:TRAP_HANDLER: 0
; COMPUTE_PGM_RSRC2:TGID_X_EN: 1
; COMPUTE_PGM_RSRC2:TGID_Y_EN: 0
; COMPUTE_PGM_RSRC2:TGID_Z_EN: 0
; COMPUTE_PGM_RSRC2:TIDIG_COMP_CNT: 0
; COMPUTE_PGM_RSRC3_GFX90A:ACCUM_OFFSET: 0
; COMPUTE_PGM_RSRC3_GFX90A:TG_SPLIT: 0
	.section	.text._ZN9rocsolver6v33100L16larf_left_kernelILi1024EdiPdEEvT1_S3_T2_lS3_lPKT0_lS4_lS3_l,"axG",@progbits,_ZN9rocsolver6v33100L16larf_left_kernelILi1024EdiPdEEvT1_S3_T2_lS3_lPKT0_lS4_lS3_l,comdat
	.globl	_ZN9rocsolver6v33100L16larf_left_kernelILi1024EdiPdEEvT1_S3_T2_lS3_lPKT0_lS4_lS3_l ; -- Begin function _ZN9rocsolver6v33100L16larf_left_kernelILi1024EdiPdEEvT1_S3_T2_lS3_lPKT0_lS4_lS3_l
	.p2align	8
	.type	_ZN9rocsolver6v33100L16larf_left_kernelILi1024EdiPdEEvT1_S3_T2_lS3_lPKT0_lS4_lS3_l,@function
_ZN9rocsolver6v33100L16larf_left_kernelILi1024EdiPdEEvT1_S3_T2_lS3_lPKT0_lS4_lS3_l: ; @_ZN9rocsolver6v33100L16larf_left_kernelILi1024EdiPdEEvT1_S3_T2_lS3_lPKT0_lS4_lS3_l
; %bb.0:
	s_load_dword s9, s[4:5], 0x0
	s_load_dwordx2 s[2:3], s[4:5], 0x40
	s_load_dword s20, s[4:5], 0x48
	s_load_dwordx2 s[10:11], s[4:5], 0x50
	s_load_dwordx8 s[12:19], s[4:5], 0x20
	s_ashr_i32 s25, s8, 31
	s_waitcnt lgkmcnt(0)
	v_cmp_gt_i32_e64 s[0:1], s9, v0
	v_pk_mov_b32 v[2:3], 0, 0
	s_mul_i32 s22, s10, s25
	s_mul_hi_u32 s23, s10, s8
	s_mul_i32 s24, s11, s8
	s_mul_i32 s6, s10, s8
	s_mul_hi_i32 s11, s7, s20
	s_mul_i32 s10, s7, s20
	s_and_saveexec_b64 s[20:21], s[0:1]
	s_cbranch_execz .LBB106_6
; %bb.1:
	s_load_dword s26, s[4:5], 0x18
	s_load_dwordx4 s[28:31], s[4:5], 0x8
	s_sub_i32 s4, 1, s9
	s_mul_hi_u32 s33, s12, s8
	s_mul_i32 s13, s13, s8
	s_waitcnt lgkmcnt(0)
	s_ashr_i32 s27, s26, 31
	s_mul_i32 s7, s4, s26
	v_cmp_lt_i64_e64 s[4:5], s[26:27], 1
	s_and_b64 s[4:5], s[4:5], exec
	s_cselect_b32 s4, s7, 0
	s_mul_i32 s7, s12, s25
	s_add_i32 s7, s33, s7
	s_ashr_i32 s5, s4, 31
	s_add_i32 s13, s7, s13
	s_mul_i32 s12, s12, s8
	s_lshl_b64 s[12:13], s[12:13], 3
	s_lshl_b64 s[30:31], s[30:31], 3
	;; [unrolled: 1-line block ×3, first 2 shown]
	s_add_u32 s4, s28, s4
	s_addc_u32 s5, s29, s5
	s_add_u32 s4, s4, s30
	s_addc_u32 s5, s5, s31
	v_mad_i64_i32 v[2:3], s[34:35], s26, v0, 0
	s_add_u32 s4, s4, s12
	v_lshl_add_u32 v1, v0, 3, 0
	v_lshlrev_b64 v[2:3], 3, v[2:3]
	s_addc_u32 s5, s5, s13
	v_add_u32_e32 v1, 0x80, v1
	v_mov_b32_e32 v4, s5
	v_add_co_u32_e32 v2, vcc, s4, v2
	s_lshl_b64 s[12:13], s[26:27], 13
	v_addc_co_u32_e32 v3, vcc, v4, v3, vcc
	s_mov_b64 s[4:5], 0
	v_mov_b32_e32 v4, s13
	v_mov_b32_e32 v5, v1
	;; [unrolled: 1-line block ×3, first 2 shown]
.LBB106_2:                              ; =>This Inner Loop Header: Depth=1
	global_load_dwordx2 v[8:9], v[2:3], off
	v_add_co_u32_e32 v2, vcc, s12, v2
	v_add_u32_e32 v6, 0x400, v6
	v_addc_co_u32_e32 v3, vcc, v3, v4, vcc
	v_cmp_le_i32_e32 vcc, s9, v6
	s_or_b64 s[4:5], vcc, s[4:5]
	s_waitcnt vmcnt(0)
	ds_write_b64 v5, v[8:9]
	v_add_u32_e32 v5, 0x2000, v5
	s_andn2_b64 exec, exec, s[4:5]
	s_cbranch_execnz .LBB106_2
; %bb.3:
	s_or_b64 exec, exec, s[4:5]
	s_add_i32 s4, s23, s22
	s_add_i32 s7, s4, s24
	s_lshl_b64 s[4:5], s[6:7], 3
	s_lshl_b64 s[12:13], s[10:11], 3
	s_add_u32 s7, s4, s12
	s_addc_u32 s12, s5, s13
	s_lshl_b64 s[4:5], s[2:3], 3
	s_add_u32 s4, s7, s4
	s_addc_u32 s5, s12, s5
	s_add_u32 s4, s18, s4
	v_lshlrev_b32_e32 v2, 3, v0
	s_addc_u32 s5, s19, s5
	v_mov_b32_e32 v3, s5
	v_add_co_u32_e32 v4, vcc, s4, v2
	v_addc_co_u32_e32 v5, vcc, 0, v3, vcc
	s_mov_b64 s[4:5], 0
	v_pk_mov_b32 v[2:3], 0, 0
	v_mov_b32_e32 v6, v0
.LBB106_4:                              ; =>This Inner Loop Header: Depth=1
	global_load_dwordx2 v[8:9], v[4:5], off
	ds_read_b64 v[10:11], v1
	v_add_co_u32_e32 v4, vcc, 0x2000, v4
	v_add_u32_e32 v6, 0x400, v6
	v_addc_co_u32_e32 v5, vcc, 0, v5, vcc
	v_cmp_le_i32_e32 vcc, s9, v6
	v_add_u32_e32 v1, 0x2000, v1
	s_or_b64 s[4:5], vcc, s[4:5]
	s_waitcnt vmcnt(0) lgkmcnt(0)
	v_mul_f64 v[8:9], v[8:9], v[10:11]
	v_add_f64 v[2:3], v[2:3], v[8:9]
	s_andn2_b64 exec, exec, s[4:5]
	s_cbranch_execnz .LBB106_4
; %bb.5:
	s_or_b64 exec, exec, s[4:5]
.LBB106_6:
	s_or_b64 exec, exec, s[20:21]
	v_mbcnt_lo_u32_b32 v1, -1, 0
	v_mbcnt_hi_u32_b32 v1, -1, v1
	v_and_b32_e32 v6, 63, v1
	v_cmp_ne_u32_e32 vcc, 63, v6
	v_addc_co_u32_e32 v4, vcc, 0, v1, vcc
	v_lshlrev_b32_e32 v5, 2, v4
	ds_bpermute_b32 v4, v5, v2
	ds_bpermute_b32 v5, v5, v3
	v_cmp_gt_u32_e32 vcc, 62, v6
	s_waitcnt lgkmcnt(0)
	v_add_f64 v[2:3], v[2:3], v[4:5]
	v_cndmask_b32_e64 v4, 0, 1, vcc
	v_lshlrev_b32_e32 v4, 1, v4
	v_add_lshl_u32 v5, v4, v1, 2
	ds_bpermute_b32 v4, v5, v2
	ds_bpermute_b32 v5, v5, v3
	v_cmp_gt_u32_e32 vcc, 60, v6
	s_waitcnt lgkmcnt(0)
	v_add_f64 v[2:3], v[2:3], v[4:5]
	v_cndmask_b32_e64 v4, 0, 1, vcc
	v_lshlrev_b32_e32 v4, 2, v4
	v_add_lshl_u32 v5, v4, v1, 2
	;; [unrolled: 8-line block ×5, first 2 shown]
	ds_bpermute_b32 v4, v1, v2
	ds_bpermute_b32 v5, v1, v3
	v_and_b32_e32 v1, 63, v0
	v_cmp_eq_u32_e32 vcc, 0, v1
	s_waitcnt lgkmcnt(0)
	v_add_f64 v[2:3], v[2:3], v[4:5]
	s_and_saveexec_b64 s[4:5], vcc
	s_cbranch_execz .LBB106_8
; %bb.7:
	v_lshrrev_b32_e32 v1, 3, v0
	v_add_u32_e32 v1, 0, v1
	ds_write_b64 v1, v[2:3]
.LBB106_8:
	s_or_b64 exec, exec, s[4:5]
	v_cmp_eq_u32_e32 vcc, 0, v0
	s_waitcnt lgkmcnt(0)
	s_barrier
	s_and_saveexec_b64 s[4:5], vcc
	s_cbranch_execz .LBB106_10
; %bb.9:
	v_mov_b32_e32 v1, 0
	ds_read2_b64 v[4:7], v1 offset0:1 offset1:2
	ds_read2_b64 v[8:11], v1 offset0:3 offset1:4
	;; [unrolled: 1-line block ×4, first 2 shown]
	s_waitcnt lgkmcnt(3)
	v_add_f64 v[2:3], v[2:3], v[4:5]
	v_add_f64 v[2:3], v[2:3], v[6:7]
	s_waitcnt lgkmcnt(2)
	v_add_f64 v[2:3], v[2:3], v[8:9]
	v_add_f64 v[2:3], v[2:3], v[10:11]
	s_waitcnt lgkmcnt(1)
	v_add_f64 v[6:7], v[2:3], v[12:13]
	ds_read2_b64 v[2:5], v1 offset0:9 offset1:10
	v_add_f64 v[6:7], v[6:7], v[14:15]
	s_waitcnt lgkmcnt(1)
	v_add_f64 v[6:7], v[6:7], v[16:17]
	v_add_f64 v[10:11], v[6:7], v[18:19]
	ds_read2_b64 v[6:9], v1 offset0:11 offset1:12
	s_waitcnt lgkmcnt(1)
	v_add_f64 v[2:3], v[10:11], v[2:3]
	ds_read2_b64 v[10:13], v1 offset0:13 offset1:14
	v_add_f64 v[2:3], v[2:3], v[4:5]
	ds_read_b64 v[4:5], v1 offset:120
	s_waitcnt lgkmcnt(2)
	v_add_f64 v[2:3], v[2:3], v[6:7]
	v_add_f64 v[2:3], v[2:3], v[8:9]
	s_waitcnt lgkmcnt(1)
	v_add_f64 v[2:3], v[2:3], v[10:11]
	v_add_f64 v[2:3], v[2:3], v[12:13]
	s_waitcnt lgkmcnt(0)
	v_add_f64 v[2:3], v[2:3], v[4:5]
	ds_write_b64 v1, v[2:3]
.LBB106_10:
	s_or_b64 exec, exec, s[4:5]
	s_waitcnt lgkmcnt(0)
	s_barrier
	s_and_saveexec_b64 s[4:5], s[0:1]
	s_cbranch_execz .LBB106_13
; %bb.11:
	s_mul_i32 s0, s8, s17
	s_mul_hi_u32 s1, s8, s16
	s_add_i32 s0, s1, s0
	s_mul_i32 s1, s25, s16
	s_add_i32 s1, s0, s1
	s_mul_i32 s0, s8, s16
	s_lshl_b64 s[0:1], s[0:1], 3
	s_add_u32 s0, s14, s0
	s_addc_u32 s1, s15, s1
	v_mov_b32_e32 v1, 0
	s_load_dwordx2 s[0:1], s[0:1], 0x0
	ds_read_b64 v[2:3], v1
	s_lshl_b64 s[4:5], s[10:11], 3
	v_lshlrev_b32_e32 v4, 3, v0
	v_add_u32_e32 v1, 0, v4
	v_add_u32_e32 v1, 0x80, v1
	s_waitcnt lgkmcnt(0)
	v_mul_f64 v[2:3], v[2:3], -s[0:1]
	s_add_i32 s0, s23, s22
	s_add_i32 s7, s0, s24
	s_lshl_b64 s[0:1], s[6:7], 3
	s_add_u32 s4, s0, s4
	s_addc_u32 s5, s1, s5
	s_lshl_b64 s[0:1], s[2:3], 3
	s_add_u32 s0, s4, s0
	s_addc_u32 s1, s5, s1
	s_add_u32 s0, s18, s0
	s_addc_u32 s1, s19, s1
	v_mov_b32_e32 v5, s1
	v_add_co_u32_e32 v4, vcc, s0, v4
	v_addc_co_u32_e32 v5, vcc, 0, v5, vcc
	s_mov_b64 s[0:1], 0
.LBB106_12:                             ; =>This Inner Loop Header: Depth=1
	global_load_dwordx2 v[6:7], v[4:5], off
	ds_read_b64 v[8:9], v1
	v_add_u32_e32 v0, 0x400, v0
	v_cmp_le_i32_e32 vcc, s9, v0
	s_or_b64 s[0:1], vcc, s[0:1]
	v_add_u32_e32 v1, 0x2000, v1
	s_waitcnt vmcnt(0) lgkmcnt(0)
	v_fmac_f64_e32 v[6:7], v[2:3], v[8:9]
	global_store_dwordx2 v[4:5], v[6:7], off
	v_add_co_u32_e32 v4, vcc, 0x2000, v4
	v_addc_co_u32_e32 v5, vcc, 0, v5, vcc
	s_andn2_b64 exec, exec, s[0:1]
	s_cbranch_execnz .LBB106_12
.LBB106_13:
	s_endpgm
	.section	.rodata,"a",@progbits
	.p2align	6, 0x0
	.amdhsa_kernel _ZN9rocsolver6v33100L16larf_left_kernelILi1024EdiPdEEvT1_S3_T2_lS3_lPKT0_lS4_lS3_l
		.amdhsa_group_segment_fixed_size 0
		.amdhsa_private_segment_fixed_size 0
		.amdhsa_kernarg_size 88
		.amdhsa_user_sgpr_count 6
		.amdhsa_user_sgpr_private_segment_buffer 1
		.amdhsa_user_sgpr_dispatch_ptr 0
		.amdhsa_user_sgpr_queue_ptr 0
		.amdhsa_user_sgpr_kernarg_segment_ptr 1
		.amdhsa_user_sgpr_dispatch_id 0
		.amdhsa_user_sgpr_flat_scratch_init 0
		.amdhsa_user_sgpr_kernarg_preload_length 0
		.amdhsa_user_sgpr_kernarg_preload_offset 0
		.amdhsa_user_sgpr_private_segment_size 0
		.amdhsa_uses_dynamic_stack 0
		.amdhsa_system_sgpr_private_segment_wavefront_offset 0
		.amdhsa_system_sgpr_workgroup_id_x 1
		.amdhsa_system_sgpr_workgroup_id_y 1
		.amdhsa_system_sgpr_workgroup_id_z 1
		.amdhsa_system_sgpr_workgroup_info 0
		.amdhsa_system_vgpr_workitem_id 0
		.amdhsa_next_free_vgpr 20
		.amdhsa_next_free_sgpr 36
		.amdhsa_accum_offset 20
		.amdhsa_reserve_vcc 1
		.amdhsa_reserve_flat_scratch 0
		.amdhsa_float_round_mode_32 0
		.amdhsa_float_round_mode_16_64 0
		.amdhsa_float_denorm_mode_32 3
		.amdhsa_float_denorm_mode_16_64 3
		.amdhsa_dx10_clamp 1
		.amdhsa_ieee_mode 1
		.amdhsa_fp16_overflow 0
		.amdhsa_tg_split 0
		.amdhsa_exception_fp_ieee_invalid_op 0
		.amdhsa_exception_fp_denorm_src 0
		.amdhsa_exception_fp_ieee_div_zero 0
		.amdhsa_exception_fp_ieee_overflow 0
		.amdhsa_exception_fp_ieee_underflow 0
		.amdhsa_exception_fp_ieee_inexact 0
		.amdhsa_exception_int_div_zero 0
	.end_amdhsa_kernel
	.section	.text._ZN9rocsolver6v33100L16larf_left_kernelILi1024EdiPdEEvT1_S3_T2_lS3_lPKT0_lS4_lS3_l,"axG",@progbits,_ZN9rocsolver6v33100L16larf_left_kernelILi1024EdiPdEEvT1_S3_T2_lS3_lPKT0_lS4_lS3_l,comdat
.Lfunc_end106:
	.size	_ZN9rocsolver6v33100L16larf_left_kernelILi1024EdiPdEEvT1_S3_T2_lS3_lPKT0_lS4_lS3_l, .Lfunc_end106-_ZN9rocsolver6v33100L16larf_left_kernelILi1024EdiPdEEvT1_S3_T2_lS3_lPKT0_lS4_lS3_l
                                        ; -- End function
	.section	.AMDGPU.csdata,"",@progbits
; Kernel info:
; codeLenInByte = 1348
; NumSgprs: 40
; NumVgprs: 20
; NumAgprs: 0
; TotalNumVgprs: 20
; ScratchSize: 0
; MemoryBound: 0
; FloatMode: 240
; IeeeMode: 1
; LDSByteSize: 0 bytes/workgroup (compile time only)
; SGPRBlocks: 4
; VGPRBlocks: 2
; NumSGPRsForWavesPerEU: 40
; NumVGPRsForWavesPerEU: 20
; AccumOffset: 20
; Occupancy: 8
; WaveLimiterHint : 0
; COMPUTE_PGM_RSRC2:SCRATCH_EN: 0
; COMPUTE_PGM_RSRC2:USER_SGPR: 6
; COMPUTE_PGM_RSRC2:TRAP_HANDLER: 0
; COMPUTE_PGM_RSRC2:TGID_X_EN: 1
; COMPUTE_PGM_RSRC2:TGID_Y_EN: 1
; COMPUTE_PGM_RSRC2:TGID_Z_EN: 1
; COMPUTE_PGM_RSRC2:TIDIG_COMP_CNT: 0
; COMPUTE_PGM_RSRC3_GFX90A:ACCUM_OFFSET: 4
; COMPUTE_PGM_RSRC3_GFX90A:TG_SPLIT: 0
	.section	.text._ZN9rocsolver6v33100L17larf_right_kernelILi1024EdiPdEEvT1_S3_T2_lS3_lPKT0_lS4_lS3_l,"axG",@progbits,_ZN9rocsolver6v33100L17larf_right_kernelILi1024EdiPdEEvT1_S3_T2_lS3_lPKT0_lS4_lS3_l,comdat
	.globl	_ZN9rocsolver6v33100L17larf_right_kernelILi1024EdiPdEEvT1_S3_T2_lS3_lPKT0_lS4_lS3_l ; -- Begin function _ZN9rocsolver6v33100L17larf_right_kernelILi1024EdiPdEEvT1_S3_T2_lS3_lPKT0_lS4_lS3_l
	.p2align	8
	.type	_ZN9rocsolver6v33100L17larf_right_kernelILi1024EdiPdEEvT1_S3_T2_lS3_lPKT0_lS4_lS3_l,@function
_ZN9rocsolver6v33100L17larf_right_kernelILi1024EdiPdEEvT1_S3_T2_lS3_lPKT0_lS4_lS3_l: ; @_ZN9rocsolver6v33100L17larf_right_kernelILi1024EdiPdEEvT1_S3_T2_lS3_lPKT0_lS4_lS3_l
; %bb.0:
	s_load_dword s9, s[4:5], 0x4
	s_load_dwordx8 s[12:19], s[4:5], 0x20
	s_load_dwordx2 s[10:11], s[4:5], 0x40
	s_load_dword s2, s[4:5], 0x48
	s_load_dwordx2 s[0:1], s[4:5], 0x50
	s_ashr_i32 s27, s8, 31
	s_mov_b32 s6, s7
	s_ashr_i32 s7, s7, 31
	s_waitcnt lgkmcnt(0)
	v_cmp_gt_i32_e32 vcc, s9, v0
	v_pk_mov_b32 v[2:3], 0, 0
	v_lshl_add_u32 v1, v0, 3, 0
	s_mul_i32 s24, s0, s27
	s_mul_hi_u32 s25, s0, s8
	s_mul_i32 s26, s1, s8
	s_mul_i32 s20, s0, s8
	s_and_saveexec_b64 s[22:23], vcc
	s_cbranch_execz .LBB107_6
; %bb.1:
	s_load_dword s34, s[4:5], 0x18
	s_load_dwordx4 s[28:31], s[4:5], 0x8
	s_sub_i32 s0, 1, s9
	s_mul_hi_u32 s4, s12, s8
	v_add_u32_e32 v6, 0x80, v1
	s_waitcnt lgkmcnt(0)
	s_ashr_i32 s35, s34, 31
	s_mul_i32 s3, s0, s34
	v_cmp_lt_i64_e64 s[0:1], s[34:35], 1
	s_and_b64 s[0:1], s[0:1], exec
	s_cselect_b32 s0, s3, 0
	s_mul_i32 s3, s12, s27
	s_add_i32 s3, s4, s3
	s_mul_i32 s4, s13, s8
	s_ashr_i32 s1, s0, 31
	s_add_i32 s5, s3, s4
	s_mul_i32 s4, s12, s8
	v_mad_i64_i32 v[2:3], s[12:13], s34, v0, 0
	s_lshl_b64 s[4:5], s[4:5], 3
	s_lshl_b64 s[12:13], s[30:31], 3
	;; [unrolled: 1-line block ×3, first 2 shown]
	s_add_u32 s0, s28, s0
	s_addc_u32 s1, s29, s1
	s_add_u32 s0, s0, s12
	s_addc_u32 s1, s1, s13
	s_add_u32 s0, s0, s4
	v_lshlrev_b64 v[2:3], 3, v[2:3]
	s_addc_u32 s1, s1, s5
	v_mov_b32_e32 v4, s1
	v_add_co_u32_e64 v2, s[0:1], s0, v2
	s_lshl_b64 s[12:13], s[34:35], 13
	v_addc_co_u32_e64 v3, s[0:1], v4, v3, s[0:1]
	s_mov_b64 s[4:5], 0
	v_mov_b32_e32 v4, s13
	v_mov_b32_e32 v5, v6
	;; [unrolled: 1-line block ×3, first 2 shown]
.LBB107_2:                              ; =>This Inner Loop Header: Depth=1
	global_load_dwordx2 v[8:9], v[2:3], off
	v_add_co_u32_e64 v2, s[0:1], s12, v2
	v_add_u32_e32 v7, 0x400, v7
	v_addc_co_u32_e64 v3, s[0:1], v3, v4, s[0:1]
	v_cmp_le_i32_e64 s[0:1], s9, v7
	s_or_b64 s[4:5], s[0:1], s[4:5]
	s_waitcnt vmcnt(0)
	ds_write_b64 v5, v[8:9]
	v_add_u32_e32 v5, 0x2000, v5
	s_andn2_b64 exec, exec, s[4:5]
	s_cbranch_execnz .LBB107_2
; %bb.3:
	s_or_b64 exec, exec, s[4:5]
	s_add_i32 s0, s25, s24
	s_add_i32 s21, s0, s26
	v_mad_i64_i32 v[2:3], s[4:5], s2, v0, 0
	s_ashr_i32 s3, s2, 31
	s_lshl_b64 s[0:1], s[20:21], 3
	s_lshl_b64 s[4:5], s[10:11], 3
	;; [unrolled: 1-line block ×3, first 2 shown]
	s_add_u32 s12, s18, s12
	s_addc_u32 s13, s19, s13
	s_add_u32 s4, s12, s4
	s_addc_u32 s5, s13, s5
	s_add_u32 s0, s4, s0
	v_lshlrev_b64 v[2:3], 3, v[2:3]
	s_addc_u32 s1, s5, s1
	v_mov_b32_e32 v5, s1
	v_add_co_u32_e64 v4, s[0:1], s0, v2
	s_lshl_b64 s[12:13], s[2:3], 13
	v_addc_co_u32_e64 v5, s[0:1], v5, v3, s[0:1]
	s_mov_b64 s[4:5], 0
	v_pk_mov_b32 v[2:3], 0, 0
	v_mov_b32_e32 v7, s13
	v_mov_b32_e32 v8, v0
.LBB107_4:                              ; =>This Inner Loop Header: Depth=1
	global_load_dwordx2 v[10:11], v[4:5], off
	ds_read_b64 v[12:13], v6
	v_add_co_u32_e64 v4, s[0:1], s12, v4
	v_add_u32_e32 v8, 0x400, v8
	v_addc_co_u32_e64 v5, s[0:1], v5, v7, s[0:1]
	v_cmp_le_i32_e64 s[0:1], s9, v8
	v_add_u32_e32 v6, 0x2000, v6
	s_or_b64 s[4:5], s[0:1], s[4:5]
	s_waitcnt vmcnt(0) lgkmcnt(0)
	v_mul_f64 v[10:11], v[10:11], v[12:13]
	v_add_f64 v[2:3], v[2:3], v[10:11]
	s_andn2_b64 exec, exec, s[4:5]
	s_cbranch_execnz .LBB107_4
; %bb.5:
	s_or_b64 exec, exec, s[4:5]
.LBB107_6:
	s_or_b64 exec, exec, s[22:23]
	v_mbcnt_lo_u32_b32 v4, -1, 0
	v_mbcnt_hi_u32_b32 v6, -1, v4
	v_and_b32_e32 v7, 63, v6
	v_cmp_ne_u32_e64 s[0:1], 63, v7
	v_addc_co_u32_e64 v4, s[0:1], 0, v6, s[0:1]
	v_lshlrev_b32_e32 v5, 2, v4
	ds_bpermute_b32 v4, v5, v2
	ds_bpermute_b32 v5, v5, v3
	v_cmp_gt_u32_e64 s[0:1], 62, v7
	s_waitcnt lgkmcnt(0)
	v_add_f64 v[2:3], v[2:3], v[4:5]
	v_cndmask_b32_e64 v4, 0, 1, s[0:1]
	v_lshlrev_b32_e32 v4, 1, v4
	v_add_lshl_u32 v5, v4, v6, 2
	ds_bpermute_b32 v4, v5, v2
	ds_bpermute_b32 v5, v5, v3
	v_cmp_gt_u32_e64 s[0:1], 60, v7
	s_waitcnt lgkmcnt(0)
	v_add_f64 v[2:3], v[2:3], v[4:5]
	v_cndmask_b32_e64 v4, 0, 1, s[0:1]
	v_lshlrev_b32_e32 v4, 2, v4
	v_add_lshl_u32 v5, v4, v6, 2
	;; [unrolled: 8-line block ×5, first 2 shown]
	ds_bpermute_b32 v4, v5, v2
	ds_bpermute_b32 v5, v5, v3
	s_waitcnt lgkmcnt(0)
	v_add_f64 v[2:3], v[2:3], v[4:5]
	v_and_b32_e32 v4, 63, v0
	v_cmp_eq_u32_e64 s[0:1], 0, v4
	s_and_saveexec_b64 s[4:5], s[0:1]
	s_cbranch_execz .LBB107_8
; %bb.7:
	v_lshrrev_b32_e32 v4, 3, v0
	v_add_u32_e32 v4, 0, v4
	ds_write_b64 v4, v[2:3]
.LBB107_8:
	s_or_b64 exec, exec, s[4:5]
	v_cmp_eq_u32_e64 s[0:1], 0, v0
	s_waitcnt lgkmcnt(0)
	s_barrier
	s_and_saveexec_b64 s[4:5], s[0:1]
	s_cbranch_execz .LBB107_10
; %bb.9:
	v_mov_b32_e32 v20, 0
	ds_read2_b64 v[4:7], v20 offset0:1 offset1:2
	ds_read2_b64 v[8:11], v20 offset0:3 offset1:4
	;; [unrolled: 1-line block ×4, first 2 shown]
	s_waitcnt lgkmcnt(3)
	v_add_f64 v[2:3], v[2:3], v[4:5]
	v_add_f64 v[2:3], v[2:3], v[6:7]
	s_waitcnt lgkmcnt(2)
	v_add_f64 v[2:3], v[2:3], v[8:9]
	v_add_f64 v[2:3], v[2:3], v[10:11]
	s_waitcnt lgkmcnt(1)
	v_add_f64 v[6:7], v[2:3], v[12:13]
	ds_read2_b64 v[2:5], v20 offset0:9 offset1:10
	v_add_f64 v[6:7], v[6:7], v[14:15]
	s_waitcnt lgkmcnt(1)
	v_add_f64 v[6:7], v[6:7], v[16:17]
	v_add_f64 v[10:11], v[6:7], v[18:19]
	ds_read2_b64 v[6:9], v20 offset0:11 offset1:12
	s_waitcnt lgkmcnt(1)
	v_add_f64 v[2:3], v[10:11], v[2:3]
	ds_read2_b64 v[10:13], v20 offset0:13 offset1:14
	v_add_f64 v[2:3], v[2:3], v[4:5]
	ds_read_b64 v[4:5], v20 offset:120
	s_waitcnt lgkmcnt(2)
	v_add_f64 v[2:3], v[2:3], v[6:7]
	v_add_f64 v[2:3], v[2:3], v[8:9]
	s_waitcnt lgkmcnt(1)
	v_add_f64 v[2:3], v[2:3], v[10:11]
	v_add_f64 v[2:3], v[2:3], v[12:13]
	s_waitcnt lgkmcnt(0)
	v_add_f64 v[2:3], v[2:3], v[4:5]
	ds_write_b64 v20, v[2:3]
.LBB107_10:
	s_or_b64 exec, exec, s[4:5]
	s_waitcnt lgkmcnt(0)
	s_barrier
	s_and_saveexec_b64 s[0:1], vcc
	s_cbranch_execz .LBB107_13
; %bb.11:
	s_mul_i32 s0, s8, s17
	s_mul_hi_u32 s1, s8, s16
	s_add_i32 s0, s1, s0
	s_mul_i32 s1, s27, s16
	s_add_i32 s1, s0, s1
	s_mul_i32 s0, s8, s16
	s_lshl_b64 s[0:1], s[0:1], 3
	s_add_u32 s0, s14, s0
	s_addc_u32 s1, s15, s1
	v_mov_b32_e32 v2, 0
	s_load_dwordx2 s[0:1], s[0:1], 0x0
	ds_read_b64 v[2:3], v2
	v_mad_i64_i32 v[4:5], s[4:5], s2, v0, 0
	s_ashr_i32 s3, s2, 31
	s_lshl_b64 s[4:5], s[10:11], 3
	s_waitcnt lgkmcnt(0)
	v_mul_f64 v[2:3], v[2:3], -s[0:1]
	s_add_i32 s0, s25, s24
	s_add_i32 s21, s0, s26
	s_lshl_b64 s[0:1], s[20:21], 3
	s_lshl_b64 s[6:7], s[6:7], 3
	s_add_u32 s6, s18, s6
	s_addc_u32 s7, s19, s7
	s_add_u32 s4, s6, s4
	s_addc_u32 s5, s7, s5
	s_add_u32 s0, s4, s0
	v_lshlrev_b64 v[4:5], 3, v[4:5]
	s_addc_u32 s1, s5, s1
	v_mov_b32_e32 v6, s1
	v_add_co_u32_e32 v4, vcc, s0, v4
	s_lshl_b64 s[0:1], s[2:3], 13
	v_add_u32_e32 v1, 0x80, v1
	v_addc_co_u32_e32 v5, vcc, v6, v5, vcc
	s_mov_b64 s[2:3], 0
	v_mov_b32_e32 v6, s1
.LBB107_12:                             ; =>This Inner Loop Header: Depth=1
	global_load_dwordx2 v[8:9], v[4:5], off
	ds_read_b64 v[10:11], v1
	v_add_u32_e32 v0, 0x400, v0
	v_cmp_le_i32_e32 vcc, s9, v0
	s_or_b64 s[2:3], vcc, s[2:3]
	v_add_u32_e32 v1, 0x2000, v1
	s_waitcnt vmcnt(0) lgkmcnt(0)
	v_fmac_f64_e32 v[8:9], v[2:3], v[10:11]
	global_store_dwordx2 v[4:5], v[8:9], off
	v_add_co_u32_e32 v4, vcc, s0, v4
	v_addc_co_u32_e32 v5, vcc, v5, v6, vcc
	s_andn2_b64 exec, exec, s[2:3]
	s_cbranch_execnz .LBB107_12
.LBB107_13:
	s_endpgm
	.section	.rodata,"a",@progbits
	.p2align	6, 0x0
	.amdhsa_kernel _ZN9rocsolver6v33100L17larf_right_kernelILi1024EdiPdEEvT1_S3_T2_lS3_lPKT0_lS4_lS3_l
		.amdhsa_group_segment_fixed_size 0
		.amdhsa_private_segment_fixed_size 0
		.amdhsa_kernarg_size 88
		.amdhsa_user_sgpr_count 6
		.amdhsa_user_sgpr_private_segment_buffer 1
		.amdhsa_user_sgpr_dispatch_ptr 0
		.amdhsa_user_sgpr_queue_ptr 0
		.amdhsa_user_sgpr_kernarg_segment_ptr 1
		.amdhsa_user_sgpr_dispatch_id 0
		.amdhsa_user_sgpr_flat_scratch_init 0
		.amdhsa_user_sgpr_kernarg_preload_length 0
		.amdhsa_user_sgpr_kernarg_preload_offset 0
		.amdhsa_user_sgpr_private_segment_size 0
		.amdhsa_uses_dynamic_stack 0
		.amdhsa_system_sgpr_private_segment_wavefront_offset 0
		.amdhsa_system_sgpr_workgroup_id_x 1
		.amdhsa_system_sgpr_workgroup_id_y 1
		.amdhsa_system_sgpr_workgroup_id_z 1
		.amdhsa_system_sgpr_workgroup_info 0
		.amdhsa_system_vgpr_workitem_id 0
		.amdhsa_next_free_vgpr 21
		.amdhsa_next_free_sgpr 36
		.amdhsa_accum_offset 24
		.amdhsa_reserve_vcc 1
		.amdhsa_reserve_flat_scratch 0
		.amdhsa_float_round_mode_32 0
		.amdhsa_float_round_mode_16_64 0
		.amdhsa_float_denorm_mode_32 3
		.amdhsa_float_denorm_mode_16_64 3
		.amdhsa_dx10_clamp 1
		.amdhsa_ieee_mode 1
		.amdhsa_fp16_overflow 0
		.amdhsa_tg_split 0
		.amdhsa_exception_fp_ieee_invalid_op 0
		.amdhsa_exception_fp_denorm_src 0
		.amdhsa_exception_fp_ieee_div_zero 0
		.amdhsa_exception_fp_ieee_overflow 0
		.amdhsa_exception_fp_ieee_underflow 0
		.amdhsa_exception_fp_ieee_inexact 0
		.amdhsa_exception_int_div_zero 0
	.end_amdhsa_kernel
	.section	.text._ZN9rocsolver6v33100L17larf_right_kernelILi1024EdiPdEEvT1_S3_T2_lS3_lPKT0_lS4_lS3_l,"axG",@progbits,_ZN9rocsolver6v33100L17larf_right_kernelILi1024EdiPdEEvT1_S3_T2_lS3_lPKT0_lS4_lS3_l,comdat
.Lfunc_end107:
	.size	_ZN9rocsolver6v33100L17larf_right_kernelILi1024EdiPdEEvT1_S3_T2_lS3_lPKT0_lS4_lS3_l, .Lfunc_end107-_ZN9rocsolver6v33100L17larf_right_kernelILi1024EdiPdEEvT1_S3_T2_lS3_lPKT0_lS4_lS3_l
                                        ; -- End function
	.section	.AMDGPU.csdata,"",@progbits
; Kernel info:
; codeLenInByte = 1456
; NumSgprs: 40
; NumVgprs: 21
; NumAgprs: 0
; TotalNumVgprs: 21
; ScratchSize: 0
; MemoryBound: 0
; FloatMode: 240
; IeeeMode: 1
; LDSByteSize: 0 bytes/workgroup (compile time only)
; SGPRBlocks: 4
; VGPRBlocks: 2
; NumSGPRsForWavesPerEU: 40
; NumVGPRsForWavesPerEU: 21
; AccumOffset: 24
; Occupancy: 8
; WaveLimiterHint : 0
; COMPUTE_PGM_RSRC2:SCRATCH_EN: 0
; COMPUTE_PGM_RSRC2:USER_SGPR: 6
; COMPUTE_PGM_RSRC2:TRAP_HANDLER: 0
; COMPUTE_PGM_RSRC2:TGID_X_EN: 1
; COMPUTE_PGM_RSRC2:TGID_Y_EN: 1
; COMPUTE_PGM_RSRC2:TGID_Z_EN: 1
; COMPUTE_PGM_RSRC2:TIDIG_COMP_CNT: 0
; COMPUTE_PGM_RSRC3_GFX90A:ACCUM_OFFSET: 5
; COMPUTE_PGM_RSRC3_GFX90A:TG_SPLIT: 0
	.section	.text._ZN9rocsolver6v33100L12restore_diagIdidPdEEvPT1_llT2_lT0_lS6_,"axG",@progbits,_ZN9rocsolver6v33100L12restore_diagIdidPdEEvPT1_llT2_lT0_lS6_,comdat
	.globl	_ZN9rocsolver6v33100L12restore_diagIdidPdEEvPT1_llT2_lT0_lS6_ ; -- Begin function _ZN9rocsolver6v33100L12restore_diagIdidPdEEvPT1_llT2_lT0_lS6_
	.p2align	8
	.type	_ZN9rocsolver6v33100L12restore_diagIdidPdEEvPT1_llT2_lT0_lS6_,@function
_ZN9rocsolver6v33100L12restore_diagIdidPdEEvPT1_llT2_lT0_lS6_: ; @_ZN9rocsolver6v33100L12restore_diagIdidPdEEvPT1_llT2_lT0_lS6_
; %bb.0:
	s_load_dword s0, s[4:5], 0x4c
	s_load_dword s1, s[4:5], 0x38
	v_bfe_u32 v0, v0, 10, 10
	s_waitcnt lgkmcnt(0)
	s_lshr_b32 s0, s0, 16
	s_mul_i32 s7, s7, s0
	v_add_u32_e32 v0, s7, v0
	v_cmp_gt_i32_e32 vcc, s1, v0
	s_and_saveexec_b64 s[0:1], vcc
	s_cbranch_execz .LBB108_2
; %bb.1:
	s_load_dwordx2 s[0:1], s[4:5], 0x30
	s_load_dwordx2 s[2:3], s[4:5], 0x20
	s_load_dword s7, s[4:5], 0x28
	s_load_dwordx8 s[8:15], s[4:5], 0x0
	s_ashr_i32 s4, s6, 31
	s_waitcnt lgkmcnt(0)
	s_mul_i32 s1, s6, s1
	s_mul_hi_u32 s5, s6, s0
	s_add_i32 s1, s5, s1
	s_mul_i32 s5, s4, s0
	s_add_i32 s1, s1, s5
	s_mul_i32 s0, s6, s0
	s_lshl_b64 s[0:1], s[0:1], 3
	s_add_u32 s5, s14, s0
	s_addc_u32 s14, s15, s1
	s_lshl_b64 s[0:1], s[2:3], 3
	s_add_u32 s2, s5, s0
	s_addc_u32 s3, s14, s1
	s_mul_i32 s0, s6, s13
	s_mul_hi_u32 s1, s6, s12
	s_add_i32 s0, s1, s0
	s_mul_i32 s4, s4, s12
	s_add_i32 s1, s0, s4
	s_mul_i32 s0, s6, s12
	s_lshl_b64 s[0:1], s[0:1], 3
	s_add_u32 s4, s8, s0
	s_addc_u32 s5, s9, s1
	s_lshl_b64 s[0:1], s[10:11], 3
	s_add_u32 s4, s4, s0
	s_addc_u32 s5, s5, s1
	v_mad_u64_u32 v[2:3], s[0:1], v0, s7, v[0:1]
	v_ashrrev_i32_e32 v1, 31, v0
	v_lshlrev_b64 v[0:1], 3, v[0:1]
	v_mov_b32_e32 v3, s5
	v_add_co_u32_e32 v0, vcc, s4, v0
	v_addc_co_u32_e32 v1, vcc, v3, v1, vcc
	global_load_dwordx2 v[0:1], v[0:1], off
	v_ashrrev_i32_e32 v3, 31, v2
	v_lshlrev_b64 v[2:3], 3, v[2:3]
	v_mov_b32_e32 v4, s3
	v_add_co_u32_e32 v2, vcc, s2, v2
	v_addc_co_u32_e32 v3, vcc, v4, v3, vcc
	s_waitcnt vmcnt(0)
	global_store_dwordx2 v[2:3], v[0:1], off
.LBB108_2:
	s_endpgm
	.section	.rodata,"a",@progbits
	.p2align	6, 0x0
	.amdhsa_kernel _ZN9rocsolver6v33100L12restore_diagIdidPdEEvPT1_llT2_lT0_lS6_
		.amdhsa_group_segment_fixed_size 0
		.amdhsa_private_segment_fixed_size 0
		.amdhsa_kernarg_size 320
		.amdhsa_user_sgpr_count 6
		.amdhsa_user_sgpr_private_segment_buffer 1
		.amdhsa_user_sgpr_dispatch_ptr 0
		.amdhsa_user_sgpr_queue_ptr 0
		.amdhsa_user_sgpr_kernarg_segment_ptr 1
		.amdhsa_user_sgpr_dispatch_id 0
		.amdhsa_user_sgpr_flat_scratch_init 0
		.amdhsa_user_sgpr_kernarg_preload_length 0
		.amdhsa_user_sgpr_kernarg_preload_offset 0
		.amdhsa_user_sgpr_private_segment_size 0
		.amdhsa_uses_dynamic_stack 0
		.amdhsa_system_sgpr_private_segment_wavefront_offset 0
		.amdhsa_system_sgpr_workgroup_id_x 1
		.amdhsa_system_sgpr_workgroup_id_y 1
		.amdhsa_system_sgpr_workgroup_id_z 0
		.amdhsa_system_sgpr_workgroup_info 0
		.amdhsa_system_vgpr_workitem_id 1
		.amdhsa_next_free_vgpr 5
		.amdhsa_next_free_sgpr 16
		.amdhsa_accum_offset 8
		.amdhsa_reserve_vcc 1
		.amdhsa_reserve_flat_scratch 0
		.amdhsa_float_round_mode_32 0
		.amdhsa_float_round_mode_16_64 0
		.amdhsa_float_denorm_mode_32 3
		.amdhsa_float_denorm_mode_16_64 3
		.amdhsa_dx10_clamp 1
		.amdhsa_ieee_mode 1
		.amdhsa_fp16_overflow 0
		.amdhsa_tg_split 0
		.amdhsa_exception_fp_ieee_invalid_op 0
		.amdhsa_exception_fp_denorm_src 0
		.amdhsa_exception_fp_ieee_div_zero 0
		.amdhsa_exception_fp_ieee_overflow 0
		.amdhsa_exception_fp_ieee_underflow 0
		.amdhsa_exception_fp_ieee_inexact 0
		.amdhsa_exception_int_div_zero 0
	.end_amdhsa_kernel
	.section	.text._ZN9rocsolver6v33100L12restore_diagIdidPdEEvPT1_llT2_lT0_lS6_,"axG",@progbits,_ZN9rocsolver6v33100L12restore_diagIdidPdEEvPT1_llT2_lT0_lS6_,comdat
.Lfunc_end108:
	.size	_ZN9rocsolver6v33100L12restore_diagIdidPdEEvPT1_llT2_lT0_lS6_, .Lfunc_end108-_ZN9rocsolver6v33100L12restore_diagIdidPdEEvPT1_llT2_lT0_lS6_
                                        ; -- End function
	.section	.AMDGPU.csdata,"",@progbits
; Kernel info:
; codeLenInByte = 268
; NumSgprs: 20
; NumVgprs: 5
; NumAgprs: 0
; TotalNumVgprs: 5
; ScratchSize: 0
; MemoryBound: 0
; FloatMode: 240
; IeeeMode: 1
; LDSByteSize: 0 bytes/workgroup (compile time only)
; SGPRBlocks: 2
; VGPRBlocks: 0
; NumSGPRsForWavesPerEU: 20
; NumVGPRsForWavesPerEU: 5
; AccumOffset: 8
; Occupancy: 8
; WaveLimiterHint : 0
; COMPUTE_PGM_RSRC2:SCRATCH_EN: 0
; COMPUTE_PGM_RSRC2:USER_SGPR: 6
; COMPUTE_PGM_RSRC2:TRAP_HANDLER: 0
; COMPUTE_PGM_RSRC2:TGID_X_EN: 1
; COMPUTE_PGM_RSRC2:TGID_Y_EN: 1
; COMPUTE_PGM_RSRC2:TGID_Z_EN: 0
; COMPUTE_PGM_RSRC2:TIDIG_COMP_CNT: 1
; COMPUTE_PGM_RSRC3_GFX90A:ACCUM_OFFSET: 1
; COMPUTE_PGM_RSRC3_GFX90A:TG_SPLIT: 0
	.section	.text._ZN9rocsolver6v33100L14set_triangularIdPdTnNSt9enable_ifIXnt18rocblas_is_complexIT_EEiE4typeELi0EEEviiT0_iilPS4_lS8_il15rocblas_direct_15rocblas_storev_b,"axG",@progbits,_ZN9rocsolver6v33100L14set_triangularIdPdTnNSt9enable_ifIXnt18rocblas_is_complexIT_EEiE4typeELi0EEEviiT0_iilPS4_lS8_il15rocblas_direct_15rocblas_storev_b,comdat
	.globl	_ZN9rocsolver6v33100L14set_triangularIdPdTnNSt9enable_ifIXnt18rocblas_is_complexIT_EEiE4typeELi0EEEviiT0_iilPS4_lS8_il15rocblas_direct_15rocblas_storev_b ; -- Begin function _ZN9rocsolver6v33100L14set_triangularIdPdTnNSt9enable_ifIXnt18rocblas_is_complexIT_EEiE4typeELi0EEEviiT0_iilPS4_lS8_il15rocblas_direct_15rocblas_storev_b
	.p2align	8
	.type	_ZN9rocsolver6v33100L14set_triangularIdPdTnNSt9enable_ifIXnt18rocblas_is_complexIT_EEiE4typeELi0EEEviiT0_iilPS4_lS8_il15rocblas_direct_15rocblas_storev_b,@function
_ZN9rocsolver6v33100L14set_triangularIdPdTnNSt9enable_ifIXnt18rocblas_is_complexIT_EEiE4typeELi0EEEviiT0_iilPS4_lS8_il15rocblas_direct_15rocblas_storev_b: ; @_ZN9rocsolver6v33100L14set_triangularIdPdTnNSt9enable_ifIXnt18rocblas_is_complexIT_EEiE4typeELi0EEEviiT0_iilPS4_lS8_il15rocblas_direct_15rocblas_storev_b
; %bb.0:
	s_load_dword s0, s[4:5], 0x64
	s_load_dwordx2 s[20:21], s[4:5], 0x0
	v_and_b32_e32 v1, 0x3ff, v0
	v_bfe_u32 v0, v0, 10, 10
	s_waitcnt lgkmcnt(0)
	s_lshr_b32 s1, s0, 16
	s_and_b32 s0, s0, 0xffff
	s_mul_i32 s6, s6, s0
	s_mul_i32 s7, s7, s1
	v_add_u32_e32 v2, s6, v1
	v_add_u32_e32 v0, s7, v0
	v_max_u32_e32 v1, v2, v0
	v_cmp_gt_u32_e32 vcc, s21, v1
	s_and_saveexec_b64 s[0:1], vcc
	s_cbranch_execz .LBB109_36
; %bb.1:
	s_load_dwordx8 s[12:19], s[4:5], 0x18
	s_load_dword s22, s[4:5], 0x38
	s_load_dwordx2 s[0:1], s[4:5], 0x40
	v_cmp_ne_u32_e32 vcc, v0, v2
	s_waitcnt lgkmcnt(0)
	s_mul_i32 s3, s8, s17
	s_mul_hi_u32 s6, s8, s16
	s_mul_i32 s2, s8, s16
	s_add_i32 s3, s6, s3
	s_lshl_b64 s[2:3], s[2:3], 3
	s_add_u32 s16, s14, s2
	s_mul_i32 s1, s8, s1
	s_mul_hi_u32 s2, s8, s0
	s_addc_u32 s17, s15, s3
	s_add_i32 s1, s2, s1
	s_mul_i32 s0, s8, s0
	s_lshl_b64 s[0:1], s[0:1], 3
	s_add_u32 s14, s18, s0
	s_addc_u32 s15, s19, s1
	s_and_saveexec_b64 s[0:1], vcc
	s_xor_b64 s[10:11], exec, s[0:1]
	s_cbranch_execz .LBB109_34
; %bb.2:
	s_load_dwordx4 s[0:3], s[4:5], 0x8
	s_mul_i32 s9, s8, s13
	s_mul_hi_u32 s13, s8, s12
	s_add_i32 s9, s13, s9
	s_mul_i32 s8, s8, s12
	s_load_dwordx4 s[4:7], s[4:5], 0x48
	s_waitcnt lgkmcnt(0)
	s_ashr_i32 s19, s2, 31
	s_lshl_b64 s[8:9], s[8:9], 3
	s_mov_b32 s18, s2
	s_add_u32 s2, s0, s8
	s_addc_u32 s7, s1, s9
	s_lshl_b64 s[0:1], s[18:19], 3
	s_add_u32 s2, s2, s0
	s_addc_u32 s12, s7, s1
	s_bitcmp1_b32 s6, 0
	s_cselect_b64 s[0:1], -1, 0
	s_xor_b64 s[0:1], s[0:1], -1
	s_mov_b64 s[6:7], -1
	s_cmpk_lg_i32 s4, 0xab
	v_mov_b32_e32 v3, 0
	s_cbranch_scc0 .LBB109_18
; %bb.3:
	v_cmp_le_u32_e32 vcc, v0, v2
	s_and_saveexec_b64 s[6:7], vcc
	s_xor_b64 s[6:7], exec, s[6:7]
	s_cbranch_execz .LBB109_5
; %bb.4:
	v_mad_u64_u32 v[4:5], s[8:9], v2, s22, 0
	s_ashr_i32 s4, s22, 31
	v_mov_b32_e32 v6, v5
	v_mad_u64_u32 v[6:7], s[8:9], v2, s4, v[6:7]
	v_mov_b32_e32 v5, v6
	v_lshlrev_b64 v[4:5], 3, v[4:5]
	v_mov_b32_e32 v1, 0
	v_mov_b32_e32 v6, s15
	v_add_co_u32_e32 v7, vcc, s14, v4
	v_addc_co_u32_e32 v6, vcc, v6, v5, vcc
	v_lshlrev_b64 v[4:5], 3, v[0:1]
	v_add_co_u32_e32 v4, vcc, v7, v4
	v_addc_co_u32_e32 v5, vcc, v6, v5, vcc
	v_mov_b32_e32 v6, v1
	v_mov_b32_e32 v7, v1
	global_store_dwordx2 v[4:5], v[6:7], off
.LBB109_5:
	s_andn2_saveexec_b64 s[6:7], s[6:7]
	s_cbranch_execz .LBB109_17
; %bb.6:
	v_lshlrev_b64 v[4:5], 3, v[2:3]
	v_mov_b32_e32 v1, s17
	v_add_co_u32_e32 v4, vcc, s16, v4
	v_addc_co_u32_e32 v5, vcc, v1, v5, vcc
	global_load_dwordx2 v[4:5], v[4:5], off
	s_cmpk_lg_i32 s5, 0xb5
	s_mov_b64 s[8:9], -1
	s_cbranch_scc0 .LBB109_12
; %bb.7:
	v_mov_b32_e32 v1, 0
	s_andn2_b64 vcc, exec, s[0:1]
	v_lshlrev_b64 v[6:7], 3, v[0:1]
	s_cbranch_vccnz .LBB109_9
; %bb.8:
	s_sub_i32 s4, s20, s21
	v_add_u32_e32 v1, s4, v2
	v_mad_u64_u32 v[8:9], s[8:9], v1, s3, 0
	s_ashr_i32 s4, s3, 31
	v_mov_b32_e32 v10, v9
	v_mad_u64_u32 v[10:11], s[8:9], v1, s4, v[10:11]
	v_mov_b32_e32 v9, v10
	v_lshlrev_b64 v[8:9], 3, v[8:9]
	v_mov_b32_e32 v1, s12
	v_add_co_u32_e32 v8, vcc, s2, v8
	v_addc_co_u32_e32 v1, vcc, v1, v9, vcc
	v_add_co_u32_e32 v8, vcc, v8, v6
	v_addc_co_u32_e32 v9, vcc, v1, v7, vcc
	global_load_dwordx2 v[8:9], v[8:9], off
	v_mad_u64_u32 v[10:11], s[8:9], v2, s22, 0
	s_ashr_i32 s4, s22, 31
	v_mov_b32_e32 v12, v11
	v_mad_u64_u32 v[12:13], s[8:9], v2, s4, v[12:13]
	v_mov_b32_e32 v11, v12
	v_lshlrev_b64 v[10:11], 3, v[10:11]
	v_mov_b32_e32 v1, s15
	v_add_co_u32_e32 v10, vcc, s14, v10
	v_addc_co_u32_e32 v1, vcc, v1, v11, vcc
	v_add_co_u32_e32 v10, vcc, v10, v6
	v_addc_co_u32_e32 v11, vcc, v1, v7, vcc
	s_mov_b64 s[8:9], 0
	s_waitcnt vmcnt(0)
	v_mul_f64 v[8:9], v[8:9], -v[4:5]
	global_store_dwordx2 v[10:11], v[8:9], off
.LBB109_9:
	s_andn2_b64 vcc, exec, s[8:9]
	s_cbranch_vccnz .LBB109_11
; %bb.10:
	v_mad_u64_u32 v[8:9], s[8:9], v2, s22, 0
	s_ashr_i32 s4, s22, 31
	v_mov_b32_e32 v10, v9
	v_mad_u64_u32 v[10:11], s[8:9], v2, s4, v[10:11]
	v_mov_b32_e32 v9, v10
	v_lshlrev_b64 v[8:9], 3, v[8:9]
	v_mov_b32_e32 v1, s15
	v_add_co_u32_e32 v8, vcc, s14, v8
	v_addc_co_u32_e32 v1, vcc, v1, v9, vcc
	v_add_co_u32_e32 v8, vcc, v8, v6
	s_sub_i32 s4, s20, s21
	v_addc_co_u32_e32 v9, vcc, v1, v7, vcc
	v_add_u32_e32 v1, s4, v2
	v_mad_u64_u32 v[12:13], s[8:9], v1, s3, 0
	s_ashr_i32 s4, s3, 31
	v_mov_b32_e32 v14, v13
	v_mad_u64_u32 v[14:15], s[8:9], v1, s4, v[14:15]
	v_mov_b32_e32 v13, v14
	v_lshlrev_b64 v[12:13], 3, v[12:13]
	v_mov_b32_e32 v1, s12
	v_add_co_u32_e32 v12, vcc, s2, v12
	v_addc_co_u32_e32 v1, vcc, v1, v13, vcc
	v_add_co_u32_e32 v6, vcc, v12, v6
	v_addc_co_u32_e32 v7, vcc, v1, v7, vcc
	global_load_dwordx2 v[10:11], v[8:9], off
	s_nop 0
	global_load_dwordx2 v[6:7], v[6:7], off
	s_waitcnt vmcnt(0)
	v_add_f64 v[6:7], v[10:11], v[6:7]
	v_mul_f64 v[6:7], v[6:7], -v[4:5]
	global_store_dwordx2 v[8:9], v[6:7], off
.LBB109_11:
	s_mov_b64 s[8:9], 0
.LBB109_12:
	s_andn2_b64 vcc, exec, s[8:9]
	s_cbranch_vccnz .LBB109_17
; %bb.13:
	s_andn2_b64 vcc, exec, s[0:1]
	s_mov_b64 s[8:9], -1
	s_cbranch_vccnz .LBB109_15
; %bb.14:
	s_sub_i32 s4, s20, s21
	v_mad_u64_u32 v[8:9], s[8:9], v0, s3, 0
	v_add_u32_e32 v6, s4, v2
	s_ashr_i32 s4, s3, 31
	v_mov_b32_e32 v10, v9
	v_mad_u64_u32 v[10:11], s[8:9], v0, s4, v[10:11]
	v_mov_b32_e32 v9, v10
	v_lshlrev_b64 v[8:9], 3, v[8:9]
	v_mov_b32_e32 v7, 0
	v_mov_b32_e32 v1, s12
	v_add_co_u32_e32 v10, vcc, s2, v8
	v_addc_co_u32_e32 v1, vcc, v1, v9, vcc
	v_lshlrev_b64 v[8:9], 3, v[6:7]
	v_add_co_u32_e32 v8, vcc, v10, v8
	v_addc_co_u32_e32 v9, vcc, v1, v9, vcc
	global_load_dwordx2 v[8:9], v[8:9], off
	v_mad_u64_u32 v[10:11], s[8:9], v2, s22, 0
	s_ashr_i32 s4, s22, 31
	v_mov_b32_e32 v6, v11
	v_mov_b32_e32 v1, v7
	v_mad_u64_u32 v[6:7], s[8:9], v2, s4, v[6:7]
	v_mov_b32_e32 v11, v6
	v_lshlrev_b64 v[6:7], 3, v[10:11]
	v_mov_b32_e32 v14, s15
	v_lshlrev_b64 v[12:13], 3, v[0:1]
	v_add_co_u32_e32 v1, vcc, s14, v6
	v_addc_co_u32_e32 v7, vcc, v14, v7, vcc
	v_add_co_u32_e32 v6, vcc, v1, v12
	v_addc_co_u32_e32 v7, vcc, v7, v13, vcc
	s_mov_b64 s[8:9], 0
	s_waitcnt vmcnt(0)
	v_mul_f64 v[8:9], v[8:9], -v[4:5]
	global_store_dwordx2 v[6:7], v[8:9], off
.LBB109_15:
	s_andn2_b64 vcc, exec, s[8:9]
	s_cbranch_vccnz .LBB109_17
; %bb.16:
	v_mad_u64_u32 v[6:7], s[8:9], v2, s22, 0
	s_ashr_i32 s4, s22, 31
	v_mov_b32_e32 v8, v7
	v_mad_u64_u32 v[8:9], s[8:9], v2, s4, v[8:9]
	v_mov_b32_e32 v7, v8
	v_lshlrev_b64 v[6:7], 3, v[6:7]
	s_sub_i32 s4, s20, s21
	v_mad_u64_u32 v[12:13], s[8:9], v0, s3, 0
	v_mov_b32_e32 v1, 0
	v_mov_b32_e32 v8, s15
	v_add_co_u32_e32 v9, vcc, s14, v6
	v_add_u32_e32 v10, s4, v2
	s_ashr_i32 s4, s3, 31
	v_mov_b32_e32 v14, v13
	v_addc_co_u32_e32 v8, vcc, v8, v7, vcc
	v_lshlrev_b64 v[6:7], 3, v[0:1]
	v_mad_u64_u32 v[14:15], s[8:9], v0, s4, v[14:15]
	v_add_co_u32_e32 v6, vcc, v9, v6
	v_mov_b32_e32 v13, v14
	v_addc_co_u32_e32 v7, vcc, v8, v7, vcc
	v_lshlrev_b64 v[12:13], 3, v[12:13]
	v_mov_b32_e32 v11, v1
	v_mov_b32_e32 v1, s12
	v_add_co_u32_e32 v12, vcc, s2, v12
	v_addc_co_u32_e32 v1, vcc, v1, v13, vcc
	v_lshlrev_b64 v[10:11], 3, v[10:11]
	v_add_co_u32_e32 v10, vcc, v12, v10
	v_addc_co_u32_e32 v11, vcc, v1, v11, vcc
	global_load_dwordx2 v[8:9], v[6:7], off
	s_nop 0
	global_load_dwordx2 v[10:11], v[10:11], off
	s_waitcnt vmcnt(0)
	v_add_f64 v[8:9], v[8:9], v[10:11]
	v_mul_f64 v[4:5], v[8:9], -v[4:5]
	global_store_dwordx2 v[6:7], v[4:5], off
.LBB109_17:
	s_or_b64 exec, exec, s[6:7]
	s_mov_b64 s[6:7], 0
.LBB109_18:
	s_andn2_b64 vcc, exec, s[6:7]
	s_cbranch_vccnz .LBB109_34
; %bb.19:
	v_cmp_ge_u32_e32 vcc, v0, v2
	s_and_saveexec_b64 s[6:7], vcc
	s_xor_b64 s[6:7], exec, s[6:7]
	s_cbranch_execz .LBB109_21
; %bb.20:
	s_waitcnt vmcnt(0)
	v_mad_u64_u32 v[4:5], s[8:9], v2, s22, 0
	s_ashr_i32 s4, s22, 31
	v_mov_b32_e32 v6, v5
	v_mad_u64_u32 v[2:3], s[8:9], v2, s4, v[6:7]
	v_mov_b32_e32 v5, v2
	v_lshlrev_b64 v[2:3], 3, v[4:5]
	v_mov_b32_e32 v1, 0
	v_mov_b32_e32 v4, s15
	v_add_co_u32_e32 v5, vcc, s14, v2
	v_addc_co_u32_e32 v4, vcc, v4, v3, vcc
	v_lshlrev_b64 v[2:3], 3, v[0:1]
	v_add_co_u32_e32 v2, vcc, v5, v2
	v_addc_co_u32_e32 v3, vcc, v4, v3, vcc
	v_mov_b32_e32 v0, v1
	global_store_dwordx2 v[2:3], v[0:1], off
                                        ; implicit-def: $vgpr2_vgpr3
                                        ; implicit-def: $vgpr0
.LBB109_21:
	s_andn2_saveexec_b64 s[6:7], s[6:7]
	s_cbranch_execz .LBB109_33
; %bb.22:
	s_waitcnt vmcnt(0)
	v_lshlrev_b64 v[4:5], 3, v[2:3]
	v_mov_b32_e32 v1, s17
	v_add_co_u32_e32 v6, vcc, s16, v4
	v_addc_co_u32_e32 v7, vcc, v1, v5, vcc
	global_load_dwordx2 v[6:7], v[6:7], off
	v_cndmask_b32_e64 v3, 0, 1, s[0:1]
	s_cmpk_lg_i32 s5, 0xb5
	v_mov_b32_e32 v1, 0
	s_mov_b64 s[4:5], -1
	v_cmp_ne_u32_e64 s[0:1], 1, v3
	s_cbranch_scc0 .LBB109_28
; %bb.23:
	s_and_b64 vcc, exec, s[0:1]
	s_cbranch_vccnz .LBB109_25
; %bb.24:
	v_mad_u64_u32 v[8:9], s[4:5], v2, s3, 0
	s_ashr_i32 s8, s3, 31
	v_mov_b32_e32 v10, v9
	v_mad_u64_u32 v[10:11], s[4:5], v2, s8, v[10:11]
	v_mov_b32_e32 v9, v10
	v_lshlrev_b64 v[8:9], 3, v[8:9]
	v_mov_b32_e32 v3, s12
	v_add_co_u32_e32 v10, vcc, s2, v8
	v_addc_co_u32_e32 v3, vcc, v3, v9, vcc
	v_lshlrev_b64 v[8:9], 3, v[0:1]
	v_add_co_u32_e32 v10, vcc, v10, v8
	v_addc_co_u32_e32 v11, vcc, v3, v9, vcc
	global_load_dwordx2 v[10:11], v[10:11], off
	v_mad_u64_u32 v[12:13], s[4:5], v2, s22, 0
	s_ashr_i32 s8, s22, 31
	v_mov_b32_e32 v14, v13
	v_mad_u64_u32 v[14:15], s[4:5], v2, s8, v[14:15]
	v_mov_b32_e32 v13, v14
	v_lshlrev_b64 v[12:13], 3, v[12:13]
	v_mov_b32_e32 v3, s15
	v_add_co_u32_e32 v12, vcc, s14, v12
	v_addc_co_u32_e32 v3, vcc, v3, v13, vcc
	v_add_co_u32_e32 v8, vcc, v12, v8
	v_addc_co_u32_e32 v9, vcc, v3, v9, vcc
	s_mov_b64 s[4:5], 0
	s_waitcnt vmcnt(0)
	v_mul_f64 v[10:11], v[10:11], -v[6:7]
	global_store_dwordx2 v[8:9], v[10:11], off
.LBB109_25:
	s_andn2_b64 vcc, exec, s[4:5]
	s_cbranch_vccnz .LBB109_27
; %bb.26:
	v_mad_u64_u32 v[8:9], s[4:5], v2, s22, 0
	s_ashr_i32 s8, s22, 31
	v_mov_b32_e32 v10, v9
	v_mad_u64_u32 v[10:11], s[4:5], v2, s8, v[10:11]
	v_mov_b32_e32 v9, v10
	v_lshlrev_b64 v[8:9], 3, v[8:9]
	v_mad_u64_u32 v[14:15], s[4:5], v2, s3, 0
	v_mov_b32_e32 v3, s15
	v_add_co_u32_e32 v10, vcc, s14, v8
	s_ashr_i32 s8, s3, 31
	v_mov_b32_e32 v16, v15
	v_addc_co_u32_e32 v3, vcc, v3, v9, vcc
	v_lshlrev_b64 v[8:9], 3, v[0:1]
	v_mad_u64_u32 v[16:17], s[4:5], v2, s8, v[16:17]
	v_add_co_u32_e32 v10, vcc, v10, v8
	v_mov_b32_e32 v15, v16
	v_addc_co_u32_e32 v11, vcc, v3, v9, vcc
	v_lshlrev_b64 v[14:15], 3, v[14:15]
	v_mov_b32_e32 v3, s12
	v_add_co_u32_e32 v14, vcc, s2, v14
	v_addc_co_u32_e32 v3, vcc, v3, v15, vcc
	v_add_co_u32_e32 v8, vcc, v14, v8
	v_addc_co_u32_e32 v9, vcc, v3, v9, vcc
	global_load_dwordx2 v[12:13], v[10:11], off
	s_nop 0
	global_load_dwordx2 v[8:9], v[8:9], off
	s_waitcnt vmcnt(0)
	v_add_f64 v[8:9], v[12:13], v[8:9]
	v_mul_f64 v[8:9], v[8:9], -v[6:7]
	global_store_dwordx2 v[10:11], v[8:9], off
.LBB109_27:
	s_mov_b64 s[4:5], 0
.LBB109_28:
	s_andn2_b64 vcc, exec, s[4:5]
	s_cbranch_vccnz .LBB109_33
; %bb.29:
	s_mov_b64 s[4:5], -1
	s_and_b64 vcc, exec, s[0:1]
	v_lshlrev_b64 v[8:9], 3, v[0:1]
	s_cbranch_vccnz .LBB109_31
; %bb.30:
	v_mad_u64_u32 v[10:11], s[0:1], v0, s3, 0
	s_ashr_i32 s4, s3, 31
	v_mov_b32_e32 v12, v11
	v_mad_u64_u32 v[12:13], s[0:1], v0, s4, v[12:13]
	v_mov_b32_e32 v11, v12
	v_lshlrev_b64 v[10:11], 3, v[10:11]
	v_mov_b32_e32 v1, s12
	v_add_co_u32_e32 v3, vcc, s2, v10
	v_addc_co_u32_e32 v1, vcc, v1, v11, vcc
	v_add_co_u32_e32 v10, vcc, v3, v4
	v_addc_co_u32_e32 v11, vcc, v1, v5, vcc
	global_load_dwordx2 v[10:11], v[10:11], off
	v_mad_u64_u32 v[12:13], s[0:1], v2, s22, 0
	s_ashr_i32 s4, s22, 31
	v_mov_b32_e32 v14, v13
	v_mad_u64_u32 v[14:15], s[0:1], v2, s4, v[14:15]
	v_mov_b32_e32 v13, v14
	v_lshlrev_b64 v[12:13], 3, v[12:13]
	v_mov_b32_e32 v1, s15
	v_add_co_u32_e32 v3, vcc, s14, v12
	v_addc_co_u32_e32 v1, vcc, v1, v13, vcc
	v_add_co_u32_e32 v12, vcc, v3, v8
	v_addc_co_u32_e32 v13, vcc, v1, v9, vcc
	s_mov_b64 s[4:5], 0
	s_waitcnt vmcnt(0)
	v_mul_f64 v[10:11], v[10:11], -v[6:7]
	global_store_dwordx2 v[12:13], v[10:11], off
.LBB109_31:
	s_andn2_b64 vcc, exec, s[4:5]
	s_cbranch_vccnz .LBB109_33
; %bb.32:
	v_mad_u64_u32 v[10:11], s[0:1], v2, s22, 0
	s_ashr_i32 s4, s22, 31
	v_mov_b32_e32 v12, v11
	v_mad_u64_u32 v[2:3], s[0:1], v2, s4, v[12:13]
	v_mov_b32_e32 v11, v2
	v_lshlrev_b64 v[2:3], 3, v[10:11]
	v_mov_b32_e32 v1, s15
	v_add_co_u32_e32 v2, vcc, s14, v2
	v_addc_co_u32_e32 v1, vcc, v1, v3, vcc
	v_mad_u64_u32 v[10:11], s[0:1], v0, s3, 0
	v_add_co_u32_e32 v2, vcc, v2, v8
	s_ashr_i32 s4, s3, 31
	v_mov_b32_e32 v12, v11
	v_addc_co_u32_e32 v3, vcc, v1, v9, vcc
	v_mad_u64_u32 v[0:1], s[0:1], v0, s4, v[12:13]
	v_mov_b32_e32 v11, v0
	v_lshlrev_b64 v[0:1], 3, v[10:11]
	v_mov_b32_e32 v10, s12
	v_add_co_u32_e32 v0, vcc, s2, v0
	v_addc_co_u32_e32 v1, vcc, v10, v1, vcc
	v_add_co_u32_e32 v0, vcc, v0, v4
	v_addc_co_u32_e32 v1, vcc, v1, v5, vcc
	global_load_dwordx2 v[8:9], v[2:3], off
	s_nop 0
	global_load_dwordx2 v[0:1], v[0:1], off
	s_waitcnt vmcnt(0)
	v_add_f64 v[0:1], v[8:9], v[0:1]
	v_mul_f64 v[0:1], v[0:1], -v[6:7]
	global_store_dwordx2 v[2:3], v[0:1], off
.LBB109_33:
	s_or_b64 exec, exec, s[6:7]
                                        ; implicit-def: $vgpr2
.LBB109_34:
	s_andn2_saveexec_b64 s[0:1], s[10:11]
	s_cbranch_execz .LBB109_36
; %bb.35:
	v_mov_b32_e32 v3, 0
	v_lshlrev_b64 v[0:1], 3, v[2:3]
	v_mov_b32_e32 v3, s17
	s_waitcnt vmcnt(0)
	v_add_co_u32_e32 v4, vcc, s16, v0
	v_addc_co_u32_e32 v5, vcc, v3, v1, vcc
	global_load_dwordx2 v[4:5], v[4:5], off
	v_mad_u64_u32 v[6:7], s[0:1], v2, s22, 0
	s_ashr_i32 s2, s22, 31
	v_mov_b32_e32 v8, v7
	v_mad_u64_u32 v[2:3], s[0:1], v2, s2, v[8:9]
	v_mov_b32_e32 v7, v2
	v_lshlrev_b64 v[2:3], 3, v[6:7]
	v_mov_b32_e32 v6, s15
	v_add_co_u32_e32 v2, vcc, s14, v2
	v_addc_co_u32_e32 v3, vcc, v6, v3, vcc
	v_add_co_u32_e32 v0, vcc, v2, v0
	v_addc_co_u32_e32 v1, vcc, v3, v1, vcc
	s_waitcnt vmcnt(0)
	global_store_dwordx2 v[0:1], v[4:5], off
.LBB109_36:
	s_endpgm
	.section	.rodata,"a",@progbits
	.p2align	6, 0x0
	.amdhsa_kernel _ZN9rocsolver6v33100L14set_triangularIdPdTnNSt9enable_ifIXnt18rocblas_is_complexIT_EEiE4typeELi0EEEviiT0_iilPS4_lS8_il15rocblas_direct_15rocblas_storev_b
		.amdhsa_group_segment_fixed_size 0
		.amdhsa_private_segment_fixed_size 0
		.amdhsa_kernarg_size 344
		.amdhsa_user_sgpr_count 6
		.amdhsa_user_sgpr_private_segment_buffer 1
		.amdhsa_user_sgpr_dispatch_ptr 0
		.amdhsa_user_sgpr_queue_ptr 0
		.amdhsa_user_sgpr_kernarg_segment_ptr 1
		.amdhsa_user_sgpr_dispatch_id 0
		.amdhsa_user_sgpr_flat_scratch_init 0
		.amdhsa_user_sgpr_kernarg_preload_length 0
		.amdhsa_user_sgpr_kernarg_preload_offset 0
		.amdhsa_user_sgpr_private_segment_size 0
		.amdhsa_uses_dynamic_stack 0
		.amdhsa_system_sgpr_private_segment_wavefront_offset 0
		.amdhsa_system_sgpr_workgroup_id_x 1
		.amdhsa_system_sgpr_workgroup_id_y 1
		.amdhsa_system_sgpr_workgroup_id_z 1
		.amdhsa_system_sgpr_workgroup_info 0
		.amdhsa_system_vgpr_workitem_id 1
		.amdhsa_next_free_vgpr 18
		.amdhsa_next_free_sgpr 23
		.amdhsa_accum_offset 20
		.amdhsa_reserve_vcc 1
		.amdhsa_reserve_flat_scratch 0
		.amdhsa_float_round_mode_32 0
		.amdhsa_float_round_mode_16_64 0
		.amdhsa_float_denorm_mode_32 3
		.amdhsa_float_denorm_mode_16_64 3
		.amdhsa_dx10_clamp 1
		.amdhsa_ieee_mode 1
		.amdhsa_fp16_overflow 0
		.amdhsa_tg_split 0
		.amdhsa_exception_fp_ieee_invalid_op 0
		.amdhsa_exception_fp_denorm_src 0
		.amdhsa_exception_fp_ieee_div_zero 0
		.amdhsa_exception_fp_ieee_overflow 0
		.amdhsa_exception_fp_ieee_underflow 0
		.amdhsa_exception_fp_ieee_inexact 0
		.amdhsa_exception_int_div_zero 0
	.end_amdhsa_kernel
	.section	.text._ZN9rocsolver6v33100L14set_triangularIdPdTnNSt9enable_ifIXnt18rocblas_is_complexIT_EEiE4typeELi0EEEviiT0_iilPS4_lS8_il15rocblas_direct_15rocblas_storev_b,"axG",@progbits,_ZN9rocsolver6v33100L14set_triangularIdPdTnNSt9enable_ifIXnt18rocblas_is_complexIT_EEiE4typeELi0EEEviiT0_iilPS4_lS8_il15rocblas_direct_15rocblas_storev_b,comdat
.Lfunc_end109:
	.size	_ZN9rocsolver6v33100L14set_triangularIdPdTnNSt9enable_ifIXnt18rocblas_is_complexIT_EEiE4typeELi0EEEviiT0_iilPS4_lS8_il15rocblas_direct_15rocblas_storev_b, .Lfunc_end109-_ZN9rocsolver6v33100L14set_triangularIdPdTnNSt9enable_ifIXnt18rocblas_is_complexIT_EEiE4typeELi0EEEviiT0_iilPS4_lS8_il15rocblas_direct_15rocblas_storev_b
                                        ; -- End function
	.section	.AMDGPU.csdata,"",@progbits
; Kernel info:
; codeLenInByte = 2160
; NumSgprs: 27
; NumVgprs: 18
; NumAgprs: 0
; TotalNumVgprs: 18
; ScratchSize: 0
; MemoryBound: 0
; FloatMode: 240
; IeeeMode: 1
; LDSByteSize: 0 bytes/workgroup (compile time only)
; SGPRBlocks: 3
; VGPRBlocks: 2
; NumSGPRsForWavesPerEU: 27
; NumVGPRsForWavesPerEU: 18
; AccumOffset: 20
; Occupancy: 8
; WaveLimiterHint : 0
; COMPUTE_PGM_RSRC2:SCRATCH_EN: 0
; COMPUTE_PGM_RSRC2:USER_SGPR: 6
; COMPUTE_PGM_RSRC2:TRAP_HANDLER: 0
; COMPUTE_PGM_RSRC2:TGID_X_EN: 1
; COMPUTE_PGM_RSRC2:TGID_Y_EN: 1
; COMPUTE_PGM_RSRC2:TGID_Z_EN: 1
; COMPUTE_PGM_RSRC2:TIDIG_COMP_CNT: 1
; COMPUTE_PGM_RSRC3_GFX90A:ACCUM_OFFSET: 4
; COMPUTE_PGM_RSRC3_GFX90A:TG_SPLIT: 0
	.section	.text._ZN9rocsolver6v33100L7set_tauIdEEviPT_l,"axG",@progbits,_ZN9rocsolver6v33100L7set_tauIdEEviPT_l,comdat
	.globl	_ZN9rocsolver6v33100L7set_tauIdEEviPT_l ; -- Begin function _ZN9rocsolver6v33100L7set_tauIdEEviPT_l
	.p2align	8
	.type	_ZN9rocsolver6v33100L7set_tauIdEEviPT_l,@function
_ZN9rocsolver6v33100L7set_tauIdEEviPT_l: ; @_ZN9rocsolver6v33100L7set_tauIdEEviPT_l
; %bb.0:
	s_load_dword s0, s[4:5], 0x24
	s_load_dword s1, s[4:5], 0x0
	s_waitcnt lgkmcnt(0)
	s_and_b32 s0, s0, 0xffff
	s_mul_i32 s6, s6, s0
	v_add_u32_e32 v0, s6, v0
	v_cmp_gt_u32_e32 vcc, s1, v0
	s_and_saveexec_b64 s[0:1], vcc
	s_cbranch_execz .LBB110_2
; %bb.1:
	s_load_dwordx4 s[0:3], s[4:5], 0x8
	v_mov_b32_e32 v1, 0
	v_lshlrev_b64 v[0:1], 3, v[0:1]
	s_waitcnt lgkmcnt(0)
	s_mul_i32 s3, s7, s3
	s_mul_hi_u32 s4, s7, s2
	s_mul_i32 s2, s7, s2
	s_add_i32 s3, s4, s3
	s_lshl_b64 s[2:3], s[2:3], 3
	s_add_u32 s0, s0, s2
	s_addc_u32 s1, s1, s3
	v_mov_b32_e32 v2, s1
	v_add_co_u32_e32 v0, vcc, s0, v0
	v_addc_co_u32_e32 v1, vcc, v2, v1, vcc
	global_load_dwordx2 v[2:3], v[0:1], off
	s_waitcnt vmcnt(0)
	v_xor_b32_e32 v3, 0x80000000, v3
	global_store_dwordx2 v[0:1], v[2:3], off
.LBB110_2:
	s_endpgm
	.section	.rodata,"a",@progbits
	.p2align	6, 0x0
	.amdhsa_kernel _ZN9rocsolver6v33100L7set_tauIdEEviPT_l
		.amdhsa_group_segment_fixed_size 0
		.amdhsa_private_segment_fixed_size 0
		.amdhsa_kernarg_size 280
		.amdhsa_user_sgpr_count 6
		.amdhsa_user_sgpr_private_segment_buffer 1
		.amdhsa_user_sgpr_dispatch_ptr 0
		.amdhsa_user_sgpr_queue_ptr 0
		.amdhsa_user_sgpr_kernarg_segment_ptr 1
		.amdhsa_user_sgpr_dispatch_id 0
		.amdhsa_user_sgpr_flat_scratch_init 0
		.amdhsa_user_sgpr_kernarg_preload_length 0
		.amdhsa_user_sgpr_kernarg_preload_offset 0
		.amdhsa_user_sgpr_private_segment_size 0
		.amdhsa_uses_dynamic_stack 0
		.amdhsa_system_sgpr_private_segment_wavefront_offset 0
		.amdhsa_system_sgpr_workgroup_id_x 1
		.amdhsa_system_sgpr_workgroup_id_y 1
		.amdhsa_system_sgpr_workgroup_id_z 0
		.amdhsa_system_sgpr_workgroup_info 0
		.amdhsa_system_vgpr_workitem_id 0
		.amdhsa_next_free_vgpr 4
		.amdhsa_next_free_sgpr 8
		.amdhsa_accum_offset 4
		.amdhsa_reserve_vcc 1
		.amdhsa_reserve_flat_scratch 0
		.amdhsa_float_round_mode_32 0
		.amdhsa_float_round_mode_16_64 0
		.amdhsa_float_denorm_mode_32 3
		.amdhsa_float_denorm_mode_16_64 3
		.amdhsa_dx10_clamp 1
		.amdhsa_ieee_mode 1
		.amdhsa_fp16_overflow 0
		.amdhsa_tg_split 0
		.amdhsa_exception_fp_ieee_invalid_op 0
		.amdhsa_exception_fp_denorm_src 0
		.amdhsa_exception_fp_ieee_div_zero 0
		.amdhsa_exception_fp_ieee_overflow 0
		.amdhsa_exception_fp_ieee_underflow 0
		.amdhsa_exception_fp_ieee_inexact 0
		.amdhsa_exception_int_div_zero 0
	.end_amdhsa_kernel
	.section	.text._ZN9rocsolver6v33100L7set_tauIdEEviPT_l,"axG",@progbits,_ZN9rocsolver6v33100L7set_tauIdEEviPT_l,comdat
.Lfunc_end110:
	.size	_ZN9rocsolver6v33100L7set_tauIdEEviPT_l, .Lfunc_end110-_ZN9rocsolver6v33100L7set_tauIdEEviPT_l
                                        ; -- End function
	.section	.AMDGPU.csdata,"",@progbits
; Kernel info:
; codeLenInByte = 144
; NumSgprs: 12
; NumVgprs: 4
; NumAgprs: 0
; TotalNumVgprs: 4
; ScratchSize: 0
; MemoryBound: 0
; FloatMode: 240
; IeeeMode: 1
; LDSByteSize: 0 bytes/workgroup (compile time only)
; SGPRBlocks: 1
; VGPRBlocks: 0
; NumSGPRsForWavesPerEU: 12
; NumVGPRsForWavesPerEU: 4
; AccumOffset: 4
; Occupancy: 8
; WaveLimiterHint : 0
; COMPUTE_PGM_RSRC2:SCRATCH_EN: 0
; COMPUTE_PGM_RSRC2:USER_SGPR: 6
; COMPUTE_PGM_RSRC2:TRAP_HANDLER: 0
; COMPUTE_PGM_RSRC2:TGID_X_EN: 1
; COMPUTE_PGM_RSRC2:TGID_Y_EN: 1
; COMPUTE_PGM_RSRC2:TGID_Z_EN: 0
; COMPUTE_PGM_RSRC2:TIDIG_COMP_CNT: 0
; COMPUTE_PGM_RSRC3_GFX90A:ACCUM_OFFSET: 0
; COMPUTE_PGM_RSRC3_GFX90A:TG_SPLIT: 0
	.section	.text._ZN9rocsolver6v33100L20larft_kernel_forwardIdPdEEv15rocblas_storev_iiT0_iilPT_lS6_il,"axG",@progbits,_ZN9rocsolver6v33100L20larft_kernel_forwardIdPdEEv15rocblas_storev_iiT0_iilPT_lS6_il,comdat
	.globl	_ZN9rocsolver6v33100L20larft_kernel_forwardIdPdEEv15rocblas_storev_iiT0_iilPT_lS6_il ; -- Begin function _ZN9rocsolver6v33100L20larft_kernel_forwardIdPdEEv15rocblas_storev_iiT0_iilPT_lS6_il
	.p2align	8
	.type	_ZN9rocsolver6v33100L20larft_kernel_forwardIdPdEEv15rocblas_storev_iiT0_iilPT_lS6_il,@function
_ZN9rocsolver6v33100L20larft_kernel_forwardIdPdEEv15rocblas_storev_iiT0_iilPT_lS6_il: ; @_ZN9rocsolver6v33100L20larft_kernel_forwardIdPdEEv15rocblas_storev_iiT0_iilPT_lS6_il
; %bb.0:
	s_load_dword s2, s[4:5], 0x5c
	s_load_dword s30, s[4:5], 0x40
	s_load_dwordx2 s[0:1], s[4:5], 0x48
	s_load_dwordx4 s[16:19], s[4:5], 0x0
	s_load_dwordx8 s[8:15], s[4:5], 0x20
	s_waitcnt lgkmcnt(0)
	s_and_b32 s19, s2, 0xffff
	s_ashr_i32 s6, s7, 31
	s_mul_i32 s1, s7, s1
	s_mul_hi_u32 s2, s7, s0
	s_add_i32 s1, s2, s1
	s_mul_i32 s2, s6, s0
	s_add_i32 s1, s1, s2
	s_mul_i32 s0, s7, s0
	s_lshl_b64 s[0:1], s[0:1], 3
	s_add_u32 s31, s14, s0
	s_addc_u32 s33, s15, s1
	v_cmp_gt_i32_e64 s[0:1], s18, v0
	v_lshlrev_b32_e32 v1, 3, v0
	s_and_saveexec_b64 s[2:3], s[0:1]
	s_cbranch_execz .LBB111_5
; %bb.1:
	v_add_u32_e32 v2, 8, v1
	v_mul_lo_u32 v2, s18, v2
	s_lshl_b32 s22, s18, 3
	v_add3_u32 v6, v2, v1, 0
	s_add_i32 s23, s22, 8
	s_add_i32 s24, s30, 1
	v_mad_u64_u32 v[2:3], s[14:15], v0, s30, v[0:1]
	s_mul_i32 s23, s23, s19
	s_mul_i32 s24, s24, s19
	s_mov_b64 s[14:15], 0
	v_mov_b32_e32 v3, s33
	v_mov_b32_e32 v7, v0
.LBB111_2:                              ; =>This Loop Header: Depth=1
                                        ;     Child Loop BB111_3 Depth 2
	s_mov_b64 s[20:21], 0
	v_mov_b32_e32 v4, v2
	v_mov_b32_e32 v8, v6
	;; [unrolled: 1-line block ×3, first 2 shown]
.LBB111_3:                              ;   Parent Loop BB111_2 Depth=1
                                        ; =>  This Inner Loop Header: Depth=2
	v_ashrrev_i32_e32 v5, 31, v4
	v_lshlrev_b64 v[10:11], 3, v[4:5]
	v_add_co_u32_e32 v10, vcc, s31, v10
	v_addc_co_u32_e32 v11, vcc, v3, v11, vcc
	global_load_dwordx2 v[10:11], v[10:11], off
	v_add_u32_e32 v9, 1, v9
	v_cmp_le_i32_e32 vcc, s18, v9
	v_add_u32_e32 v4, s30, v4
	s_or_b64 s[20:21], vcc, s[20:21]
	s_waitcnt vmcnt(0)
	ds_write_b64 v8, v[10:11]
	v_add_u32_e32 v8, s22, v8
	s_andn2_b64 exec, exec, s[20:21]
	s_cbranch_execnz .LBB111_3
; %bb.4:                                ;   in Loop: Header=BB111_2 Depth=1
	s_or_b64 exec, exec, s[20:21]
	v_add_u32_e32 v7, s19, v7
	v_cmp_le_i32_e32 vcc, s18, v7
	v_add_u32_e32 v6, s23, v6
	s_or_b64 s[14:15], vcc, s[14:15]
	v_add_u32_e32 v2, s24, v2
	s_andn2_b64 exec, exec, s[14:15]
	s_cbranch_execnz .LBB111_2
.LBB111_5:
	s_or_b64 exec, exec, s[2:3]
	s_cmp_lt_i32 s18, 2
	s_waitcnt lgkmcnt(0)
	s_barrier
	s_cbranch_scc1 .LBB111_31
; %bb.6:
	s_load_dwordx4 s[20:23], s[4:5], 0x10
	s_mul_i32 s2, s7, s13
	s_mul_hi_u32 s3, s7, s12
	s_add_i32 s4, s3, s2
	s_mul_i32 s5, s6, s12
	s_add_i32 s5, s4, s5
	s_mul_i32 s4, s7, s12
	s_waitcnt lgkmcnt(0)
	s_ashr_i32 s3, s22, 31
	s_lshl_b64 s[4:5], s[4:5], 3
	s_mov_b32 s2, s22
	s_add_u32 s22, s10, s4
	s_addc_u32 s34, s11, s5
	s_lshl_b32 s35, s18, 3
	s_add_i32 s36, s35, 0
	s_cmpk_lg_i32 s16, 0xb5
	s_mul_i32 s4, s8, s6
	s_mul_hi_u32 s6, s8, s7
	s_cselect_b64 s[10:11], -1, 0
	s_add_i32 s4, s6, s4
	s_mul_i32 s6, s9, s7
	s_add_i32 s9, s4, s6
	s_mul_i32 s8, s8, s7
	s_lshl_b64 s[12:13], s[8:9], 3
	s_add_u32 s16, s12, 8
	s_addc_u32 s37, s13, 0
	s_lshl_b64 s[2:3], s[2:3], 3
	s_add_u32 s38, s20, s2
	s_addc_u32 s39, s21, s3
	s_ashr_i32 s9, s23, 31
	s_mov_b32 s8, s23
	s_lshl_b32 s6, s23, 1
	s_lshl_b64 s[8:9], s[8:9], 3
	s_lshl_b32 s40, s19, 3
	s_add_u32 s2, s12, s2
	s_addc_u32 s3, s13, s3
	s_add_u32 s2, s2, s20
	s_addc_u32 s3, s3, s21
	s_add_u32 s42, s2, 16
	v_add_u32_e32 v4, 8, v1
	s_mov_b32 s5, 0
	v_mov_b32_e32 v3, s13
	v_add_co_u32_e32 v2, vcc, s12, v1
	s_addc_u32 s43, s3, 0
	v_mul_lo_u32 v4, s18, v4
	s_add_i32 s45, s35, 8
	s_mov_b32 s4, 1
	v_addc_co_u32_e32 v3, vcc, 0, v3, vcc
	s_mov_b32 s41, s5
	v_mul_lo_u32 v10, v0, s23
	s_mul_i32 s44, s23, s19
	v_add3_u32 v11, v4, v1, 0
	s_mul_i32 s45, s45, s19
	v_add_u32_e32 v12, 0, v1
	s_mov_b32 s12, s23
	s_branch .LBB111_8
.LBB111_7:                              ;   in Loop: Header=BB111_8 Depth=1
	s_or_b64 exec, exec, s[2:3]
	s_add_i32 s4, s4, 1
	s_add_u32 s16, s16, 8
	s_addc_u32 s37, s37, 0
	s_add_i32 s6, s6, s23
	s_add_u32 s42, s42, 8
	s_addc_u32 s43, s43, 0
	s_add_i32 s12, s12, s23
	s_cmp_eq_u32 s4, s18
	s_waitcnt lgkmcnt(0)
	s_barrier
	s_cbranch_scc1 .LBB111_31
.LBB111_8:                              ; =>This Loop Header: Depth=1
                                        ;     Child Loop BB111_13 Depth 2
                                        ;       Child Loop BB111_15 Depth 3
                                        ;     Child Loop BB111_22 Depth 2
                                        ;       Child Loop BB111_24 Depth 3
	;; [unrolled: 2-line block ×3, first 2 shown]
	s_mul_i32 s2, s4, s18
	s_not_b32 s47, s4
	s_lshl_b32 s2, s2, 3
	s_add_i32 s47, s47, s17
	s_add_i32 s46, s36, s2
	s_mov_b64 s[14:15], -1
	s_and_b64 vcc, exec, s[10:11]
	v_cmp_gt_u32_e64 s[2:3], s4, v0
	s_cbranch_vccz .LBB111_17
; %bb.9:                                ;   in Loop: Header=BB111_8 Depth=1
	s_and_saveexec_b64 s[14:15], s[2:3]
	s_cbranch_execz .LBB111_16
; %bb.10:                               ;   in Loop: Header=BB111_8 Depth=1
	s_ashr_i32 s7, s6, 31
	s_lshl_b64 s[2:3], s[6:7], 3
	s_add_u32 s2, s38, s2
	s_addc_u32 s3, s39, s3
	s_cmp_gt_i32 s47, 0
	s_cselect_b64 s[20:21], -1, 0
	s_lshl_b64 s[24:25], s[4:5], 3
	s_add_u32 s24, s22, s24
	s_addc_u32 s25, s34, s25
	s_load_dwordx2 s[24:25], s[24:25], 0x0
	s_mov_b64 s[26:27], 0
	v_pk_mov_b32 v[4:5], v[2:3], v[2:3] op_sel:[0,1]
	v_mov_b32_e32 v8, v0
	s_branch .LBB111_13
.LBB111_11:                             ;   in Loop: Header=BB111_13 Depth=2
	v_pk_mov_b32 v[6:7], 0, 0
.LBB111_12:                             ;   in Loop: Header=BB111_13 Depth=2
	v_lshlrev_b32_e32 v9, 3, v8
	v_add_u32_e32 v13, s46, v9
	ds_read_b64 v[14:15], v13
	v_add_u32_e32 v8, s19, v8
	v_cmp_le_u32_e32 vcc, s4, v8
	v_mov_b32_e32 v13, s41
	s_or_b64 s[26:27], vcc, s[26:27]
	v_add_co_u32_e32 v4, vcc, s40, v4
	v_add_u32_e32 v9, 0, v9
	s_waitcnt lgkmcnt(0)
	v_fmac_f64_e32 v[14:15], s[24:25], v[6:7]
	v_addc_co_u32_e32 v5, vcc, v5, v13, vcc
	ds_write_b64 v9, v[14:15]
	s_andn2_b64 exec, exec, s[26:27]
	s_cbranch_execz .LBB111_16
.LBB111_13:                             ;   Parent Loop BB111_8 Depth=1
                                        ; =>  This Loop Header: Depth=2
                                        ;       Child Loop BB111_15 Depth 3
	s_andn2_b64 vcc, exec, s[20:21]
	s_cbranch_vccnz .LBB111_11
; %bb.14:                               ;   in Loop: Header=BB111_13 Depth=2
	s_mov_b32 s7, 0
	v_pk_mov_b32 v[6:7], 0, 0
	s_mov_b64 s[28:29], s[2:3]
.LBB111_15:                             ;   Parent Loop BB111_8 Depth=1
                                        ;     Parent Loop BB111_13 Depth=2
                                        ; =>    This Inner Loop Header: Depth=3
	v_mov_b32_e32 v9, s29
	v_add_co_u32_e32 v14, vcc, s28, v4
	v_addc_co_u32_e32 v15, vcc, v9, v5, vcc
	global_load_dwordx2 v[14:15], v[14:15], off
	s_add_u32 s48, s28, s16
	s_addc_u32 s49, s29, s37
	s_load_dwordx2 s[48:49], s[48:49], 0x0
	s_add_i32 s7, s7, 1
	s_add_u32 s28, s28, s8
	s_addc_u32 s29, s29, s9
	s_cmp_ge_i32 s7, s47
	s_waitcnt vmcnt(0) lgkmcnt(0)
	v_fmac_f64_e32 v[6:7], s[48:49], v[14:15]
	s_cbranch_scc0 .LBB111_15
	s_branch .LBB111_12
.LBB111_16:                             ;   in Loop: Header=BB111_8 Depth=1
	s_or_b64 exec, exec, s[14:15]
	s_mov_b64 s[14:15], 0
.LBB111_17:                             ;   in Loop: Header=BB111_8 Depth=1
	s_andn2_b64 vcc, exec, s[14:15]
	s_cbranch_vccnz .LBB111_26
; %bb.18:                               ;   in Loop: Header=BB111_8 Depth=1
	v_cmp_gt_u32_e32 vcc, s4, v0
	s_and_saveexec_b64 s[2:3], vcc
	s_cbranch_execz .LBB111_25
; %bb.19:                               ;   in Loop: Header=BB111_8 Depth=1
	s_ashr_i32 s13, s12, 31
	s_lshl_b64 s[14:15], s[12:13], 3
	s_add_u32 s14, s42, s14
	s_addc_u32 s15, s43, s15
	s_cmp_gt_i32 s47, 0
	s_cselect_b64 s[20:21], -1, 0
	s_lshl_b64 s[24:25], s[4:5], 3
	s_add_u32 s24, s22, s24
	s_addc_u32 s25, s34, s25
	s_load_dwordx2 s[24:25], s[24:25], 0x0
	s_mov_b64 s[26:27], 0
	v_mov_b32_e32 v4, v10
	v_mov_b32_e32 v13, v0
	s_branch .LBB111_22
.LBB111_20:                             ;   in Loop: Header=BB111_22 Depth=2
	v_pk_mov_b32 v[6:7], 0, 0
.LBB111_21:                             ;   in Loop: Header=BB111_22 Depth=2
	v_lshlrev_b32_e32 v5, 3, v13
	v_add_u32_e32 v8, s46, v5
	ds_read_b64 v[8:9], v8
	v_add_u32_e32 v13, s19, v13
	v_cmp_le_u32_e32 vcc, s4, v13
	v_add_u32_e32 v5, 0, v5
	s_or_b64 s[26:27], vcc, s[26:27]
	s_waitcnt lgkmcnt(0)
	v_fmac_f64_e32 v[8:9], s[24:25], v[6:7]
	v_add_u32_e32 v4, s44, v4
	ds_write_b64 v5, v[8:9]
	s_andn2_b64 exec, exec, s[26:27]
	s_cbranch_execz .LBB111_25
.LBB111_22:                             ;   Parent Loop BB111_8 Depth=1
                                        ; =>  This Loop Header: Depth=2
                                        ;       Child Loop BB111_24 Depth 3
	s_andn2_b64 vcc, exec, s[20:21]
	s_cbranch_vccnz .LBB111_20
; %bb.23:                               ;   in Loop: Header=BB111_22 Depth=2
	v_ashrrev_i32_e32 v5, 31, v4
	v_lshlrev_b64 v[6:7], 3, v[4:5]
	v_mov_b32_e32 v5, s43
	v_add_co_u32_e32 v8, vcc, s42, v6
	v_addc_co_u32_e32 v9, vcc, v5, v7, vcc
	s_mov_b32 s7, 0
	v_pk_mov_b32 v[6:7], 0, 0
	s_mov_b64 s[28:29], s[14:15]
.LBB111_24:                             ;   Parent Loop BB111_8 Depth=1
                                        ;     Parent Loop BB111_22 Depth=2
                                        ; =>    This Inner Loop Header: Depth=3
	global_load_dwordx2 v[14:15], v[8:9], off
	s_load_dwordx2 s[48:49], s[28:29], 0x0
	s_add_i32 s7, s7, 1
	s_add_u32 s28, s28, 8
	v_add_co_u32_e32 v8, vcc, 8, v8
	s_addc_u32 s29, s29, 0
	v_addc_co_u32_e32 v9, vcc, 0, v9, vcc
	s_cmp_ge_i32 s7, s47
	s_waitcnt vmcnt(0) lgkmcnt(0)
	v_fmac_f64_e32 v[6:7], s[48:49], v[14:15]
	s_cbranch_scc0 .LBB111_24
	s_branch .LBB111_21
.LBB111_25:                             ;   in Loop: Header=BB111_8 Depth=1
	s_or_b64 exec, exec, s[2:3]
.LBB111_26:                             ;   in Loop: Header=BB111_8 Depth=1
	v_cmp_gt_u32_e32 vcc, s4, v0
	s_waitcnt lgkmcnt(0)
	s_barrier
	s_and_saveexec_b64 s[2:3], vcc
	s_cbranch_execz .LBB111_7
; %bb.27:                               ;   in Loop: Header=BB111_8 Depth=1
	s_mov_b64 s[14:15], 0
	v_mov_b32_e32 v6, v12
	v_mov_b32_e32 v7, v11
	;; [unrolled: 1-line block ×3, first 2 shown]
.LBB111_28:                             ;   Parent Loop BB111_8 Depth=1
                                        ; =>  This Loop Header: Depth=2
                                        ;       Child Loop BB111_29 Depth 3
	v_pk_mov_b32 v[4:5], 0, 0
	s_mov_b64 s[20:21], 0
	v_mov_b32_e32 v9, v6
	v_mov_b32_e32 v13, v7
	;; [unrolled: 1-line block ×3, first 2 shown]
.LBB111_29:                             ;   Parent Loop BB111_8 Depth=1
                                        ;     Parent Loop BB111_28 Depth=2
                                        ; =>    This Inner Loop Header: Depth=3
	ds_read_b64 v[16:17], v13
	ds_read_b64 v[18:19], v9
	v_add_u32_e32 v14, 1, v14
	v_cmp_le_u32_e32 vcc, s4, v14
	v_add_u32_e32 v13, s35, v13
	v_add_u32_e32 v9, 8, v9
	s_or_b64 s[20:21], vcc, s[20:21]
	s_waitcnt lgkmcnt(0)
	v_fmac_f64_e32 v[4:5], v[16:17], v[18:19]
	s_andn2_b64 exec, exec, s[20:21]
	s_cbranch_execnz .LBB111_29
; %bb.30:                               ;   in Loop: Header=BB111_28 Depth=2
	s_or_b64 exec, exec, s[20:21]
	v_lshl_add_u32 v9, v8, 3, s46
	v_add_u32_e32 v8, s19, v8
	v_cmp_le_u32_e32 vcc, s4, v8
	v_add_u32_e32 v7, s45, v7
	s_or_b64 s[14:15], vcc, s[14:15]
	v_add_u32_e32 v6, s40, v6
	ds_write_b64 v9, v[4:5]
	s_andn2_b64 exec, exec, s[14:15]
	s_cbranch_execnz .LBB111_28
	s_branch .LBB111_7
.LBB111_31:
	s_and_saveexec_b64 s[2:3], s[0:1]
	s_cbranch_execz .LBB111_36
; %bb.32:
	v_mad_u64_u32 v[2:3], s[0:1], v0, s30, v[0:1]
	v_add_u32_e32 v3, 8, v1
	s_lshl_b32 s7, s18, 3
	s_add_i32 s6, s30, 1
	v_mul_lo_u32 v3, s18, v3
	s_add_i32 s8, s7, 8
	s_mul_i32 s6, s6, s19
	v_add3_u32 v1, v3, v1, 0
	s_mul_i32 s8, s8, s19
	s_mov_b64 s[2:3], 0
	v_mov_b32_e32 v3, s33
.LBB111_33:                             ; =>This Loop Header: Depth=1
                                        ;     Child Loop BB111_34 Depth 2
	s_mov_b64 s[4:5], 0
	v_mov_b32_e32 v6, v1
	v_mov_b32_e32 v4, v2
	;; [unrolled: 1-line block ×3, first 2 shown]
.LBB111_34:                             ;   Parent Loop BB111_33 Depth=1
                                        ; =>  This Inner Loop Header: Depth=2
	ds_read_b64 v[8:9], v6
	v_ashrrev_i32_e32 v5, 31, v4
	v_add_u32_e32 v7, 1, v7
	v_lshlrev_b64 v[10:11], 3, v[4:5]
	v_cmp_le_i32_e32 vcc, s18, v7
	v_add_co_u32_e64 v10, s[0:1], s31, v10
	v_add_u32_e32 v6, s7, v6
	v_add_u32_e32 v4, s30, v4
	v_addc_co_u32_e64 v11, s[0:1], v3, v11, s[0:1]
	s_or_b64 s[4:5], vcc, s[4:5]
	s_waitcnt lgkmcnt(0)
	global_store_dwordx2 v[10:11], v[8:9], off
	s_andn2_b64 exec, exec, s[4:5]
	s_cbranch_execnz .LBB111_34
; %bb.35:                               ;   in Loop: Header=BB111_33 Depth=1
	s_or_b64 exec, exec, s[4:5]
	v_add_u32_e32 v0, s19, v0
	v_cmp_le_i32_e32 vcc, s18, v0
	v_add_u32_e32 v2, s6, v2
	s_or_b64 s[2:3], vcc, s[2:3]
	v_add_u32_e32 v1, s8, v1
	s_andn2_b64 exec, exec, s[2:3]
	s_cbranch_execnz .LBB111_33
.LBB111_36:
	s_endpgm
	.section	.rodata,"a",@progbits
	.p2align	6, 0x0
	.amdhsa_kernel _ZN9rocsolver6v33100L20larft_kernel_forwardIdPdEEv15rocblas_storev_iiT0_iilPT_lS6_il
		.amdhsa_group_segment_fixed_size 0
		.amdhsa_private_segment_fixed_size 0
		.amdhsa_kernarg_size 336
		.amdhsa_user_sgpr_count 6
		.amdhsa_user_sgpr_private_segment_buffer 1
		.amdhsa_user_sgpr_dispatch_ptr 0
		.amdhsa_user_sgpr_queue_ptr 0
		.amdhsa_user_sgpr_kernarg_segment_ptr 1
		.amdhsa_user_sgpr_dispatch_id 0
		.amdhsa_user_sgpr_flat_scratch_init 0
		.amdhsa_user_sgpr_kernarg_preload_length 0
		.amdhsa_user_sgpr_kernarg_preload_offset 0
		.amdhsa_user_sgpr_private_segment_size 0
		.amdhsa_uses_dynamic_stack 0
		.amdhsa_system_sgpr_private_segment_wavefront_offset 0
		.amdhsa_system_sgpr_workgroup_id_x 1
		.amdhsa_system_sgpr_workgroup_id_y 1
		.amdhsa_system_sgpr_workgroup_id_z 0
		.amdhsa_system_sgpr_workgroup_info 0
		.amdhsa_system_vgpr_workitem_id 0
		.amdhsa_next_free_vgpr 20
		.amdhsa_next_free_sgpr 50
		.amdhsa_accum_offset 20
		.amdhsa_reserve_vcc 1
		.amdhsa_reserve_flat_scratch 0
		.amdhsa_float_round_mode_32 0
		.amdhsa_float_round_mode_16_64 0
		.amdhsa_float_denorm_mode_32 3
		.amdhsa_float_denorm_mode_16_64 3
		.amdhsa_dx10_clamp 1
		.amdhsa_ieee_mode 1
		.amdhsa_fp16_overflow 0
		.amdhsa_tg_split 0
		.amdhsa_exception_fp_ieee_invalid_op 0
		.amdhsa_exception_fp_denorm_src 0
		.amdhsa_exception_fp_ieee_div_zero 0
		.amdhsa_exception_fp_ieee_overflow 0
		.amdhsa_exception_fp_ieee_underflow 0
		.amdhsa_exception_fp_ieee_inexact 0
		.amdhsa_exception_int_div_zero 0
	.end_amdhsa_kernel
	.section	.text._ZN9rocsolver6v33100L20larft_kernel_forwardIdPdEEv15rocblas_storev_iiT0_iilPT_lS6_il,"axG",@progbits,_ZN9rocsolver6v33100L20larft_kernel_forwardIdPdEEv15rocblas_storev_iiT0_iilPT_lS6_il,comdat
.Lfunc_end111:
	.size	_ZN9rocsolver6v33100L20larft_kernel_forwardIdPdEEv15rocblas_storev_iiT0_iilPT_lS6_il, .Lfunc_end111-_ZN9rocsolver6v33100L20larft_kernel_forwardIdPdEEv15rocblas_storev_iiT0_iilPT_lS6_il
                                        ; -- End function
	.section	.AMDGPU.csdata,"",@progbits
; Kernel info:
; codeLenInByte = 1496
; NumSgprs: 54
; NumVgprs: 20
; NumAgprs: 0
; TotalNumVgprs: 20
; ScratchSize: 0
; MemoryBound: 0
; FloatMode: 240
; IeeeMode: 1
; LDSByteSize: 0 bytes/workgroup (compile time only)
; SGPRBlocks: 6
; VGPRBlocks: 2
; NumSGPRsForWavesPerEU: 54
; NumVGPRsForWavesPerEU: 20
; AccumOffset: 20
; Occupancy: 8
; WaveLimiterHint : 0
; COMPUTE_PGM_RSRC2:SCRATCH_EN: 0
; COMPUTE_PGM_RSRC2:USER_SGPR: 6
; COMPUTE_PGM_RSRC2:TRAP_HANDLER: 0
; COMPUTE_PGM_RSRC2:TGID_X_EN: 1
; COMPUTE_PGM_RSRC2:TGID_Y_EN: 1
; COMPUTE_PGM_RSRC2:TGID_Z_EN: 0
; COMPUTE_PGM_RSRC2:TIDIG_COMP_CNT: 0
; COMPUTE_PGM_RSRC3_GFX90A:ACCUM_OFFSET: 4
; COMPUTE_PGM_RSRC3_GFX90A:TG_SPLIT: 0
	.section	.text._ZN9rocsolver6v33100L21larft_kernel_backwardIdPdEEv15rocblas_storev_iiT0_iilPT_lS6_il,"axG",@progbits,_ZN9rocsolver6v33100L21larft_kernel_backwardIdPdEEv15rocblas_storev_iiT0_iilPT_lS6_il,comdat
	.globl	_ZN9rocsolver6v33100L21larft_kernel_backwardIdPdEEv15rocblas_storev_iiT0_iilPT_lS6_il ; -- Begin function _ZN9rocsolver6v33100L21larft_kernel_backwardIdPdEEv15rocblas_storev_iiT0_iilPT_lS6_il
	.p2align	8
	.type	_ZN9rocsolver6v33100L21larft_kernel_backwardIdPdEEv15rocblas_storev_iiT0_iilPT_lS6_il,@function
_ZN9rocsolver6v33100L21larft_kernel_backwardIdPdEEv15rocblas_storev_iiT0_iilPT_lS6_il: ; @_ZN9rocsolver6v33100L21larft_kernel_backwardIdPdEEv15rocblas_storev_iiT0_iilPT_lS6_il
; %bb.0:
	s_load_dword s2, s[4:5], 0x5c
	s_load_dword s28, s[4:5], 0x40
	s_load_dwordx2 s[0:1], s[4:5], 0x48
	s_load_dwordx4 s[16:19], s[4:5], 0x0
	s_load_dwordx8 s[8:15], s[4:5], 0x20
	s_waitcnt lgkmcnt(0)
	s_and_b32 s19, s2, 0xffff
	s_ashr_i32 s6, s7, 31
	s_mul_i32 s1, s7, s1
	s_mul_hi_u32 s2, s7, s0
	s_add_i32 s1, s2, s1
	s_mul_i32 s2, s6, s0
	s_add_i32 s1, s1, s2
	s_mul_i32 s0, s7, s0
	s_lshl_b64 s[0:1], s[0:1], 3
	s_add_u32 s29, s14, s0
	s_addc_u32 s30, s15, s1
	v_cmp_gt_i32_e64 s[0:1], s18, v0
	v_add_u32_e32 v1, 1, v0
	s_and_saveexec_b64 s[2:3], s[0:1]
	s_cbranch_execz .LBB112_5
; %bb.1:
	s_lshl_b32 s22, s18, 3
	s_add_i32 s14, s22, 0
	v_add_u32_e32 v4, 1, v0
	v_lshl_add_u32 v5, v0, 3, s14
	s_lshl_b32 s23, s19, 3
	s_mov_b64 s[14:15], 0
	v_mov_b32_e32 v6, s30
	v_mov_b32_e32 v7, v0
.LBB112_2:                              ; =>This Loop Header: Depth=1
                                        ;     Child Loop BB112_3 Depth 2
	s_mov_b64 s[20:21], 0
	v_mov_b32_e32 v2, v7
	v_mov_b32_e32 v8, v5
	s_mov_b32 s24, 0
.LBB112_3:                              ;   Parent Loop BB112_2 Depth=1
                                        ; =>  This Inner Loop Header: Depth=2
	v_ashrrev_i32_e32 v3, 31, v2
	v_lshlrev_b64 v[10:11], 3, v[2:3]
	v_add_co_u32_e32 v10, vcc, s29, v10
	v_addc_co_u32_e32 v11, vcc, v6, v11, vcc
	global_load_dwordx2 v[10:11], v[10:11], off
	s_add_i32 s24, s24, 1
	v_cmp_eq_u32_e32 vcc, s24, v4
	v_add_u32_e32 v2, s28, v2
	s_or_b64 s[20:21], vcc, s[20:21]
	s_waitcnt vmcnt(0)
	ds_write_b64 v8, v[10:11]
	v_add_u32_e32 v8, s22, v8
	s_andn2_b64 exec, exec, s[20:21]
	s_cbranch_execnz .LBB112_3
; %bb.4:                                ;   in Loop: Header=BB112_2 Depth=1
	s_or_b64 exec, exec, s[20:21]
	v_add_u32_e32 v7, s19, v7
	v_cmp_le_i32_e32 vcc, s18, v7
	v_add_u32_e32 v4, s19, v4
	s_or_b64 s[14:15], vcc, s[14:15]
	v_add_u32_e32 v5, s23, v5
	s_andn2_b64 exec, exec, s[14:15]
	s_cbranch_execnz .LBB112_2
.LBB112_5:
	s_or_b64 exec, exec, s[2:3]
	s_cmp_lt_i32 s18, 2
	s_waitcnt lgkmcnt(0)
	s_barrier
	s_cbranch_scc1 .LBB112_31
; %bb.6:
	s_load_dwordx4 s[20:23], s[4:5], 0x10
	s_mul_i32 s2, s7, s13
	s_mul_hi_u32 s3, s7, s12
	s_add_i32 s4, s3, s2
	s_mul_i32 s5, s6, s12
	s_add_i32 s5, s4, s5
	s_mul_i32 s4, s7, s12
	s_waitcnt lgkmcnt(0)
	s_ashr_i32 s3, s22, 31
	s_lshl_b64 s[4:5], s[4:5], 3
	s_mov_b32 s2, s22
	s_add_u32 s22, s10, s4
	s_addc_u32 s31, s11, s5
	s_lshl_b32 s33, s18, 3
	s_add_i32 s34, s33, 0
	s_add_i32 s4, s18, -2
	s_sub_i32 s35, s17, s18
	s_cmpk_lg_i32 s16, 0xb5
	s_mul_i32 s6, s8, s6
	s_mul_hi_u32 s12, s8, s7
	s_cselect_b64 s[10:11], -1, 0
	s_add_i32 s6, s12, s6
	s_mul_i32 s9, s9, s7
	s_add_i32 s9, s6, s9
	s_mul_i32 s8, s8, s7
	s_lshl_b64 s[6:7], s[8:9], 3
	s_lshl_b64 s[2:3], s[2:3], 3
	s_mov_b32 s5, 0
	s_add_u32 s8, s6, s2
	s_addc_u32 s9, s7, s3
	s_lshl_b64 s[2:3], s[4:5], 3
	s_add_u32 s6, s8, s2
	s_addc_u32 s7, s9, s3
	s_add_u32 s36, s20, s6
	s_addc_u32 s37, s21, s7
	s_ashr_i32 s7, s23, 31
	s_mov_b32 s6, s23
	s_lshl_b64 s[6:7], s[6:7], 3
	s_add_u32 s38, s20, s8
	s_addc_u32 s39, s21, s9
	v_lshlrev_b32_e32 v4, 3, v0
	s_add_u32 s2, s38, s2
	s_addc_u32 s3, s39, s3
	v_add_co_u32_e32 v3, vcc, s2, v4
	s_add_i32 s2, s18, -1
	v_mov_b32_e32 v2, s3
	s_mul_i32 s8, s23, s2
	s_add_i32 s2, s33, 8
	v_addc_co_u32_e32 v5, vcc, 0, v2, vcc
	s_mul_i32 s2, s18, s2
	v_add_co_u32_e32 v2, vcc, 8, v3
	s_add_i32 s2, s2, 0
	v_addc_co_u32_e32 v3, vcc, 0, v5, vcc
	s_lshl_b32 s40, s19, 3
	s_mov_b32 s41, s5
	v_mul_lo_u32 v10, v0, s23
	s_mul_i32 s42, s23, s19
	s_mul_i32 s12, s23, s4
	v_add3_u32 v11, s2, v4, -8
	s_xor_b32 s43, s33, -8
	s_branch .LBB112_8
.LBB112_7:                              ;   in Loop: Header=BB112_8 Depth=1
	s_or_b64 exec, exec, s[2:3]
	s_add_i32 s2, s4, -1
	s_add_u32 s36, s36, -8
	s_addc_u32 s37, s37, -1
	v_add_co_u32_e32 v2, vcc, -8, v2
	s_sub_i32 s8, s8, s23
	s_sub_i32 s12, s12, s23
	v_addc_co_u32_e32 v3, vcc, -1, v3, vcc
	v_add_u32_e32 v11, s43, v11
	s_cmp_lt_i32 s4, 1
	s_mov_b32 s4, s2
	s_waitcnt lgkmcnt(0)
	s_barrier
	s_cbranch_scc1 .LBB112_31
.LBB112_8:                              ; =>This Loop Header: Depth=1
                                        ;     Child Loop BB112_13 Depth 2
                                        ;       Child Loop BB112_15 Depth 3
                                        ;     Child Loop BB112_22 Depth 2
                                        ;       Child Loop BB112_24 Depth 3
	;; [unrolled: 2-line block ×3, first 2 shown]
	s_lshl_b32 s2, s4, 3
	s_not_b32 s44, s4
	s_add_i32 s45, s34, s2
	s_mul_i32 s2, s4, s18
	s_add_i32 s44, s44, s18
	s_lshl_b32 s2, s2, 3
	s_add_i32 s46, s4, s35
	s_add_i32 s45, s45, s2
	s_mov_b64 s[14:15], -1
	s_and_b64 vcc, exec, s[10:11]
	v_cmp_gt_i32_e64 s[2:3], s44, v0
	s_cbranch_vccz .LBB112_17
; %bb.9:                                ;   in Loop: Header=BB112_8 Depth=1
	s_and_saveexec_b64 s[14:15], s[2:3]
	s_cbranch_execz .LBB112_16
; %bb.10:                               ;   in Loop: Header=BB112_8 Depth=1
	s_cmp_gt_i32 s46, 0
	s_cselect_b64 s[2:3], -1, 0
	s_lshl_b64 s[16:17], s[4:5], 3
	s_add_u32 s16, s22, s16
	s_addc_u32 s17, s31, s17
	s_load_dwordx2 s[16:17], s[16:17], 0x0
	s_add_i32 s9, s45, 8
	s_mov_b64 s[20:21], 0
	v_pk_mov_b32 v[4:5], v[2:3], v[2:3] op_sel:[0,1]
	v_mov_b32_e32 v8, v0
	s_branch .LBB112_13
.LBB112_11:                             ;   in Loop: Header=BB112_13 Depth=2
	v_pk_mov_b32 v[6:7], 0, 0
.LBB112_12:                             ;   in Loop: Header=BB112_13 Depth=2
	v_lshlrev_b32_e32 v9, 3, v8
	v_add_u32_e32 v12, s9, v9
	ds_read_b64 v[12:13], v12
	v_add_u32_e32 v8, s19, v8
	v_cmp_le_i32_e32 vcc, s44, v8
	v_mov_b32_e32 v14, s41
	s_or_b64 s[20:21], vcc, s[20:21]
	v_add_co_u32_e32 v4, vcc, s40, v4
	v_add_u32_e32 v9, 0, v9
	s_waitcnt lgkmcnt(0)
	v_fmac_f64_e32 v[12:13], s[16:17], v[6:7]
	v_addc_co_u32_e32 v5, vcc, v5, v14, vcc
	ds_write_b64 v9, v[12:13]
	s_andn2_b64 exec, exec, s[20:21]
	s_cbranch_execz .LBB112_16
.LBB112_13:                             ;   Parent Loop BB112_8 Depth=1
                                        ; =>  This Loop Header: Depth=2
                                        ;       Child Loop BB112_15 Depth 3
	s_andn2_b64 vcc, exec, s[2:3]
	s_cbranch_vccnz .LBB112_11
; %bb.14:                               ;   in Loop: Header=BB112_13 Depth=2
	s_mov_b32 s13, 0
	s_mov_b64 s[24:25], 0
	v_pk_mov_b32 v[6:7], 0, 0
.LBB112_15:                             ;   Parent Loop BB112_8 Depth=1
                                        ;     Parent Loop BB112_13 Depth=2
                                        ; =>    This Inner Loop Header: Depth=3
	v_mov_b32_e32 v9, s25
	v_add_co_u32_e32 v12, vcc, s24, v4
	v_addc_co_u32_e32 v13, vcc, v5, v9, vcc
	global_load_dwordx2 v[12:13], v[12:13], off
	s_add_u32 s26, s36, s24
	s_addc_u32 s27, s37, s25
	s_load_dwordx2 s[26:27], s[26:27], 0x0
	s_add_i32 s13, s13, 1
	s_add_u32 s24, s24, s6
	s_addc_u32 s25, s25, s7
	s_cmp_ge_i32 s13, s46
	s_waitcnt vmcnt(0) lgkmcnt(0)
	v_fmac_f64_e32 v[6:7], s[26:27], v[12:13]
	s_cbranch_scc0 .LBB112_15
	s_branch .LBB112_12
.LBB112_16:                             ;   in Loop: Header=BB112_8 Depth=1
	s_or_b64 exec, exec, s[14:15]
	s_mov_b64 s[14:15], 0
.LBB112_17:                             ;   in Loop: Header=BB112_8 Depth=1
	s_andn2_b64 vcc, exec, s[14:15]
	s_cbranch_vccnz .LBB112_26
; %bb.18:                               ;   in Loop: Header=BB112_8 Depth=1
	v_cmp_gt_i32_e32 vcc, s44, v0
	s_and_saveexec_b64 s[2:3], vcc
	s_cbranch_execz .LBB112_25
; %bb.19:                               ;   in Loop: Header=BB112_8 Depth=1
	s_ashr_i32 s9, s8, 31
	s_ashr_i32 s13, s12, 31
	s_lshl_b64 s[24:25], s[8:9], 3
	s_lshl_b64 s[14:15], s[12:13], 3
	s_add_u32 s14, s38, s14
	s_addc_u32 s15, s39, s15
	s_cmp_gt_i32 s46, 0
	s_cselect_b64 s[16:17], -1, 0
	s_lshl_b64 s[20:21], s[4:5], 3
	s_add_u32 s20, s22, s20
	s_addc_u32 s21, s31, s21
	s_load_dwordx2 s[20:21], s[20:21], 0x0
	s_add_i32 s9, s45, 8
	s_add_u32 s13, s38, s24
	s_addc_u32 s47, s39, s25
	s_mov_b64 s[24:25], 0
	v_mov_b32_e32 v4, v10
	v_mov_b32_e32 v12, v0
	s_branch .LBB112_22
.LBB112_20:                             ;   in Loop: Header=BB112_22 Depth=2
	v_pk_mov_b32 v[6:7], 0, 0
.LBB112_21:                             ;   in Loop: Header=BB112_22 Depth=2
	v_lshlrev_b32_e32 v5, 3, v12
	v_add_u32_e32 v8, s9, v5
	ds_read_b64 v[8:9], v8
	v_add_u32_e32 v12, s19, v12
	v_cmp_le_i32_e32 vcc, s44, v12
	v_add_u32_e32 v5, 0, v5
	s_or_b64 s[24:25], vcc, s[24:25]
	s_waitcnt lgkmcnt(0)
	v_fmac_f64_e32 v[8:9], s[20:21], v[6:7]
	v_add_u32_e32 v4, s42, v4
	ds_write_b64 v5, v[8:9]
	s_andn2_b64 exec, exec, s[24:25]
	s_cbranch_execz .LBB112_25
.LBB112_22:                             ;   Parent Loop BB112_8 Depth=1
                                        ; =>  This Loop Header: Depth=2
                                        ;       Child Loop BB112_24 Depth 3
	s_andn2_b64 vcc, exec, s[16:17]
	s_cbranch_vccnz .LBB112_20
; %bb.23:                               ;   in Loop: Header=BB112_22 Depth=2
	v_ashrrev_i32_e32 v5, 31, v4
	v_lshlrev_b64 v[6:7], 3, v[4:5]
	v_mov_b32_e32 v5, s47
	v_add_co_u32_e32 v8, vcc, s13, v6
	v_addc_co_u32_e32 v9, vcc, v5, v7, vcc
	s_mov_b32 s48, 0
	v_pk_mov_b32 v[6:7], 0, 0
	s_mov_b64 s[26:27], s[14:15]
.LBB112_24:                             ;   Parent Loop BB112_8 Depth=1
                                        ;     Parent Loop BB112_22 Depth=2
                                        ; =>    This Inner Loop Header: Depth=3
	global_load_dwordx2 v[14:15], v[8:9], off
	s_load_dwordx2 s[50:51], s[26:27], 0x0
	s_add_i32 s48, s48, 1
	s_add_u32 s26, s26, 8
	v_add_co_u32_e32 v8, vcc, 8, v8
	s_addc_u32 s27, s27, 0
	v_addc_co_u32_e32 v9, vcc, 0, v9, vcc
	s_cmp_ge_i32 s48, s46
	s_waitcnt vmcnt(0) lgkmcnt(0)
	v_fmac_f64_e32 v[6:7], s[50:51], v[14:15]
	s_cbranch_scc0 .LBB112_24
	s_branch .LBB112_21
.LBB112_25:                             ;   in Loop: Header=BB112_8 Depth=1
	s_or_b64 exec, exec, s[2:3]
.LBB112_26:                             ;   in Loop: Header=BB112_8 Depth=1
	v_cmp_gt_i32_e32 vcc, s44, v0
	s_waitcnt lgkmcnt(0)
	s_barrier
	s_and_saveexec_b64 s[2:3], vcc
	s_cbranch_execz .LBB112_7
; %bb.27:                               ;   in Loop: Header=BB112_8 Depth=1
	s_add_i32 s45, s45, 8
	s_mov_b64 s[14:15], 0
	v_mov_b32_e32 v6, v11
	v_mov_b32_e32 v7, v0
.LBB112_28:                             ;   Parent Loop BB112_8 Depth=1
                                        ; =>  This Loop Header: Depth=2
                                        ;       Child Loop BB112_29 Depth 3
	s_mov_b32 s9, -1
	s_mov_b32 s13, 0
	v_pk_mov_b32 v[4:5], 0, 0
	s_mov_b64 s[16:17], 0
	v_mov_b32_e32 v8, v6
.LBB112_29:                             ;   Parent Loop BB112_8 Depth=1
                                        ;     Parent Loop BB112_28 Depth=2
                                        ; =>    This Inner Loop Header: Depth=3
	v_mov_b32_e32 v9, s13
	ds_read_b64 v[12:13], v8
	ds_read_b64 v[14:15], v9
	s_add_i32 s9, s9, 1
	s_add_i32 s13, s13, 8
	v_cmp_eq_u32_e32 vcc, s9, v7
	v_add_u32_e32 v8, s33, v8
	s_or_b64 s[16:17], vcc, s[16:17]
	s_waitcnt lgkmcnt(0)
	v_fmac_f64_e32 v[4:5], v[12:13], v[14:15]
	s_andn2_b64 exec, exec, s[16:17]
	s_cbranch_execnz .LBB112_29
; %bb.30:                               ;   in Loop: Header=BB112_28 Depth=2
	s_or_b64 exec, exec, s[16:17]
	v_lshl_add_u32 v8, v7, 3, s45
	v_add_u32_e32 v7, s19, v7
	v_cmp_le_i32_e32 vcc, s44, v7
	s_or_b64 s[14:15], vcc, s[14:15]
	v_add_u32_e32 v6, s40, v6
	ds_write_b64 v8, v[4:5]
	s_andn2_b64 exec, exec, s[14:15]
	s_cbranch_execnz .LBB112_28
	s_branch .LBB112_7
.LBB112_31:
	s_and_saveexec_b64 s[2:3], s[0:1]
	s_cbranch_execz .LBB112_36
; %bb.32:
	s_lshl_b32 s6, s18, 3
	s_add_i32 s0, s6, 0
	v_lshl_add_u32 v4, v0, 3, s0
	s_lshl_b32 s7, s19, 3
	s_mov_b64 s[2:3], 0
	v_mov_b32_e32 v5, s30
.LBB112_33:                             ; =>This Loop Header: Depth=1
                                        ;     Child Loop BB112_34 Depth 2
	s_mov_b64 s[4:5], 0
	v_mov_b32_e32 v6, v4
	v_mov_b32_e32 v2, v0
	s_mov_b32 s8, 0
.LBB112_34:                             ;   Parent Loop BB112_33 Depth=1
                                        ; =>  This Inner Loop Header: Depth=2
	ds_read_b64 v[8:9], v6
	v_ashrrev_i32_e32 v3, 31, v2
	s_add_i32 s8, s8, 1
	v_lshlrev_b64 v[10:11], 3, v[2:3]
	v_cmp_eq_u32_e32 vcc, s8, v1
	v_add_co_u32_e64 v10, s[0:1], s29, v10
	v_add_u32_e32 v6, s6, v6
	v_add_u32_e32 v2, s28, v2
	v_addc_co_u32_e64 v11, s[0:1], v5, v11, s[0:1]
	s_or_b64 s[4:5], vcc, s[4:5]
	s_waitcnt lgkmcnt(0)
	global_store_dwordx2 v[10:11], v[8:9], off
	s_andn2_b64 exec, exec, s[4:5]
	s_cbranch_execnz .LBB112_34
; %bb.35:                               ;   in Loop: Header=BB112_33 Depth=1
	s_or_b64 exec, exec, s[4:5]
	v_add_u32_e32 v0, s19, v0
	v_cmp_le_i32_e32 vcc, s18, v0
	v_add_u32_e32 v1, s19, v1
	s_or_b64 s[2:3], vcc, s[2:3]
	v_add_u32_e32 v4, s7, v4
	s_andn2_b64 exec, exec, s[2:3]
	s_cbranch_execnz .LBB112_33
.LBB112_36:
	s_endpgm
	.section	.rodata,"a",@progbits
	.p2align	6, 0x0
	.amdhsa_kernel _ZN9rocsolver6v33100L21larft_kernel_backwardIdPdEEv15rocblas_storev_iiT0_iilPT_lS6_il
		.amdhsa_group_segment_fixed_size 0
		.amdhsa_private_segment_fixed_size 0
		.amdhsa_kernarg_size 336
		.amdhsa_user_sgpr_count 6
		.amdhsa_user_sgpr_private_segment_buffer 1
		.amdhsa_user_sgpr_dispatch_ptr 0
		.amdhsa_user_sgpr_queue_ptr 0
		.amdhsa_user_sgpr_kernarg_segment_ptr 1
		.amdhsa_user_sgpr_dispatch_id 0
		.amdhsa_user_sgpr_flat_scratch_init 0
		.amdhsa_user_sgpr_kernarg_preload_length 0
		.amdhsa_user_sgpr_kernarg_preload_offset 0
		.amdhsa_user_sgpr_private_segment_size 0
		.amdhsa_uses_dynamic_stack 0
		.amdhsa_system_sgpr_private_segment_wavefront_offset 0
		.amdhsa_system_sgpr_workgroup_id_x 1
		.amdhsa_system_sgpr_workgroup_id_y 1
		.amdhsa_system_sgpr_workgroup_id_z 0
		.amdhsa_system_sgpr_workgroup_info 0
		.amdhsa_system_vgpr_workitem_id 0
		.amdhsa_next_free_vgpr 16
		.amdhsa_next_free_sgpr 52
		.amdhsa_accum_offset 16
		.amdhsa_reserve_vcc 1
		.amdhsa_reserve_flat_scratch 0
		.amdhsa_float_round_mode_32 0
		.amdhsa_float_round_mode_16_64 0
		.amdhsa_float_denorm_mode_32 3
		.amdhsa_float_denorm_mode_16_64 3
		.amdhsa_dx10_clamp 1
		.amdhsa_ieee_mode 1
		.amdhsa_fp16_overflow 0
		.amdhsa_tg_split 0
		.amdhsa_exception_fp_ieee_invalid_op 0
		.amdhsa_exception_fp_denorm_src 0
		.amdhsa_exception_fp_ieee_div_zero 0
		.amdhsa_exception_fp_ieee_overflow 0
		.amdhsa_exception_fp_ieee_underflow 0
		.amdhsa_exception_fp_ieee_inexact 0
		.amdhsa_exception_int_div_zero 0
	.end_amdhsa_kernel
	.section	.text._ZN9rocsolver6v33100L21larft_kernel_backwardIdPdEEv15rocblas_storev_iiT0_iilPT_lS6_il,"axG",@progbits,_ZN9rocsolver6v33100L21larft_kernel_backwardIdPdEEv15rocblas_storev_iiT0_iilPT_lS6_il,comdat
.Lfunc_end112:
	.size	_ZN9rocsolver6v33100L21larft_kernel_backwardIdPdEEv15rocblas_storev_iiT0_iilPT_lS6_il, .Lfunc_end112-_ZN9rocsolver6v33100L21larft_kernel_backwardIdPdEEv15rocblas_storev_iiT0_iilPT_lS6_il
                                        ; -- End function
	.section	.AMDGPU.csdata,"",@progbits
; Kernel info:
; codeLenInByte = 1488
; NumSgprs: 56
; NumVgprs: 16
; NumAgprs: 0
; TotalNumVgprs: 16
; ScratchSize: 0
; MemoryBound: 0
; FloatMode: 240
; IeeeMode: 1
; LDSByteSize: 0 bytes/workgroup (compile time only)
; SGPRBlocks: 6
; VGPRBlocks: 1
; NumSGPRsForWavesPerEU: 56
; NumVGPRsForWavesPerEU: 16
; AccumOffset: 16
; Occupancy: 8
; WaveLimiterHint : 0
; COMPUTE_PGM_RSRC2:SCRATCH_EN: 0
; COMPUTE_PGM_RSRC2:USER_SGPR: 6
; COMPUTE_PGM_RSRC2:TRAP_HANDLER: 0
; COMPUTE_PGM_RSRC2:TGID_X_EN: 1
; COMPUTE_PGM_RSRC2:TGID_Y_EN: 1
; COMPUTE_PGM_RSRC2:TGID_Z_EN: 0
; COMPUTE_PGM_RSRC2:TIDIG_COMP_CNT: 0
; COMPUTE_PGM_RSRC3_GFX90A:ACCUM_OFFSET: 3
; COMPUTE_PGM_RSRC3_GFX90A:TG_SPLIT: 0
	.section	.text._ZN9rocsolver6v33100L9copymatA1IdPdEEviiT0_iilPT_,"axG",@progbits,_ZN9rocsolver6v33100L9copymatA1IdPdEEviiT0_iilPT_,comdat
	.globl	_ZN9rocsolver6v33100L9copymatA1IdPdEEviiT0_iilPT_ ; -- Begin function _ZN9rocsolver6v33100L9copymatA1IdPdEEviiT0_iilPT_
	.p2align	8
	.type	_ZN9rocsolver6v33100L9copymatA1IdPdEEviiT0_iilPT_,@function
_ZN9rocsolver6v33100L9copymatA1IdPdEEviiT0_iilPT_: ; @_ZN9rocsolver6v33100L9copymatA1IdPdEEviiT0_iilPT_
; %bb.0:
	s_load_dword s0, s[4:5], 0x34
	s_load_dwordx2 s[2:3], s[4:5], 0x0
	v_and_b32_e32 v1, 0x3ff, v0
	v_bfe_u32 v0, v0, 10, 10
	s_waitcnt lgkmcnt(0)
	s_lshr_b32 s1, s0, 16
	s_and_b32 s0, s0, 0xffff
	s_mul_i32 s6, s6, s0
	s_mul_i32 s7, s7, s1
	v_add_u32_e32 v1, s6, v1
	v_add_u32_e32 v0, s7, v0
	v_cmp_gt_u32_e32 vcc, s2, v0
	v_cmp_gt_u32_e64 s[0:1], s3, v1
	s_and_b64 s[0:1], s[0:1], vcc
	s_and_saveexec_b64 s[6:7], s[0:1]
	s_cbranch_execz .LBB113_2
; %bb.1:
	s_ashr_i32 s0, s2, 31
	s_load_dwordx8 s[12:19], s[4:5], 0x8
	s_mul_hi_u32 s4, s2, s8
	s_mul_i32 s0, s0, s8
	s_ashr_i32 s1, s3, 31
	s_add_i32 s0, s4, s0
	s_mul_i32 s4, s2, s8
	s_mul_i32 s1, s4, s1
	s_mul_hi_u32 s5, s4, s3
	s_add_i32 s1, s5, s1
	s_mul_i32 s0, s0, s3
	s_add_i32 s1, s1, s0
	s_mul_i32 s0, s4, s3
	s_lshl_b64 s[0:1], s[0:1], 3
	s_waitcnt lgkmcnt(0)
	s_add_u32 s3, s18, s0
	s_mul_i32 s4, s8, s17
	s_mul_hi_u32 s5, s8, s16
	s_addc_u32 s6, s19, s1
	s_add_i32 s5, s5, s4
	s_mul_i32 s4, s8, s16
	s_ashr_i32 s1, s14, 31
	s_lshl_b64 s[4:5], s[4:5], 3
	s_mov_b32 s0, s14
	s_add_u32 s4, s12, s4
	s_addc_u32 s5, s13, s5
	s_lshl_b64 s[0:1], s[0:1], 3
	s_add_u32 s4, s4, s0
	s_addc_u32 s5, s5, s1
	v_mad_u64_u32 v[2:3], s[0:1], v1, s15, v[0:1]
	v_mov_b32_e32 v3, 0
	v_lshlrev_b64 v[4:5], 3, v[2:3]
	v_mov_b32_e32 v2, s5
	v_add_co_u32_e32 v4, vcc, s4, v4
	v_addc_co_u32_e32 v5, vcc, v2, v5, vcc
	global_load_dwordx2 v[4:5], v[4:5], off
	v_mad_u64_u32 v[0:1], s[0:1], v1, s2, v[0:1]
	v_mov_b32_e32 v1, v3
	v_lshlrev_b64 v[0:1], 3, v[0:1]
	v_mov_b32_e32 v2, s6
	v_add_co_u32_e32 v0, vcc, s3, v0
	v_addc_co_u32_e32 v1, vcc, v2, v1, vcc
	s_waitcnt vmcnt(0)
	global_store_dwordx2 v[0:1], v[4:5], off
.LBB113_2:
	s_endpgm
	.section	.rodata,"a",@progbits
	.p2align	6, 0x0
	.amdhsa_kernel _ZN9rocsolver6v33100L9copymatA1IdPdEEviiT0_iilPT_
		.amdhsa_group_segment_fixed_size 0
		.amdhsa_private_segment_fixed_size 0
		.amdhsa_kernarg_size 296
		.amdhsa_user_sgpr_count 6
		.amdhsa_user_sgpr_private_segment_buffer 1
		.amdhsa_user_sgpr_dispatch_ptr 0
		.amdhsa_user_sgpr_queue_ptr 0
		.amdhsa_user_sgpr_kernarg_segment_ptr 1
		.amdhsa_user_sgpr_dispatch_id 0
		.amdhsa_user_sgpr_flat_scratch_init 0
		.amdhsa_user_sgpr_kernarg_preload_length 0
		.amdhsa_user_sgpr_kernarg_preload_offset 0
		.amdhsa_user_sgpr_private_segment_size 0
		.amdhsa_uses_dynamic_stack 0
		.amdhsa_system_sgpr_private_segment_wavefront_offset 0
		.amdhsa_system_sgpr_workgroup_id_x 1
		.amdhsa_system_sgpr_workgroup_id_y 1
		.amdhsa_system_sgpr_workgroup_id_z 1
		.amdhsa_system_sgpr_workgroup_info 0
		.amdhsa_system_vgpr_workitem_id 1
		.amdhsa_next_free_vgpr 6
		.amdhsa_next_free_sgpr 20
		.amdhsa_accum_offset 8
		.amdhsa_reserve_vcc 1
		.amdhsa_reserve_flat_scratch 0
		.amdhsa_float_round_mode_32 0
		.amdhsa_float_round_mode_16_64 0
		.amdhsa_float_denorm_mode_32 3
		.amdhsa_float_denorm_mode_16_64 3
		.amdhsa_dx10_clamp 1
		.amdhsa_ieee_mode 1
		.amdhsa_fp16_overflow 0
		.amdhsa_tg_split 0
		.amdhsa_exception_fp_ieee_invalid_op 0
		.amdhsa_exception_fp_denorm_src 0
		.amdhsa_exception_fp_ieee_div_zero 0
		.amdhsa_exception_fp_ieee_overflow 0
		.amdhsa_exception_fp_ieee_underflow 0
		.amdhsa_exception_fp_ieee_inexact 0
		.amdhsa_exception_int_div_zero 0
	.end_amdhsa_kernel
	.section	.text._ZN9rocsolver6v33100L9copymatA1IdPdEEviiT0_iilPT_,"axG",@progbits,_ZN9rocsolver6v33100L9copymatA1IdPdEEviiT0_iilPT_,comdat
.Lfunc_end113:
	.size	_ZN9rocsolver6v33100L9copymatA1IdPdEEviiT0_iilPT_, .Lfunc_end113-_ZN9rocsolver6v33100L9copymatA1IdPdEEviiT0_iilPT_
                                        ; -- End function
	.section	.AMDGPU.csdata,"",@progbits
; Kernel info:
; codeLenInByte = 296
; NumSgprs: 24
; NumVgprs: 6
; NumAgprs: 0
; TotalNumVgprs: 6
; ScratchSize: 0
; MemoryBound: 0
; FloatMode: 240
; IeeeMode: 1
; LDSByteSize: 0 bytes/workgroup (compile time only)
; SGPRBlocks: 2
; VGPRBlocks: 0
; NumSGPRsForWavesPerEU: 24
; NumVGPRsForWavesPerEU: 6
; AccumOffset: 8
; Occupancy: 8
; WaveLimiterHint : 0
; COMPUTE_PGM_RSRC2:SCRATCH_EN: 0
; COMPUTE_PGM_RSRC2:USER_SGPR: 6
; COMPUTE_PGM_RSRC2:TRAP_HANDLER: 0
; COMPUTE_PGM_RSRC2:TGID_X_EN: 1
; COMPUTE_PGM_RSRC2:TGID_Y_EN: 1
; COMPUTE_PGM_RSRC2:TGID_Z_EN: 1
; COMPUTE_PGM_RSRC2:TIDIG_COMP_CNT: 1
; COMPUTE_PGM_RSRC3_GFX90A:ACCUM_OFFSET: 1
; COMPUTE_PGM_RSRC3_GFX90A:TG_SPLIT: 0
	.section	.text._ZN9rocsolver6v33100L8addmatA1IdPdEEviiT0_iilPT_,"axG",@progbits,_ZN9rocsolver6v33100L8addmatA1IdPdEEviiT0_iilPT_,comdat
	.globl	_ZN9rocsolver6v33100L8addmatA1IdPdEEviiT0_iilPT_ ; -- Begin function _ZN9rocsolver6v33100L8addmatA1IdPdEEviiT0_iilPT_
	.p2align	8
	.type	_ZN9rocsolver6v33100L8addmatA1IdPdEEviiT0_iilPT_,@function
_ZN9rocsolver6v33100L8addmatA1IdPdEEviiT0_iilPT_: ; @_ZN9rocsolver6v33100L8addmatA1IdPdEEviiT0_iilPT_
; %bb.0:
	s_load_dword s0, s[4:5], 0x34
	s_load_dwordx2 s[10:11], s[4:5], 0x0
	v_and_b32_e32 v1, 0x3ff, v0
	v_bfe_u32 v0, v0, 10, 10
	s_waitcnt lgkmcnt(0)
	s_lshr_b32 s1, s0, 16
	s_and_b32 s0, s0, 0xffff
	s_mul_i32 s6, s6, s0
	s_mul_i32 s7, s7, s1
	v_add_u32_e32 v1, s6, v1
	v_add_u32_e32 v0, s7, v0
	v_cmp_gt_u32_e32 vcc, s10, v0
	v_cmp_gt_u32_e64 s[0:1], s11, v1
	s_and_b64 s[0:1], s[0:1], vcc
	s_and_saveexec_b64 s[2:3], s[0:1]
	s_cbranch_execz .LBB114_2
; %bb.1:
	s_ashr_i32 s9, s10, 31
	s_load_dwordx8 s[0:7], s[4:5], 0x8
	s_ashr_i32 s12, s11, 31
	s_mul_hi_u32 s13, s10, s8
	s_mul_i32 s9, s9, s8
	s_mul_i32 s14, s10, s8
	s_add_i32 s9, s13, s9
	s_mul_i32 s12, s14, s12
	s_mul_hi_u32 s13, s14, s11
	s_add_i32 s12, s13, s12
	s_mul_i32 s9, s9, s11
	s_add_i32 s13, s12, s9
	s_mul_i32 s12, s14, s11
	s_lshl_b64 s[12:13], s[12:13], 3
	s_waitcnt lgkmcnt(0)
	s_add_u32 s9, s6, s12
	s_addc_u32 s11, s7, s13
	s_ashr_i32 s7, s2, 31
	s_mov_b32 s6, s2
	s_mul_i32 s2, s8, s5
	s_mul_hi_u32 s5, s8, s4
	s_add_i32 s5, s5, s2
	s_mul_i32 s4, s8, s4
	s_lshl_b64 s[4:5], s[4:5], 3
	s_add_u32 s2, s0, s4
	s_addc_u32 s4, s1, s5
	s_lshl_b64 s[0:1], s[6:7], 3
	s_add_u32 s2, s2, s0
	s_addc_u32 s4, s4, s1
	v_mad_u64_u32 v[2:3], s[0:1], v1, s10, v[0:1]
	v_mov_b32_e32 v3, 0
	v_lshlrev_b64 v[4:5], 3, v[2:3]
	v_mad_u64_u32 v[0:1], s[0:1], v1, s3, v[0:1]
	v_mov_b32_e32 v2, s11
	v_add_co_u32_e32 v4, vcc, s9, v4
	v_mov_b32_e32 v1, v3
	v_addc_co_u32_e32 v5, vcc, v2, v5, vcc
	v_lshlrev_b64 v[0:1], 3, v[0:1]
	v_mov_b32_e32 v2, s4
	v_add_co_u32_e32 v0, vcc, s2, v0
	v_addc_co_u32_e32 v1, vcc, v2, v1, vcc
	global_load_dwordx2 v[4:5], v[4:5], off
	s_nop 0
	global_load_dwordx2 v[2:3], v[0:1], off
	s_waitcnt vmcnt(0)
	v_add_f64 v[2:3], v[2:3], -v[4:5]
	global_store_dwordx2 v[0:1], v[2:3], off
.LBB114_2:
	s_endpgm
	.section	.rodata,"a",@progbits
	.p2align	6, 0x0
	.amdhsa_kernel _ZN9rocsolver6v33100L8addmatA1IdPdEEviiT0_iilPT_
		.amdhsa_group_segment_fixed_size 0
		.amdhsa_private_segment_fixed_size 0
		.amdhsa_kernarg_size 296
		.amdhsa_user_sgpr_count 6
		.amdhsa_user_sgpr_private_segment_buffer 1
		.amdhsa_user_sgpr_dispatch_ptr 0
		.amdhsa_user_sgpr_queue_ptr 0
		.amdhsa_user_sgpr_kernarg_segment_ptr 1
		.amdhsa_user_sgpr_dispatch_id 0
		.amdhsa_user_sgpr_flat_scratch_init 0
		.amdhsa_user_sgpr_kernarg_preload_length 0
		.amdhsa_user_sgpr_kernarg_preload_offset 0
		.amdhsa_user_sgpr_private_segment_size 0
		.amdhsa_uses_dynamic_stack 0
		.amdhsa_system_sgpr_private_segment_wavefront_offset 0
		.amdhsa_system_sgpr_workgroup_id_x 1
		.amdhsa_system_sgpr_workgroup_id_y 1
		.amdhsa_system_sgpr_workgroup_id_z 1
		.amdhsa_system_sgpr_workgroup_info 0
		.amdhsa_system_vgpr_workitem_id 1
		.amdhsa_next_free_vgpr 6
		.amdhsa_next_free_sgpr 15
		.amdhsa_accum_offset 8
		.amdhsa_reserve_vcc 1
		.amdhsa_reserve_flat_scratch 0
		.amdhsa_float_round_mode_32 0
		.amdhsa_float_round_mode_16_64 0
		.amdhsa_float_denorm_mode_32 3
		.amdhsa_float_denorm_mode_16_64 3
		.amdhsa_dx10_clamp 1
		.amdhsa_ieee_mode 1
		.amdhsa_fp16_overflow 0
		.amdhsa_tg_split 0
		.amdhsa_exception_fp_ieee_invalid_op 0
		.amdhsa_exception_fp_denorm_src 0
		.amdhsa_exception_fp_ieee_div_zero 0
		.amdhsa_exception_fp_ieee_overflow 0
		.amdhsa_exception_fp_ieee_underflow 0
		.amdhsa_exception_fp_ieee_inexact 0
		.amdhsa_exception_int_div_zero 0
	.end_amdhsa_kernel
	.section	.text._ZN9rocsolver6v33100L8addmatA1IdPdEEviiT0_iilPT_,"axG",@progbits,_ZN9rocsolver6v33100L8addmatA1IdPdEEviiT0_iilPT_,comdat
.Lfunc_end114:
	.size	_ZN9rocsolver6v33100L8addmatA1IdPdEEviiT0_iilPT_, .Lfunc_end114-_ZN9rocsolver6v33100L8addmatA1IdPdEEviiT0_iilPT_
                                        ; -- End function
	.section	.AMDGPU.csdata,"",@progbits
; Kernel info:
; codeLenInByte = 316
; NumSgprs: 19
; NumVgprs: 6
; NumAgprs: 0
; TotalNumVgprs: 6
; ScratchSize: 0
; MemoryBound: 0
; FloatMode: 240
; IeeeMode: 1
; LDSByteSize: 0 bytes/workgroup (compile time only)
; SGPRBlocks: 2
; VGPRBlocks: 0
; NumSGPRsForWavesPerEU: 19
; NumVGPRsForWavesPerEU: 6
; AccumOffset: 8
; Occupancy: 8
; WaveLimiterHint : 0
; COMPUTE_PGM_RSRC2:SCRATCH_EN: 0
; COMPUTE_PGM_RSRC2:USER_SGPR: 6
; COMPUTE_PGM_RSRC2:TRAP_HANDLER: 0
; COMPUTE_PGM_RSRC2:TGID_X_EN: 1
; COMPUTE_PGM_RSRC2:TGID_Y_EN: 1
; COMPUTE_PGM_RSRC2:TGID_Z_EN: 1
; COMPUTE_PGM_RSRC2:TIDIG_COMP_CNT: 1
; COMPUTE_PGM_RSRC3_GFX90A:ACCUM_OFFSET: 1
; COMPUTE_PGM_RSRC3_GFX90A:TG_SPLIT: 0
	.section	.text._ZN9rocsolver6v33100L8copy_matIdPdS2_NS0_7no_maskEEEviiT0_iilT1_iilT2_13rocblas_fill_17rocblas_diagonal_,"axG",@progbits,_ZN9rocsolver6v33100L8copy_matIdPdS2_NS0_7no_maskEEEviiT0_iilT1_iilT2_13rocblas_fill_17rocblas_diagonal_,comdat
	.globl	_ZN9rocsolver6v33100L8copy_matIdPdS2_NS0_7no_maskEEEviiT0_iilT1_iilT2_13rocblas_fill_17rocblas_diagonal_ ; -- Begin function _ZN9rocsolver6v33100L8copy_matIdPdS2_NS0_7no_maskEEEviiT0_iilT1_iilT2_13rocblas_fill_17rocblas_diagonal_
	.p2align	8
	.type	_ZN9rocsolver6v33100L8copy_matIdPdS2_NS0_7no_maskEEEviiT0_iilT1_iilT2_13rocblas_fill_17rocblas_diagonal_,@function
_ZN9rocsolver6v33100L8copy_matIdPdS2_NS0_7no_maskEEEviiT0_iilT1_iilT2_13rocblas_fill_17rocblas_diagonal_: ; @_ZN9rocsolver6v33100L8copy_matIdPdS2_NS0_7no_maskEEEviiT0_iilT1_iilT2_13rocblas_fill_17rocblas_diagonal_
; %bb.0:
	s_load_dword s2, s[4:5], 0x54
	s_load_dwordx2 s[0:1], s[4:5], 0x0
	v_bfe_u32 v1, v0, 10, 10
	v_and_b32_e32 v0, 0x3ff, v0
	s_waitcnt lgkmcnt(0)
	s_lshr_b32 s3, s2, 16
	s_and_b32 s2, s2, 0xffff
	s_mul_i32 s7, s7, s3
	s_mul_i32 s6, s6, s2
	v_add_u32_e32 v1, s7, v1
	v_add_u32_e32 v0, s6, v0
	v_cmp_gt_u32_e32 vcc, s0, v0
	v_cmp_gt_u32_e64 s[0:1], s1, v1
	s_and_b64 s[0:1], s[0:1], vcc
	s_and_saveexec_b64 s[2:3], s[0:1]
	s_cbranch_execz .LBB115_14
; %bb.1:
	s_load_dwordx2 s[2:3], s[4:5], 0x3c
	s_waitcnt lgkmcnt(0)
	s_cmpk_lt_i32 s2, 0x7a
	s_cbranch_scc1 .LBB115_4
; %bb.2:
	s_cmpk_gt_i32 s2, 0x7a
	s_cbranch_scc0 .LBB115_5
; %bb.3:
	s_cmpk_lg_i32 s2, 0x7b
	s_mov_b64 s[6:7], -1
	s_cselect_b64 s[10:11], -1, 0
	s_cbranch_execz .LBB115_6
	s_branch .LBB115_7
.LBB115_4:
	s_mov_b64 s[10:11], 0
	s_mov_b64 s[6:7], 0
	s_cbranch_execnz .LBB115_8
	s_branch .LBB115_10
.LBB115_5:
	s_mov_b64 s[6:7], 0
	s_mov_b64 s[10:11], 0
.LBB115_6:
	v_cmp_gt_u32_e32 vcc, v0, v1
	v_cmp_le_u32_e64 s[0:1], v0, v1
	s_andn2_b64 s[6:7], s[6:7], exec
	s_and_b64 s[12:13], vcc, exec
	s_andn2_b64 s[10:11], s[10:11], exec
	s_and_b64 s[0:1], s[0:1], exec
	s_or_b64 s[6:7], s[6:7], s[12:13]
	s_or_b64 s[10:11], s[10:11], s[0:1]
.LBB115_7:
	s_branch .LBB115_10
.LBB115_8:
	s_cmpk_eq_i32 s2, 0x79
	s_mov_b64 s[10:11], -1
	s_cbranch_scc0 .LBB115_10
; %bb.9:
	v_cmp_gt_u32_e32 vcc, v1, v0
	v_cmp_le_u32_e64 s[0:1], v1, v0
	s_andn2_b64 s[6:7], s[6:7], exec
	s_and_b64 s[10:11], vcc, exec
	s_or_b64 s[6:7], s[6:7], s[10:11]
	s_orn2_b64 s[10:11], s[0:1], exec
.LBB115_10:
	s_and_saveexec_b64 s[0:1], s[10:11]
; %bb.11:
	s_cmpk_eq_i32 s3, 0x83
	s_cselect_b64 s[2:3], -1, 0
	v_cmp_eq_u32_e32 vcc, v0, v1
	s_and_b64 s[2:3], s[2:3], vcc
	s_andn2_b64 s[6:7], s[6:7], exec
	s_and_b64 s[2:3], s[2:3], exec
	s_or_b64 s[6:7], s[6:7], s[2:3]
; %bb.12:
	s_or_b64 exec, exec, s[0:1]
	s_and_b64 exec, exec, s[6:7]
	s_cbranch_execz .LBB115_14
; %bb.13:
	s_load_dwordx8 s[12:19], s[4:5], 0x8
	s_waitcnt lgkmcnt(0)
	s_mul_i32 s3, s8, s17
	s_mul_hi_u32 s6, s8, s16
	s_mul_i32 s2, s8, s16
	s_add_i32 s3, s6, s3
	s_ashr_i32 s1, s14, 31
	s_lshl_b64 s[2:3], s[2:3], 3
	s_mov_b32 s0, s14
	s_add_u32 s2, s12, s2
	s_addc_u32 s3, s13, s3
	s_lshl_b64 s[0:1], s[0:1], 3
	s_add_u32 s2, s2, s0
	s_addc_u32 s3, s3, s1
	v_mad_u64_u32 v[2:3], s[0:1], v1, s15, v[0:1]
	v_mov_b32_e32 v3, 0
	v_lshlrev_b64 v[4:5], 3, v[2:3]
	v_mov_b32_e32 v2, s3
	v_add_co_u32_e32 v4, vcc, s2, v4
	v_addc_co_u32_e32 v5, vcc, v2, v5, vcc
	global_load_dwordx2 v[4:5], v[4:5], off
	s_load_dwordx4 s[0:3], s[4:5], 0x28
	s_waitcnt lgkmcnt(0)
	s_ashr_i32 s5, s0, 31
	s_mov_b32 s4, s0
	s_mul_i32 s0, s8, s3
	s_mul_hi_u32 s3, s8, s2
	s_add_i32 s3, s3, s0
	s_mul_i32 s2, s8, s2
	s_lshl_b64 s[2:3], s[2:3], 3
	s_add_u32 s0, s18, s2
	s_addc_u32 s6, s19, s3
	s_lshl_b64 s[2:3], s[4:5], 3
	s_add_u32 s2, s0, s2
	v_mad_u64_u32 v[0:1], s[0:1], v1, s1, v[0:1]
	v_mov_b32_e32 v1, v3
	s_addc_u32 s3, s6, s3
	v_lshlrev_b64 v[0:1], 3, v[0:1]
	v_mov_b32_e32 v2, s3
	v_add_co_u32_e32 v0, vcc, s2, v0
	v_addc_co_u32_e32 v1, vcc, v2, v1, vcc
	s_waitcnt vmcnt(0)
	global_store_dwordx2 v[0:1], v[4:5], off
.LBB115_14:
	s_endpgm
	.section	.rodata,"a",@progbits
	.p2align	6, 0x0
	.amdhsa_kernel _ZN9rocsolver6v33100L8copy_matIdPdS2_NS0_7no_maskEEEviiT0_iilT1_iilT2_13rocblas_fill_17rocblas_diagonal_
		.amdhsa_group_segment_fixed_size 0
		.amdhsa_private_segment_fixed_size 0
		.amdhsa_kernarg_size 328
		.amdhsa_user_sgpr_count 6
		.amdhsa_user_sgpr_private_segment_buffer 1
		.amdhsa_user_sgpr_dispatch_ptr 0
		.amdhsa_user_sgpr_queue_ptr 0
		.amdhsa_user_sgpr_kernarg_segment_ptr 1
		.amdhsa_user_sgpr_dispatch_id 0
		.amdhsa_user_sgpr_flat_scratch_init 0
		.amdhsa_user_sgpr_kernarg_preload_length 0
		.amdhsa_user_sgpr_kernarg_preload_offset 0
		.amdhsa_user_sgpr_private_segment_size 0
		.amdhsa_uses_dynamic_stack 0
		.amdhsa_system_sgpr_private_segment_wavefront_offset 0
		.amdhsa_system_sgpr_workgroup_id_x 1
		.amdhsa_system_sgpr_workgroup_id_y 1
		.amdhsa_system_sgpr_workgroup_id_z 1
		.amdhsa_system_sgpr_workgroup_info 0
		.amdhsa_system_vgpr_workitem_id 1
		.amdhsa_next_free_vgpr 6
		.amdhsa_next_free_sgpr 20
		.amdhsa_accum_offset 8
		.amdhsa_reserve_vcc 1
		.amdhsa_reserve_flat_scratch 0
		.amdhsa_float_round_mode_32 0
		.amdhsa_float_round_mode_16_64 0
		.amdhsa_float_denorm_mode_32 3
		.amdhsa_float_denorm_mode_16_64 3
		.amdhsa_dx10_clamp 1
		.amdhsa_ieee_mode 1
		.amdhsa_fp16_overflow 0
		.amdhsa_tg_split 0
		.amdhsa_exception_fp_ieee_invalid_op 0
		.amdhsa_exception_fp_denorm_src 0
		.amdhsa_exception_fp_ieee_div_zero 0
		.amdhsa_exception_fp_ieee_overflow 0
		.amdhsa_exception_fp_ieee_underflow 0
		.amdhsa_exception_fp_ieee_inexact 0
		.amdhsa_exception_int_div_zero 0
	.end_amdhsa_kernel
	.section	.text._ZN9rocsolver6v33100L8copy_matIdPdS2_NS0_7no_maskEEEviiT0_iilT1_iilT2_13rocblas_fill_17rocblas_diagonal_,"axG",@progbits,_ZN9rocsolver6v33100L8copy_matIdPdS2_NS0_7no_maskEEEviiT0_iilT1_iilT2_13rocblas_fill_17rocblas_diagonal_,comdat
.Lfunc_end115:
	.size	_ZN9rocsolver6v33100L8copy_matIdPdS2_NS0_7no_maskEEEviiT0_iilT1_iilT2_13rocblas_fill_17rocblas_diagonal_, .Lfunc_end115-_ZN9rocsolver6v33100L8copy_matIdPdS2_NS0_7no_maskEEEviiT0_iilT1_iilT2_13rocblas_fill_17rocblas_diagonal_
                                        ; -- End function
	.section	.AMDGPU.csdata,"",@progbits
; Kernel info:
; codeLenInByte = 492
; NumSgprs: 24
; NumVgprs: 6
; NumAgprs: 0
; TotalNumVgprs: 6
; ScratchSize: 0
; MemoryBound: 0
; FloatMode: 240
; IeeeMode: 1
; LDSByteSize: 0 bytes/workgroup (compile time only)
; SGPRBlocks: 2
; VGPRBlocks: 0
; NumSGPRsForWavesPerEU: 24
; NumVGPRsForWavesPerEU: 6
; AccumOffset: 8
; Occupancy: 8
; WaveLimiterHint : 0
; COMPUTE_PGM_RSRC2:SCRATCH_EN: 0
; COMPUTE_PGM_RSRC2:USER_SGPR: 6
; COMPUTE_PGM_RSRC2:TRAP_HANDLER: 0
; COMPUTE_PGM_RSRC2:TGID_X_EN: 1
; COMPUTE_PGM_RSRC2:TGID_Y_EN: 1
; COMPUTE_PGM_RSRC2:TGID_Z_EN: 1
; COMPUTE_PGM_RSRC2:TIDIG_COMP_CNT: 1
; COMPUTE_PGM_RSRC3_GFX90A:ACCUM_OFFSET: 1
; COMPUTE_PGM_RSRC3_GFX90A:TG_SPLIT: 0
	.section	.text._ZN9rocsolver6v33100L18geqr2_kernel_smallILi256EdidPdEEvT1_S3_T3_lS3_lPT2_lPT0_l,"axG",@progbits,_ZN9rocsolver6v33100L18geqr2_kernel_smallILi256EdidPdEEvT1_S3_T3_lS3_lPT2_lPT0_l,comdat
	.globl	_ZN9rocsolver6v33100L18geqr2_kernel_smallILi256EdidPdEEvT1_S3_T3_lS3_lPT2_lPT0_l ; -- Begin function _ZN9rocsolver6v33100L18geqr2_kernel_smallILi256EdidPdEEvT1_S3_T3_lS3_lPT2_lPT0_l
	.p2align	8
	.type	_ZN9rocsolver6v33100L18geqr2_kernel_smallILi256EdidPdEEvT1_S3_T3_lS3_lPT2_lPT0_l,@function
_ZN9rocsolver6v33100L18geqr2_kernel_smallILi256EdidPdEEvT1_S3_T3_lS3_lPT2_lPT0_l: ; @_ZN9rocsolver6v33100L18geqr2_kernel_smallILi256EdidPdEEvT1_S3_T3_lS3_lPT2_lPT0_l
; %bb.0:
	s_load_dwordx8 s[8:15], s[4:5], 0x20
	s_load_dwordx2 s[16:17], s[4:5], 0x0
	s_load_dwordx4 s[0:3], s[4:5], 0x8
	s_load_dword s35, s[4:5], 0x18
	s_load_dwordx2 s[18:19], s[4:5], 0x40
	s_ashr_i32 s6, s7, 31
	s_waitcnt lgkmcnt(0)
	s_mul_i32 s4, s7, s9
	s_mul_hi_u32 s5, s7, s8
	s_add_i32 s4, s5, s4
	s_mul_i32 s5, s6, s8
	s_add_i32 s5, s4, s5
	s_mul_i32 s4, s7, s8
	s_lshl_b64 s[4:5], s[4:5], 3
	s_add_u32 s4, s0, s4
	s_addc_u32 s5, s1, s5
	s_lshl_b64 s[0:1], s[2:3], 3
	s_add_u32 s33, s4, s0
	v_and_b32_e32 v2, 0x7f, v0
	s_addc_u32 s34, s5, s1
	v_cmp_gt_i32_e64 s[0:1], s16, v2
	v_lshrrev_b32_e32 v3, 7, v0
	v_lshlrev_b32_e32 v14, 3, v2
	s_and_saveexec_b64 s[4:5], s[0:1]
	s_cbranch_execz .LBB116_6
; %bb.1:
	v_lshrrev_b32_e32 v1, 7, v0
	v_mul_lo_u32 v4, s16, v1
	v_lshlrev_b32_e32 v4, 3, v4
	v_add3_u32 v8, v4, v14, 0
	v_mad_u64_u32 v[4:5], s[2:3], s35, v1, v[2:3]
	v_cmp_gt_i32_e32 vcc, s17, v1
	s_lshl_b32 s24, s16, 4
	s_lshl_b32 s25, s35, 1
	s_mov_b64 s[8:9], 0
	v_mov_b32_e32 v5, v2
	s_branch .LBB116_3
.LBB116_2:                              ;   in Loop: Header=BB116_3 Depth=1
	s_or_b64 exec, exec, s[20:21]
	v_add_u32_e32 v5, 0x80, v5
	v_cmp_le_i32_e64 s[2:3], s16, v5
	v_add_u32_e32 v8, 0x400, v8
	s_or_b64 s[8:9], s[2:3], s[8:9]
	v_add_u32_e32 v4, 0x80, v4
	s_andn2_b64 exec, exec, s[8:9]
	s_cbranch_execz .LBB116_6
.LBB116_3:                              ; =>This Loop Header: Depth=1
                                        ;     Child Loop BB116_5 Depth 2
	s_and_saveexec_b64 s[20:21], vcc
	s_cbranch_execz .LBB116_2
; %bb.4:                                ;   in Loop: Header=BB116_3 Depth=1
	s_mov_b64 s[22:23], 0
	v_mov_b32_e32 v6, v4
	v_mov_b32_e32 v9, v8
	;; [unrolled: 1-line block ×3, first 2 shown]
.LBB116_5:                              ;   Parent Loop BB116_3 Depth=1
                                        ; =>  This Inner Loop Header: Depth=2
	v_ashrrev_i32_e32 v7, 31, v6
	v_lshlrev_b64 v[12:13], 3, v[6:7]
	v_mov_b32_e32 v11, s34
	v_add_co_u32_e64 v12, s[2:3], s33, v12
	v_addc_co_u32_e64 v13, s[2:3], v11, v13, s[2:3]
	global_load_dwordx2 v[12:13], v[12:13], off
	v_add_u32_e32 v10, 2, v10
	v_cmp_le_i32_e64 s[2:3], s17, v10
	v_add_u32_e32 v6, s25, v6
	s_or_b64 s[22:23], s[2:3], s[22:23]
	s_waitcnt vmcnt(0)
	ds_write_b64 v9, v[12:13]
	v_add_u32_e32 v9, s24, v9
	s_andn2_b64 exec, exec, s[22:23]
	s_cbranch_execnz .LBB116_5
	s_branch .LBB116_2
.LBB116_6:
	s_or_b64 exec, exec, s[4:5]
	s_min_i32 s36, s17, s16
	s_cmp_lt_i32 s36, 1
	s_waitcnt lgkmcnt(0)
	s_barrier
	s_cbranch_scc1 .LBB116_43
; %bb.7:
	s_mul_i32 s2, s7, s13
	s_mul_hi_u32 s3, s7, s12
	v_mbcnt_lo_u32_b32 v1, -1, 0
	s_add_i32 s2, s3, s2
	s_mul_i32 s3, s6, s12
	v_mbcnt_hi_u32_b32 v5, -1, v1
	s_add_i32 s3, s2, s3
	s_mul_i32 s2, s7, s12
	v_and_b32_e32 v6, 63, v5
	s_lshl_b64 s[2:3], s[2:3], 3
	v_cmp_ne_u32_e32 vcc, 63, v6
	s_add_u32 s37, s10, s2
	v_addc_co_u32_e32 v1, vcc, 0, v5, vcc
	s_addc_u32 s38, s11, s3
	s_mul_i32 s2, s7, s19
	s_mul_hi_u32 s3, s7, s18
	v_cmp_gt_u32_e32 vcc, 62, v6
	s_add_i32 s2, s3, s2
	s_mul_i32 s3, s6, s18
	v_cndmask_b32_e64 v7, 0, 1, vcc
	s_add_i32 s3, s2, s3
	s_mul_i32 s2, s7, s18
	v_lshlrev_b32_e32 v7, 1, v7
	v_cmp_gt_u32_e32 vcc, 60, v6
	s_lshl_b64 s[2:3], s[2:3], 3
	v_add_lshl_u32 v15, v7, v5, 2
	v_cndmask_b32_e64 v7, 0, 1, vcc
	s_add_u32 s39, s14, s2
	s_mul_i32 s2, s17, s16
	v_lshlrev_b32_e32 v7, 2, v7
	v_cmp_gt_u32_e32 vcc, 56, v6
	s_addc_u32 s40, s15, s3
	s_lshl_b32 s2, s2, 3
	v_add_lshl_u32 v16, v7, v5, 2
	v_cndmask_b32_e64 v7, 0, 1, vcc
	s_add_i32 s41, s2, 0
	s_lshl_b32 s2, s17, 3
	v_lshlrev_b32_e32 v7, 3, v7
	v_cmp_gt_u32_e32 vcc, 48, v6
	s_add_i32 s42, s41, s2
	v_add_lshl_u32 v17, v7, v5, 2
	v_cndmask_b32_e64 v7, 0, 1, vcc
	v_cmp_gt_u32_e32 vcc, 32, v6
	v_cndmask_b32_e64 v6, 0, 1, vcc
	s_cmp_eq_u64 s[10:11], 0
	v_lshlrev_b32_e32 v7, 4, v7
	v_lshlrev_b32_e32 v6, 5, v6
	s_cselect_b64 s[12:13], -1, 0
	s_cmp_lg_u64 s[10:11], 0
	v_add_lshl_u32 v18, v7, v5, 2
	v_add_lshl_u32 v19, v6, v5, 2
	v_and_b32_e32 v5, 63, v0
	s_cselect_b64 s[10:11], -1, 0
	s_lshl_b32 s43, s16, 3
	v_mul_lo_u32 v7, s16, v0
	s_mov_b32 s9, 0
	v_cmp_eq_u32_e64 s[2:3], 0, v5
	v_lshrrev_b32_e32 v5, 3, v0
	v_lshlrev_b32_e32 v6, 3, v0
	v_add_u32_e32 v7, s16, v7
	s_add_i32 s6, s43, 0
	s_mov_b32 s14, 0
	v_mov_b32_e32 v4, 0
	v_lshlrev_b32_e32 v1, 2, v1
	v_cmp_eq_u32_e64 s[4:5], 0, v0
	v_add3_u32 v20, v6, 0, 8
	s_add_i32 s44, s43, 8
	v_lshl_add_u32 v21, v7, 3, 0
	s_lshl_b32 s45, s16, 11
	v_add_u32_e32 v22, s6, v6
	v_add_u32_e32 v23, s42, v5
	s_brev_b32 s15, 8
	v_mov_b32_e32 v24, 0x260
	v_mov_b32_e32 v25, 0xffffff80
	s_mov_b32 s46, 0
	s_mov_b32 s8, s9
	s_branch .LBB116_9
.LBB116_8:                              ;   in Loop: Header=BB116_9 Depth=1
	s_or_b64 exec, exec, s[6:7]
	s_add_i32 s8, s8, 1
	s_add_i32 s46, s46, s44
	v_add_u32_e32 v20, s44, v20
	v_add_u32_e32 v21, s44, v21
	s_cmp_eq_u32 s8, s36
	v_add_u32_e32 v22, s44, v22
	s_waitcnt lgkmcnt(0)
	s_barrier
	s_cbranch_scc1 .LBB116_43
.LBB116_9:                              ; =>This Loop Header: Depth=1
                                        ;     Child Loop BB116_11 Depth 2
                                        ;     Child Loop BB116_25 Depth 2
	;; [unrolled: 1-line block ×3, first 2 shown]
                                        ;       Child Loop BB116_32 Depth 3
                                        ;     Child Loop BB116_36 Depth 2
                                        ;       Child Loop BB116_38 Depth 3
	s_sub_i32 s47, s16, s8
	s_add_i32 s49, s47, -1
	v_cmp_gt_i32_e64 s[6:7], s49, v0
	v_pk_mov_b32 v[6:7], 0, 0
	s_and_saveexec_b64 s[18:19], s[6:7]
	s_cbranch_execz .LBB116_13
; %bb.10:                               ;   in Loop: Header=BB116_9 Depth=1
	s_mov_b64 s[20:21], 0
	v_pk_mov_b32 v[6:7], 0, 0
	v_mov_b32_e32 v5, v20
	v_mov_b32_e32 v8, v0
.LBB116_11:                             ;   Parent Loop BB116_9 Depth=1
                                        ; =>  This Inner Loop Header: Depth=2
	ds_read_b64 v[10:11], v5
	v_add_u32_e32 v8, 0x100, v8
	v_cmp_le_i32_e32 vcc, s49, v8
	v_add_u32_e32 v5, 0x800, v5
	s_or_b64 s[20:21], vcc, s[20:21]
	s_waitcnt lgkmcnt(0)
	v_mul_f64 v[10:11], v[10:11], v[10:11]
	v_add_f64 v[6:7], v[6:7], v[10:11]
	s_andn2_b64 exec, exec, s[20:21]
	s_cbranch_execnz .LBB116_11
; %bb.12:                               ;   in Loop: Header=BB116_9 Depth=1
	s_or_b64 exec, exec, s[20:21]
.LBB116_13:                             ;   in Loop: Header=BB116_9 Depth=1
	s_or_b64 exec, exec, s[18:19]
	ds_bpermute_b32 v8, v1, v6
	ds_bpermute_b32 v9, v1, v7
	s_waitcnt lgkmcnt(0)
	v_add_f64 v[6:7], v[6:7], v[8:9]
	ds_bpermute_b32 v8, v15, v6
	ds_bpermute_b32 v9, v15, v7
	s_waitcnt lgkmcnt(0)
	v_add_f64 v[6:7], v[6:7], v[8:9]
	;; [unrolled: 4-line block ×6, first 2 shown]
	s_and_saveexec_b64 s[18:19], s[2:3]
	s_cbranch_execz .LBB116_15
; %bb.14:                               ;   in Loop: Header=BB116_9 Depth=1
	ds_write_b64 v23, v[6:7] offset:8
.LBB116_15:                             ;   in Loop: Header=BB116_9 Depth=1
	s_or_b64 exec, exec, s[18:19]
	s_lshl_b32 s18, s8, 3
	s_add_i32 s48, s18, 0
	s_mul_i32 s18, s8, s16
	s_lshl_b32 s18, s18, 3
	s_add_i32 s48, s48, s18
	s_waitcnt lgkmcnt(0)
	s_barrier
	s_and_saveexec_b64 s[18:19], s[4:5]
	s_cbranch_execz .LBB116_23
; %bb.16:                               ;   in Loop: Header=BB116_9 Depth=1
	v_mov_b32_e32 v5, s42
	ds_read2_b64 v[8:11], v5 offset0:2 offset1:3
	ds_read_b64 v[12:13], v5 offset:32
	s_mov_b64 s[26:27], 0
	s_mov_b64 s[24:25], 0
                                        ; implicit-def: $sgpr22_sgpr23
                                        ; implicit-def: $sgpr20_sgpr21
                                        ; implicit-def: $sgpr30_sgpr31
	s_waitcnt lgkmcnt(1)
	v_add_f64 v[6:7], v[6:7], v[8:9]
	v_add_f64 v[6:7], v[6:7], v[10:11]
	s_waitcnt lgkmcnt(0)
	v_add_f64 v[10:11], v[6:7], v[12:13]
	v_cmp_nlt_f64_e32 vcc, 0, v[10:11]
                                        ; implicit-def: $vgpr6_vgpr7
	s_and_saveexec_b64 s[28:29], vcc
	s_xor_b64 s[28:29], exec, s[28:29]
	s_cbranch_execnz .LBB116_39
; %bb.17:                               ;   in Loop: Header=BB116_9 Depth=1
	s_or_saveexec_b64 s[28:29], s[28:29]
	v_pk_mov_b32 v[8:9], s[30:31], s[30:31] op_sel:[0,1]
	s_xor_b64 exec, exec, s[28:29]
	s_cbranch_execnz .LBB116_42
.LBB116_18:                             ;   in Loop: Header=BB116_9 Depth=1
	s_or_b64 exec, exec, s[28:29]
	s_and_saveexec_b64 s[28:29], s[24:25]
	s_cbranch_execz .LBB116_20
.LBB116_19:                             ;   in Loop: Header=BB116_9 Depth=1
	s_lshl_b64 s[24:25], s[8:9], 3
	s_add_u32 s24, s37, s24
	s_addc_u32 s25, s38, s25
	s_waitcnt lgkmcnt(0)
	global_store_dwordx2 v4, v[6:7], s[24:25]
	v_mov_b32_e32 v6, 0
	v_mov_b32_e32 v7, 0x3ff00000
	s_or_b64 s[26:27], s[26:27], exec
.LBB116_20:                             ;   in Loop: Header=BB116_9 Depth=1
	s_or_b64 exec, exec, s[28:29]
	v_pk_mov_b32 v[10:11], s[20:21], s[20:21] op_sel:[0,1]
	v_pk_mov_b32 v[12:13], s[22:23], s[22:23] op_sel:[0,1]
	s_and_saveexec_b64 s[20:21], s[26:27]
	s_cbranch_execz .LBB116_22
; %bb.21:                               ;   in Loop: Header=BB116_9 Depth=1
	v_mov_b32_e32 v5, s48
	s_waitcnt lgkmcnt(0)
	ds_write_b64 v5, v[6:7]
	v_mov_b32_e32 v5, s42
	ds_read_b64 v[10:11], v5
	v_pk_mov_b32 v[12:13], v[8:9], v[8:9] op_sel:[0,1]
.LBB116_22:                             ;   in Loop: Header=BB116_9 Depth=1
	s_or_b64 exec, exec, s[20:21]
	s_lshl_b64 s[20:21], s[8:9], 3
	s_add_u32 s20, s39, s20
	s_addc_u32 s21, s40, s21
	v_mov_b32_e32 v5, s42
	s_waitcnt lgkmcnt(0)
	global_store_dwordx2 v4, v[10:11], s[20:21]
	ds_write_b64 v5, v[12:13] offset:8
.LBB116_23:                             ;   in Loop: Header=BB116_9 Depth=1
	s_or_b64 exec, exec, s[18:19]
	s_waitcnt lgkmcnt(0)
	s_barrier
	s_and_saveexec_b64 s[18:19], s[6:7]
	s_cbranch_execz .LBB116_26
; %bb.24:                               ;   in Loop: Header=BB116_9 Depth=1
	s_mov_b32 s20, 0
	s_mov_b64 s[6:7], 0
	v_mov_b32_e32 v5, v0
.LBB116_25:                             ;   Parent Loop BB116_9 Depth=1
                                        ; =>  This Inner Loop Header: Depth=2
	v_mov_b32_e32 v6, s42
	v_add_u32_e32 v10, s20, v20
	ds_read_b64 v[6:7], v6 offset:8
	ds_read_b64 v[8:9], v10
	v_add_u32_e32 v5, 0x100, v5
	s_addk_i32 s20, 0x800
	v_cmp_le_i32_e32 vcc, s49, v5
	s_or_b64 s[6:7], vcc, s[6:7]
	s_waitcnt lgkmcnt(0)
	v_mul_f64 v[6:7], v[6:7], v[8:9]
	ds_write_b64 v10, v[6:7]
	s_andn2_b64 exec, exec, s[6:7]
	s_cbranch_execnz .LBB116_25
.LBB116_26:                             ;   in Loop: Header=BB116_9 Depth=1
	s_or_b64 exec, exec, s[18:19]
	s_not_b32 s22, s8
	s_add_i32 s22, s22, s17
	v_cmp_gt_i32_e32 vcc, s22, v0
	s_waitcnt lgkmcnt(0)
	s_barrier
	s_and_saveexec_b64 s[6:7], vcc
	s_cbranch_execz .LBB116_33
; %bb.27:                               ;   in Loop: Header=BB116_9 Depth=1
	s_cmp_gt_i32 s47, 0
	s_mov_b64 s[18:19], 0
	s_cselect_b64 s[20:21], -1, 0
	v_mov_b32_e32 v5, v21
	v_mov_b32_e32 v8, v0
	s_branch .LBB116_30
.LBB116_28:                             ;   in Loop: Header=BB116_30 Depth=2
	v_pk_mov_b32 v[6:7], 0, 0
.LBB116_29:                             ;   in Loop: Header=BB116_30 Depth=2
	v_mov_b32_e32 v9, s42
	ds_read_b64 v[10:11], v9
	v_lshl_add_u32 v9, v8, 3, s41
	v_add_u32_e32 v8, 0x100, v8
	v_cmp_le_i32_e32 vcc, s22, v8
	s_or_b64 s[18:19], vcc, s[18:19]
	s_waitcnt lgkmcnt(0)
	v_mul_f64 v[6:7], v[6:7], v[10:11]
	v_add_u32_e32 v5, s45, v5
	ds_write_b64 v9, v[6:7]
	s_andn2_b64 exec, exec, s[18:19]
	s_cbranch_execz .LBB116_33
.LBB116_30:                             ;   Parent Loop BB116_9 Depth=1
                                        ; =>  This Loop Header: Depth=2
                                        ;       Child Loop BB116_32 Depth 3
	s_andn2_b64 vcc, exec, s[20:21]
	s_cbranch_vccnz .LBB116_28
; %bb.31:                               ;   in Loop: Header=BB116_30 Depth=2
	s_mov_b32 s23, 0
	v_pk_mov_b32 v[6:7], 0, 0
	s_mov_b32 s24, s46
	v_mov_b32_e32 v9, v5
.LBB116_32:                             ;   Parent Loop BB116_9 Depth=1
                                        ;     Parent Loop BB116_30 Depth=2
                                        ; =>    This Inner Loop Header: Depth=3
	v_mov_b32_e32 v12, s24
	ds_read_b64 v[10:11], v9
	ds_read_b64 v[12:13], v12
	s_add_i32 s23, s23, 1
	s_add_i32 s24, s24, 8
	v_add_u32_e32 v9, 8, v9
	s_cmp_ge_i32 s23, s47
	s_waitcnt lgkmcnt(0)
	v_fmac_f64_e32 v[6:7], v[10:11], v[12:13]
	s_cbranch_scc0 .LBB116_32
	s_branch .LBB116_29
.LBB116_33:                             ;   in Loop: Header=BB116_9 Depth=1
	s_or_b64 exec, exec, s[6:7]
	v_cmp_gt_i32_e32 vcc, s47, v0
	s_waitcnt lgkmcnt(0)
	s_barrier
	s_and_saveexec_b64 s[6:7], vcc
	s_cbranch_execz .LBB116_8
; %bb.34:                               ;   in Loop: Header=BB116_9 Depth=1
	s_cmp_gt_i32 s22, 0
	s_mov_b64 s[18:19], 0
	s_cselect_b64 s[20:21], -1, 0
	v_mov_b32_e32 v5, v22
	v_mov_b32_e32 v6, v0
	s_branch .LBB116_36
.LBB116_35:                             ;   in Loop: Header=BB116_36 Depth=2
	v_add_u32_e32 v6, 0x100, v6
	v_cmp_le_i32_e32 vcc, s47, v6
	s_or_b64 s[18:19], vcc, s[18:19]
	v_add_u32_e32 v5, 0x800, v5
	s_andn2_b64 exec, exec, s[18:19]
	s_cbranch_execz .LBB116_8
.LBB116_36:                             ;   Parent Loop BB116_9 Depth=1
                                        ; =>  This Loop Header: Depth=2
                                        ;       Child Loop BB116_38 Depth 3
	s_andn2_b64 vcc, exec, s[20:21]
	s_cbranch_vccnz .LBB116_35
; %bb.37:                               ;   in Loop: Header=BB116_36 Depth=2
	v_lshl_add_u32 v7, v6, 3, s48
	s_mov_b32 s23, 0
	s_mov_b32 s24, s41
	v_mov_b32_e32 v8, v5
.LBB116_38:                             ;   Parent Loop BB116_9 Depth=1
                                        ;     Parent Loop BB116_36 Depth=2
                                        ; =>    This Inner Loop Header: Depth=3
	v_mov_b32_e32 v9, s24
	ds_read_b64 v[10:11], v8
	ds_read_b64 v[12:13], v7
	;; [unrolled: 1-line block ×3, first 2 shown]
	s_add_i32 s23, s23, 1
	s_add_i32 s24, s24, 8
	s_cmp_ge_i32 s23, s22
	s_waitcnt lgkmcnt(0)
	v_fma_f64 v[10:11], -v[12:13], v[26:27], v[10:11]
	ds_write_b64 v8, v[10:11]
	v_add_u32_e32 v8, s43, v8
	s_cbranch_scc0 .LBB116_38
	s_branch .LBB116_35
.LBB116_39:                             ;   in Loop: Header=BB116_9 Depth=1
	v_mov_b32_e32 v5, v4
	v_mov_b32_e32 v6, s42
	s_mov_b64 s[20:21], 0
	s_and_b64 vcc, exec, s[10:11]
	ds_write_b64 v6, v[4:5]
                                        ; implicit-def: $vgpr6_vgpr7
                                        ; implicit-def: $sgpr30_sgpr31
	s_cbranch_vccz .LBB116_41
; %bb.40:                               ;   in Loop: Header=BB116_9 Depth=1
	v_mov_b32_e32 v5, s48
	ds_read_b64 v[6:7], v5
	s_mov_b64 s[24:25], -1
	s_mov_b64 s[30:31], 1.0
.LBB116_41:                             ;   in Loop: Header=BB116_9 Depth=1
	s_mov_b64 s[22:23], 1.0
	s_and_b64 s[24:25], s[24:25], exec
                                        ; implicit-def: $vgpr10_vgpr11
	s_or_saveexec_b64 s[28:29], s[28:29]
	v_pk_mov_b32 v[8:9], s[30:31], s[30:31] op_sel:[0,1]
	s_xor_b64 exec, exec, s[28:29]
	s_cbranch_execz .LBB116_18
.LBB116_42:                             ;   in Loop: Header=BB116_9 Depth=1
	v_mov_b32_e32 v5, s48
	ds_read_b64 v[8:9], v5
	s_andn2_b64 s[24:25], s[24:25], exec
	s_and_b64 s[30:31], s[10:11], exec
	s_or_b64 s[24:25], s[24:25], s[30:31]
	s_waitcnt lgkmcnt(0)
	v_fmac_f64_e32 v[10:11], v[8:9], v[8:9]
	v_cmp_gt_f64_e32 vcc, s[14:15], v[10:11]
	v_cndmask_b32_e64 v5, 0, 1, vcc
	v_lshlrev_b32_e32 v5, 8, v5
	v_ldexp_f64 v[6:7], v[10:11], v5
	v_rsq_f64_e32 v[10:11], v[6:7]
	v_cndmask_b32_e32 v5, 0, v25, vcc
	v_cmp_class_f64_e32 vcc, v[6:7], v24
	v_mul_f64 v[12:13], v[6:7], v[10:11]
	v_mul_f64 v[10:11], v[10:11], 0.5
	v_fma_f64 v[26:27], -v[10:11], v[12:13], 0.5
	v_fmac_f64_e32 v[12:13], v[12:13], v[26:27]
	v_fmac_f64_e32 v[10:11], v[10:11], v[26:27]
	v_fma_f64 v[26:27], -v[12:13], v[12:13], v[6:7]
	v_fmac_f64_e32 v[12:13], v[26:27], v[10:11]
	v_fma_f64 v[26:27], -v[12:13], v[12:13], v[6:7]
	v_fmac_f64_e32 v[12:13], v[26:27], v[10:11]
	v_ldexp_f64 v[10:11], v[12:13], v5
	v_cndmask_b32_e32 v5, v11, v7, vcc
	v_cndmask_b32_e32 v6, v10, v6, vcc
	v_xor_b32_e32 v7, 0x80000000, v5
	v_cmp_le_f64_e32 vcc, 0, v[8:9]
	v_cndmask_b32_e32 v7, v5, v7, vcc
	v_add_f64 v[10:11], v[8:9], -v[6:7]
	v_div_scale_f64 v[12:13], s[26:27], v[10:11], v[10:11], 1.0
	v_rcp_f64_e32 v[26:27], v[12:13]
	v_div_scale_f64 v[28:29], vcc, 1.0, v[10:11], 1.0
	v_mov_b32_e32 v5, s42
	v_fma_f64 v[30:31], -v[12:13], v[26:27], 1.0
	v_fmac_f64_e32 v[26:27], v[26:27], v[30:31]
	v_fma_f64 v[30:31], -v[12:13], v[26:27], 1.0
	v_fmac_f64_e32 v[26:27], v[26:27], v[30:31]
	v_mul_f64 v[30:31], v[28:29], v[26:27]
	v_fma_f64 v[12:13], -v[12:13], v[30:31], v[28:29]
	v_add_f64 v[28:29], v[6:7], -v[8:9]
	v_div_scale_f64 v[32:33], s[26:27], v[6:7], v[6:7], v[28:29]
	v_rcp_f64_e32 v[34:35], v[32:33]
	v_div_fmas_f64 v[8:9], v[12:13], v[26:27], v[30:31]
	v_div_fixup_f64 v[8:9], v[8:9], v[10:11], 1.0
	s_and_b64 s[26:27], s[12:13], exec
	v_fma_f64 v[10:11], -v[32:33], v[34:35], 1.0
	v_fmac_f64_e32 v[34:35], v[34:35], v[10:11]
	v_fma_f64 v[10:11], -v[32:33], v[34:35], 1.0
	v_fmac_f64_e32 v[34:35], v[34:35], v[10:11]
	v_div_scale_f64 v[10:11], vcc, v[28:29], v[6:7], v[28:29]
	v_mul_f64 v[12:13], v[10:11], v[34:35]
	v_fma_f64 v[10:11], -v[32:33], v[12:13], v[10:11]
	s_nop 1
	v_div_fmas_f64 v[10:11], v[10:11], v[34:35], v[12:13]
	v_div_fixup_f64 v[10:11], v[10:11], v[6:7], v[28:29]
	ds_write_b64 v5, v[10:11]
	s_or_b64 exec, exec, s[28:29]
	s_and_saveexec_b64 s[28:29], s[24:25]
	s_cbranch_execnz .LBB116_19
	s_branch .LBB116_20
.LBB116_43:
	s_and_saveexec_b64 s[2:3], s[0:1]
	s_cbranch_execz .LBB116_49
; %bb.44:
	v_mad_u64_u32 v[0:1], s[0:1], s35, v3, v[2:3]
	v_mul_lo_u32 v1, s16, v3
	v_lshlrev_b32_e32 v1, 3, v1
	v_cmp_gt_i32_e32 vcc, s17, v3
	s_lshl_b32 s10, s35, 1
	v_add3_u32 v1, v1, v14, 0
	s_lshl_b32 s11, s16, 4
	s_mov_b64 s[4:5], 0
	s_branch .LBB116_46
.LBB116_45:                             ;   in Loop: Header=BB116_46 Depth=1
	s_or_b64 exec, exec, s[6:7]
	v_add_u32_e32 v2, 0x80, v2
	v_cmp_le_i32_e64 s[0:1], s16, v2
	v_add_u32_e32 v0, 0x80, v0
	s_or_b64 s[4:5], s[0:1], s[4:5]
	v_add_u32_e32 v1, 0x400, v1
	s_andn2_b64 exec, exec, s[4:5]
	s_cbranch_execz .LBB116_49
.LBB116_46:                             ; =>This Loop Header: Depth=1
                                        ;     Child Loop BB116_48 Depth 2
	s_and_saveexec_b64 s[6:7], vcc
	s_cbranch_execz .LBB116_45
; %bb.47:                               ;   in Loop: Header=BB116_46 Depth=1
	s_mov_b64 s[8:9], 0
	v_mov_b32_e32 v6, v1
	v_mov_b32_e32 v4, v0
	v_mov_b32_e32 v7, v3
.LBB116_48:                             ;   Parent Loop BB116_46 Depth=1
                                        ; =>  This Inner Loop Header: Depth=2
	ds_read_b64 v[8:9], v6
	v_ashrrev_i32_e32 v5, 31, v4
	v_add_u32_e32 v7, 2, v7
	v_lshlrev_b64 v[10:11], 3, v[4:5]
	v_mov_b32_e32 v12, s34
	v_cmp_le_i32_e64 s[0:1], s17, v7
	v_add_co_u32_e64 v10, s[2:3], s33, v10
	v_add_u32_e32 v6, s11, v6
	v_add_u32_e32 v4, s10, v4
	v_addc_co_u32_e64 v11, s[2:3], v12, v11, s[2:3]
	s_or_b64 s[8:9], s[0:1], s[8:9]
	s_waitcnt lgkmcnt(0)
	global_store_dwordx2 v[10:11], v[8:9], off
	s_andn2_b64 exec, exec, s[8:9]
	s_cbranch_execnz .LBB116_48
	s_branch .LBB116_45
.LBB116_49:
	s_endpgm
	.section	.rodata,"a",@progbits
	.p2align	6, 0x0
	.amdhsa_kernel _ZN9rocsolver6v33100L18geqr2_kernel_smallILi256EdidPdEEvT1_S3_T3_lS3_lPT2_lPT0_l
		.amdhsa_group_segment_fixed_size 0
		.amdhsa_private_segment_fixed_size 0
		.amdhsa_kernarg_size 72
		.amdhsa_user_sgpr_count 6
		.amdhsa_user_sgpr_private_segment_buffer 1
		.amdhsa_user_sgpr_dispatch_ptr 0
		.amdhsa_user_sgpr_queue_ptr 0
		.amdhsa_user_sgpr_kernarg_segment_ptr 1
		.amdhsa_user_sgpr_dispatch_id 0
		.amdhsa_user_sgpr_flat_scratch_init 0
		.amdhsa_user_sgpr_kernarg_preload_length 0
		.amdhsa_user_sgpr_kernarg_preload_offset 0
		.amdhsa_user_sgpr_private_segment_size 0
		.amdhsa_uses_dynamic_stack 0
		.amdhsa_system_sgpr_private_segment_wavefront_offset 0
		.amdhsa_system_sgpr_workgroup_id_x 1
		.amdhsa_system_sgpr_workgroup_id_y 0
		.amdhsa_system_sgpr_workgroup_id_z 1
		.amdhsa_system_sgpr_workgroup_info 0
		.amdhsa_system_vgpr_workitem_id 0
		.amdhsa_next_free_vgpr 36
		.amdhsa_next_free_sgpr 50
		.amdhsa_accum_offset 36
		.amdhsa_reserve_vcc 1
		.amdhsa_reserve_flat_scratch 0
		.amdhsa_float_round_mode_32 0
		.amdhsa_float_round_mode_16_64 0
		.amdhsa_float_denorm_mode_32 3
		.amdhsa_float_denorm_mode_16_64 3
		.amdhsa_dx10_clamp 1
		.amdhsa_ieee_mode 1
		.amdhsa_fp16_overflow 0
		.amdhsa_tg_split 0
		.amdhsa_exception_fp_ieee_invalid_op 0
		.amdhsa_exception_fp_denorm_src 0
		.amdhsa_exception_fp_ieee_div_zero 0
		.amdhsa_exception_fp_ieee_overflow 0
		.amdhsa_exception_fp_ieee_underflow 0
		.amdhsa_exception_fp_ieee_inexact 0
		.amdhsa_exception_int_div_zero 0
	.end_amdhsa_kernel
	.section	.text._ZN9rocsolver6v33100L18geqr2_kernel_smallILi256EdidPdEEvT1_S3_T3_lS3_lPT2_lPT0_l,"axG",@progbits,_ZN9rocsolver6v33100L18geqr2_kernel_smallILi256EdidPdEEvT1_S3_T3_lS3_lPT2_lPT0_l,comdat
.Lfunc_end116:
	.size	_ZN9rocsolver6v33100L18geqr2_kernel_smallILi256EdidPdEEvT1_S3_T3_lS3_lPT2_lPT0_l, .Lfunc_end116-_ZN9rocsolver6v33100L18geqr2_kernel_smallILi256EdidPdEEvT1_S3_T3_lS3_lPT2_lPT0_l
                                        ; -- End function
	.section	.AMDGPU.csdata,"",@progbits
; Kernel info:
; codeLenInByte = 2540
; NumSgprs: 54
; NumVgprs: 36
; NumAgprs: 0
; TotalNumVgprs: 36
; ScratchSize: 0
; MemoryBound: 0
; FloatMode: 240
; IeeeMode: 1
; LDSByteSize: 0 bytes/workgroup (compile time only)
; SGPRBlocks: 6
; VGPRBlocks: 4
; NumSGPRsForWavesPerEU: 54
; NumVGPRsForWavesPerEU: 36
; AccumOffset: 36
; Occupancy: 8
; WaveLimiterHint : 0
; COMPUTE_PGM_RSRC2:SCRATCH_EN: 0
; COMPUTE_PGM_RSRC2:USER_SGPR: 6
; COMPUTE_PGM_RSRC2:TRAP_HANDLER: 0
; COMPUTE_PGM_RSRC2:TGID_X_EN: 1
; COMPUTE_PGM_RSRC2:TGID_Y_EN: 0
; COMPUTE_PGM_RSRC2:TGID_Z_EN: 1
; COMPUTE_PGM_RSRC2:TIDIG_COMP_CNT: 0
; COMPUTE_PGM_RSRC3_GFX90A:ACCUM_OFFSET: 8
; COMPUTE_PGM_RSRC3_GFX90A:TG_SPLIT: 0
	.section	.text._ZN9rocsolver6v33100L16gesdd_flip_signsIddEEviPT0_lPT_ilS5_ili,"axG",@progbits,_ZN9rocsolver6v33100L16gesdd_flip_signsIddEEviPT0_lPT_ilS5_ili,comdat
	.globl	_ZN9rocsolver6v33100L16gesdd_flip_signsIddEEviPT0_lPT_ilS5_ili ; -- Begin function _ZN9rocsolver6v33100L16gesdd_flip_signsIddEEviPT0_lPT_ilS5_ili
	.p2align	8
	.type	_ZN9rocsolver6v33100L16gesdd_flip_signsIddEEviPT0_lPT_ilS5_ili,@function
_ZN9rocsolver6v33100L16gesdd_flip_signsIddEEviPT0_lPT_ilS5_ili: ; @_ZN9rocsolver6v33100L16gesdd_flip_signsIddEEviPT0_lPT_ilS5_ili
; %bb.0:
	s_load_dword s33, s[4:5], 0x48
	s_waitcnt lgkmcnt(0)
	s_cmp_ge_i32 s7, s33
	s_cbranch_scc1 .LBB117_13
; %bb.1:
	s_load_dword s36, s[4:5], 0x0
	s_load_dwordx4 s[8:11], s[4:5], 0x8
	s_load_dwordx2 s[16:17], s[4:5], 0x40
	s_load_dwordx2 s[18:19], s[4:5], 0x50
	s_load_dword s0, s[4:5], 0x5c
	s_load_dwordx2 s[20:21], s[4:5], 0x18
	s_load_dword s22, s[4:5], 0x20
	s_load_dwordx4 s[12:15], s[4:5], 0x28
	s_load_dword s37, s[4:5], 0x38
	s_waitcnt lgkmcnt(0)
	s_and_b32 s4, s0, 0xffff
	s_cmp_gt_i32 s36, 0
	s_mul_i32 s6, s6, s4
	s_cselect_b64 s[2:3], -1, 0
	v_add_u32_e32 v4, s6, v0
	v_cndmask_b32_e64 v0, 0, 1, s[2:3]
	v_cmp_gt_i32_e64 s[0:1], s36, v4
	s_add_i32 s6, s22, 1
	s_mul_i32 s18, s18, s4
	s_lshl_b64 s[10:11], s[10:11], 3
	v_cmp_ne_u32_e64 s[2:3], 1, v0
	v_mov_b32_e32 v5, 0
	s_branch .LBB117_3
.LBB117_2:                              ;   in Loop: Header=BB117_3 Depth=1
	s_or_b64 exec, exec, s[22:23]
	s_add_i32 s7, s7, s19
	s_cmp_lt_i32 s7, s33
	s_cbranch_scc0 .LBB117_13
.LBB117_3:                              ; =>This Loop Header: Depth=1
                                        ;     Child Loop BB117_6 Depth 2
                                        ;       Child Loop BB117_9 Depth 3
	s_and_saveexec_b64 s[22:23], s[0:1]
	s_cbranch_execz .LBB117_2
; %bb.4:                                ;   in Loop: Header=BB117_3 Depth=1
	s_ashr_i32 s26, s7, 31
	s_mul_hi_u32 s4, s10, s7
	s_mul_i32 s5, s10, s26
	s_add_i32 s4, s4, s5
	s_mul_i32 s5, s11, s7
	s_add_i32 s4, s4, s5
	s_mul_i32 s5, s10, s7
	s_add_u32 s24, s8, s5
	s_addc_u32 s25, s9, s4
	s_mul_i32 s4, s7, s13
	s_mul_hi_u32 s5, s7, s12
	s_add_i32 s4, s5, s4
	s_mul_i32 s5, s26, s12
	s_add_i32 s5, s4, s5
	s_mul_i32 s4, s7, s12
	s_lshl_b64 s[4:5], s[4:5], 3
	s_add_u32 s38, s20, s4
	s_addc_u32 s39, s21, s5
	s_mul_i32 s4, s7, s17
	s_mul_hi_u32 s5, s7, s16
	s_add_i32 s4, s5, s4
	s_mul_i32 s26, s26, s16
	s_add_i32 s5, s4, s26
	s_mul_i32 s4, s7, s16
	s_lshl_b64 s[4:5], s[4:5], 3
	s_add_u32 s40, s14, s4
	s_addc_u32 s41, s15, s5
	s_mov_b64 s[26:27], 0
	v_mov_b32_e32 v6, v4
	s_branch .LBB117_6
.LBB117_5:                              ;   in Loop: Header=BB117_6 Depth=2
	v_add_u32_e32 v6, s18, v6
	v_cmp_le_i32_e32 vcc, s36, v6
	s_or_b64 s[26:27], vcc, s[26:27]
	s_andn2_b64 exec, exec, s[26:27]
	s_cbranch_execz .LBB117_2
.LBB117_6:                              ;   Parent Loop BB117_3 Depth=1
                                        ; =>  This Loop Header: Depth=2
                                        ;       Child Loop BB117_9 Depth 3
	s_and_b64 vcc, exec, s[2:3]
	s_cbranch_vccnz .LBB117_5
; %bb.7:                                ;   in Loop: Header=BB117_6 Depth=2
	s_mov_b32 s28, 0
	v_cmp_eq_u32_e64 s[4:5], 0, v6
	s_mov_b64 s[30:31], s[24:25]
	v_mov_b32_e32 v0, v6
	s_mov_b32 s42, s36
	s_branch .LBB117_9
.LBB117_8:                              ;   in Loop: Header=BB117_9 Depth=3
	s_or_b64 exec, exec, s[34:35]
	s_add_i32 s42, s42, -1
	s_add_i32 s28, s28, s6
	s_add_u32 s30, s30, 8
	s_addc_u32 s31, s31, 0
	s_cmp_lg_u32 s42, 0
	v_add_u32_e32 v0, s37, v0
	s_cbranch_scc0 .LBB117_5
.LBB117_9:                              ;   Parent Loop BB117_3 Depth=1
                                        ;     Parent Loop BB117_6 Depth=2
                                        ; =>    This Inner Loop Header: Depth=3
	s_ashr_i32 s29, s28, 31
	s_lshl_b64 s[34:35], s[28:29], 3
	s_add_u32 s34, s38, s34
	s_addc_u32 s35, s39, s35
	global_load_dwordx2 v[2:3], v5, s[34:35]
	s_waitcnt vmcnt(0)
	v_cmp_ngt_f64_e32 vcc, 0, v[2:3]
	s_cbranch_vccnz .LBB117_11
; %bb.10:                               ;   in Loop: Header=BB117_9 Depth=3
	v_ashrrev_i32_e32 v1, 31, v0
	v_lshlrev_b64 v[8:9], 3, v[0:1]
	v_mov_b32_e32 v1, s41
	v_add_co_u32_e32 v8, vcc, s40, v8
	v_addc_co_u32_e32 v9, vcc, v1, v9, vcc
	global_load_dwordx2 v[10:11], v[8:9], off
	s_waitcnt vmcnt(0)
	v_xor_b32_e32 v11, 0x80000000, v11
	global_store_dwordx2 v[8:9], v[10:11], off
.LBB117_11:                             ;   in Loop: Header=BB117_9 Depth=3
	s_and_saveexec_b64 s[34:35], s[4:5]
	s_cbranch_execz .LBB117_8
; %bb.12:                               ;   in Loop: Header=BB117_9 Depth=3
	v_and_b32_e32 v3, 0x7fffffff, v3
	global_store_dwordx2 v5, v[2:3], s[30:31]
	s_branch .LBB117_8
.LBB117_13:
	s_endpgm
	.section	.rodata,"a",@progbits
	.p2align	6, 0x0
	.amdhsa_kernel _ZN9rocsolver6v33100L16gesdd_flip_signsIddEEviPT0_lPT_ilS5_ili
		.amdhsa_group_segment_fixed_size 0
		.amdhsa_private_segment_fixed_size 0
		.amdhsa_kernarg_size 336
		.amdhsa_user_sgpr_count 6
		.amdhsa_user_sgpr_private_segment_buffer 1
		.amdhsa_user_sgpr_dispatch_ptr 0
		.amdhsa_user_sgpr_queue_ptr 0
		.amdhsa_user_sgpr_kernarg_segment_ptr 1
		.amdhsa_user_sgpr_dispatch_id 0
		.amdhsa_user_sgpr_flat_scratch_init 0
		.amdhsa_user_sgpr_kernarg_preload_length 0
		.amdhsa_user_sgpr_kernarg_preload_offset 0
		.amdhsa_user_sgpr_private_segment_size 0
		.amdhsa_uses_dynamic_stack 0
		.amdhsa_system_sgpr_private_segment_wavefront_offset 0
		.amdhsa_system_sgpr_workgroup_id_x 1
		.amdhsa_system_sgpr_workgroup_id_y 1
		.amdhsa_system_sgpr_workgroup_id_z 0
		.amdhsa_system_sgpr_workgroup_info 0
		.amdhsa_system_vgpr_workitem_id 0
		.amdhsa_next_free_vgpr 12
		.amdhsa_next_free_sgpr 43
		.amdhsa_accum_offset 12
		.amdhsa_reserve_vcc 1
		.amdhsa_reserve_flat_scratch 0
		.amdhsa_float_round_mode_32 0
		.amdhsa_float_round_mode_16_64 0
		.amdhsa_float_denorm_mode_32 3
		.amdhsa_float_denorm_mode_16_64 3
		.amdhsa_dx10_clamp 1
		.amdhsa_ieee_mode 1
		.amdhsa_fp16_overflow 0
		.amdhsa_tg_split 0
		.amdhsa_exception_fp_ieee_invalid_op 0
		.amdhsa_exception_fp_denorm_src 0
		.amdhsa_exception_fp_ieee_div_zero 0
		.amdhsa_exception_fp_ieee_overflow 0
		.amdhsa_exception_fp_ieee_underflow 0
		.amdhsa_exception_fp_ieee_inexact 0
		.amdhsa_exception_int_div_zero 0
	.end_amdhsa_kernel
	.section	.text._ZN9rocsolver6v33100L16gesdd_flip_signsIddEEviPT0_lPT_ilS5_ili,"axG",@progbits,_ZN9rocsolver6v33100L16gesdd_flip_signsIddEEviPT0_lPT_ilS5_ili,comdat
.Lfunc_end117:
	.size	_ZN9rocsolver6v33100L16gesdd_flip_signsIddEEviPT0_lPT_ilS5_ili, .Lfunc_end117-_ZN9rocsolver6v33100L16gesdd_flip_signsIddEEviPT0_lPT_ilS5_ili
                                        ; -- End function
	.section	.AMDGPU.csdata,"",@progbits
; Kernel info:
; codeLenInByte = 516
; NumSgprs: 47
; NumVgprs: 12
; NumAgprs: 0
; TotalNumVgprs: 12
; ScratchSize: 0
; MemoryBound: 0
; FloatMode: 240
; IeeeMode: 1
; LDSByteSize: 0 bytes/workgroup (compile time only)
; SGPRBlocks: 5
; VGPRBlocks: 1
; NumSGPRsForWavesPerEU: 47
; NumVGPRsForWavesPerEU: 12
; AccumOffset: 12
; Occupancy: 8
; WaveLimiterHint : 0
; COMPUTE_PGM_RSRC2:SCRATCH_EN: 0
; COMPUTE_PGM_RSRC2:USER_SGPR: 6
; COMPUTE_PGM_RSRC2:TRAP_HANDLER: 0
; COMPUTE_PGM_RSRC2:TGID_X_EN: 1
; COMPUTE_PGM_RSRC2:TGID_Y_EN: 1
; COMPUTE_PGM_RSRC2:TGID_Z_EN: 0
; COMPUTE_PGM_RSRC2:TIDIG_COMP_CNT: 0
; COMPUTE_PGM_RSRC3_GFX90A:ACCUM_OFFSET: 2
; COMPUTE_PGM_RSRC3_GFX90A:TG_SPLIT: 0
	.section	.text._ZN9rocsolver6v33100L16org2r_init_identIdPdEEviiiT0_iil,"axG",@progbits,_ZN9rocsolver6v33100L16org2r_init_identIdPdEEviiiT0_iil,comdat
	.globl	_ZN9rocsolver6v33100L16org2r_init_identIdPdEEviiiT0_iil ; -- Begin function _ZN9rocsolver6v33100L16org2r_init_identIdPdEEviiiT0_iil
	.p2align	8
	.type	_ZN9rocsolver6v33100L16org2r_init_identIdPdEEviiiT0_iil,@function
_ZN9rocsolver6v33100L16org2r_init_identIdPdEEviiiT0_iil: ; @_ZN9rocsolver6v33100L16org2r_init_identIdPdEEviiiT0_iil
; %bb.0:
	s_load_dword s9, s[4:5], 0x34
	s_load_dwordx4 s[0:3], s[4:5], 0x0
	v_bfe_u32 v1, v0, 10, 10
	v_and_b32_e32 v0, 0x3ff, v0
	s_waitcnt lgkmcnt(0)
	s_lshr_b32 s3, s9, 16
	s_and_b32 s9, s9, 0xffff
	s_mul_i32 s7, s7, s3
	s_mul_i32 s6, s6, s9
	v_add_u32_e32 v2, s7, v1
	v_add_u32_e32 v6, s6, v0
	v_cmp_gt_u32_e32 vcc, s0, v6
	v_cmp_gt_u32_e64 s[0:1], s1, v2
	s_and_b64 s[0:1], vcc, s[0:1]
	s_and_saveexec_b64 s[6:7], s[0:1]
	s_cbranch_execz .LBB118_5
; %bb.1:
	s_load_dwordx2 s[0:1], s[4:5], 0x18
	v_cmp_ne_u32_e32 vcc, v6, v2
	s_mov_b64 s[10:11], 0
                                        ; implicit-def: $vgpr4_vgpr5
                                        ; implicit-def: $vgpr0
	s_and_saveexec_b64 s[6:7], vcc
	s_xor_b64 s[6:7], exec, s[6:7]
	s_cbranch_execnz .LBB118_6
; %bb.2:
	s_andn2_saveexec_b64 s[2:3], s[6:7]
	s_cbranch_execnz .LBB118_13
.LBB118_3:
	s_or_b64 exec, exec, s[2:3]
	s_and_b64 exec, exec, s[10:11]
	s_cbranch_execz .LBB118_5
.LBB118_4:
	s_load_dwordx2 s[2:3], s[4:5], 0x20
	s_load_dwordx2 s[6:7], s[4:5], 0x10
	s_waitcnt lgkmcnt(0)
	s_ashr_i32 s1, s0, 31
	v_mov_b32_e32 v1, 0
	v_lshlrev_b64 v[0:1], 3, v[0:1]
	s_mul_i32 s3, s8, s3
	s_mul_hi_u32 s4, s8, s2
	s_mul_i32 s2, s8, s2
	s_add_i32 s3, s4, s3
	s_lshl_b64 s[2:3], s[2:3], 3
	s_add_u32 s2, s6, s2
	s_addc_u32 s3, s7, s3
	s_lshl_b64 s[0:1], s[0:1], 3
	s_add_u32 s0, s2, s0
	s_addc_u32 s1, s3, s1
	v_mov_b32_e32 v2, s1
	v_add_co_u32_e32 v0, vcc, s0, v0
	v_addc_co_u32_e32 v1, vcc, v2, v1, vcc
	global_store_dwordx2 v[0:1], v[4:5], off
.LBB118_5:
	s_endpgm
.LBB118_6:
	v_cmp_le_u32_e32 vcc, v2, v6
                                        ; implicit-def: $sgpr12_sgpr13
                                        ; implicit-def: $vgpr0
	s_and_saveexec_b64 s[14:15], vcc
	s_xor_b64 s[14:15], exec, s[14:15]
	s_cbranch_execz .LBB118_10
; %bb.7:
	v_cmp_le_u32_e32 vcc, s2, v2
	s_mov_b64 s[2:3], 0
                                        ; implicit-def: $sgpr12_sgpr13
                                        ; implicit-def: $vgpr0
	s_and_saveexec_b64 s[10:11], vcc
	s_xor_b64 s[10:11], exec, s[10:11]
	s_cbranch_execz .LBB118_9
; %bb.8:
	s_waitcnt lgkmcnt(0)
	v_mad_u64_u32 v[0:1], s[12:13], v2, s1, v[6:7]
	s_mov_b64 s[2:3], exec
	s_mov_b64 s[12:13], 0
.LBB118_9:
	s_or_b64 exec, exec, s[10:11]
	s_and_b64 s[10:11], s[2:3], exec
                                        ; implicit-def: $vgpr6
                                        ; implicit-def: $vgpr2
.LBB118_10:
	s_or_saveexec_b64 s[2:3], s[14:15]
	v_pk_mov_b32 v[4:5], s[12:13], s[12:13] op_sel:[0,1]
	s_xor_b64 exec, exec, s[2:3]
	s_cbranch_execz .LBB118_12
; %bb.11:
	s_waitcnt lgkmcnt(0)
	v_mad_u64_u32 v[0:1], s[12:13], v2, s1, v[6:7]
	v_pk_mov_b32 v[4:5], 0, 0
	s_or_b64 s[10:11], s[10:11], exec
.LBB118_12:
	s_or_b64 exec, exec, s[2:3]
	s_and_b64 s[10:11], s[10:11], exec
                                        ; implicit-def: $vgpr2
	s_andn2_saveexec_b64 s[2:3], s[6:7]
	s_cbranch_execz .LBB118_3
.LBB118_13:
	v_mov_b32_e32 v4, 0
	s_waitcnt lgkmcnt(0)
	v_mad_u64_u32 v[0:1], s[6:7], v2, s1, v[2:3]
	v_mov_b32_e32 v5, 0x3ff00000
	s_or_b64 s[10:11], s[10:11], exec
	s_or_b64 exec, exec, s[2:3]
	s_and_b64 exec, exec, s[10:11]
	s_cbranch_execnz .LBB118_4
	s_branch .LBB118_5
	.section	.rodata,"a",@progbits
	.p2align	6, 0x0
	.amdhsa_kernel _ZN9rocsolver6v33100L16org2r_init_identIdPdEEviiiT0_iil
		.amdhsa_group_segment_fixed_size 0
		.amdhsa_private_segment_fixed_size 0
		.amdhsa_kernarg_size 296
		.amdhsa_user_sgpr_count 6
		.amdhsa_user_sgpr_private_segment_buffer 1
		.amdhsa_user_sgpr_dispatch_ptr 0
		.amdhsa_user_sgpr_queue_ptr 0
		.amdhsa_user_sgpr_kernarg_segment_ptr 1
		.amdhsa_user_sgpr_dispatch_id 0
		.amdhsa_user_sgpr_flat_scratch_init 0
		.amdhsa_user_sgpr_kernarg_preload_length 0
		.amdhsa_user_sgpr_kernarg_preload_offset 0
		.amdhsa_user_sgpr_private_segment_size 0
		.amdhsa_uses_dynamic_stack 0
		.amdhsa_system_sgpr_private_segment_wavefront_offset 0
		.amdhsa_system_sgpr_workgroup_id_x 1
		.amdhsa_system_sgpr_workgroup_id_y 1
		.amdhsa_system_sgpr_workgroup_id_z 1
		.amdhsa_system_sgpr_workgroup_info 0
		.amdhsa_system_vgpr_workitem_id 1
		.amdhsa_next_free_vgpr 8
		.amdhsa_next_free_sgpr 16
		.amdhsa_accum_offset 8
		.amdhsa_reserve_vcc 1
		.amdhsa_reserve_flat_scratch 0
		.amdhsa_float_round_mode_32 0
		.amdhsa_float_round_mode_16_64 0
		.amdhsa_float_denorm_mode_32 3
		.amdhsa_float_denorm_mode_16_64 3
		.amdhsa_dx10_clamp 1
		.amdhsa_ieee_mode 1
		.amdhsa_fp16_overflow 0
		.amdhsa_tg_split 0
		.amdhsa_exception_fp_ieee_invalid_op 0
		.amdhsa_exception_fp_denorm_src 0
		.amdhsa_exception_fp_ieee_div_zero 0
		.amdhsa_exception_fp_ieee_overflow 0
		.amdhsa_exception_fp_ieee_underflow 0
		.amdhsa_exception_fp_ieee_inexact 0
		.amdhsa_exception_int_div_zero 0
	.end_amdhsa_kernel
	.section	.text._ZN9rocsolver6v33100L16org2r_init_identIdPdEEviiiT0_iil,"axG",@progbits,_ZN9rocsolver6v33100L16org2r_init_identIdPdEEviiiT0_iil,comdat
.Lfunc_end118:
	.size	_ZN9rocsolver6v33100L16org2r_init_identIdPdEEviiiT0_iil, .Lfunc_end118-_ZN9rocsolver6v33100L16org2r_init_identIdPdEEviiiT0_iil
                                        ; -- End function
	.section	.AMDGPU.csdata,"",@progbits
; Kernel info:
; codeLenInByte = 404
; NumSgprs: 20
; NumVgprs: 8
; NumAgprs: 0
; TotalNumVgprs: 8
; ScratchSize: 0
; MemoryBound: 0
; FloatMode: 240
; IeeeMode: 1
; LDSByteSize: 0 bytes/workgroup (compile time only)
; SGPRBlocks: 2
; VGPRBlocks: 0
; NumSGPRsForWavesPerEU: 20
; NumVGPRsForWavesPerEU: 8
; AccumOffset: 8
; Occupancy: 8
; WaveLimiterHint : 0
; COMPUTE_PGM_RSRC2:SCRATCH_EN: 0
; COMPUTE_PGM_RSRC2:USER_SGPR: 6
; COMPUTE_PGM_RSRC2:TRAP_HANDLER: 0
; COMPUTE_PGM_RSRC2:TGID_X_EN: 1
; COMPUTE_PGM_RSRC2:TGID_Y_EN: 1
; COMPUTE_PGM_RSRC2:TGID_Z_EN: 1
; COMPUTE_PGM_RSRC2:TIDIG_COMP_CNT: 1
; COMPUTE_PGM_RSRC3_GFX90A:ACCUM_OFFSET: 1
; COMPUTE_PGM_RSRC3_GFX90A:TG_SPLIT: 0
	.section	.text._ZN9rocsolver6v33100L12subtract_tauIdPdEEviiT0_iilPT_l,"axG",@progbits,_ZN9rocsolver6v33100L12subtract_tauIdPdEEviiT0_iilPT_l,comdat
	.globl	_ZN9rocsolver6v33100L12subtract_tauIdPdEEviiT0_iilPT_l ; -- Begin function _ZN9rocsolver6v33100L12subtract_tauIdPdEEviiT0_iilPT_l
	.p2align	8
	.type	_ZN9rocsolver6v33100L12subtract_tauIdPdEEviiT0_iilPT_l,@function
_ZN9rocsolver6v33100L12subtract_tauIdPdEEviiT0_iilPT_l: ; @_ZN9rocsolver6v33100L12subtract_tauIdPdEEviiT0_iilPT_l
; %bb.0:
	s_load_dwordx2 s[12:13], s[4:5], 0x10
	s_load_dwordx4 s[0:3], s[4:5], 0x18
	s_load_dwordx4 s[8:11], s[4:5], 0x0
	s_load_dwordx2 s[14:15], s[4:5], 0x28
	v_mov_b32_e32 v2, 0
	s_waitcnt lgkmcnt(0)
	s_ashr_i32 s5, s12, 31
	s_mul_i32 s1, s6, s1
	s_mul_hi_u32 s7, s6, s0
	s_add_i32 s1, s7, s1
	s_mul_i32 s0, s6, s0
	s_lshl_b64 s[0:1], s[0:1], 3
	s_mov_b32 s4, s12
	s_add_u32 s7, s10, s0
	s_addc_u32 s10, s11, s1
	s_lshl_b64 s[0:1], s[4:5], 3
	s_add_u32 s4, s7, s0
	s_addc_u32 s5, s10, s1
	s_mul_i32 s0, s6, s15
	s_mul_hi_u32 s1, s6, s14
	s_add_i32 s1, s1, s0
	s_mul_i32 s0, s6, s14
	s_lshl_b64 s[0:1], s[0:1], 3
	s_add_u32 s0, s2, s0
	s_addc_u32 s1, s3, s1
	s_load_dwordx2 s[2:3], s[0:1], 0x0
	s_waitcnt lgkmcnt(0)
	s_xor_b32 s6, s3, 0x80000000
	v_mov_b32_e32 v0, s2
	v_mov_b32_e32 v1, s6
	global_store_dwordx2 v2, v[0:1], s[0:1]
	s_mul_i32 s0, s13, s9
	s_add_i32 s0, s0, s8
	s_ashr_i32 s1, s0, 31
	s_lshl_b64 s[0:1], s[0:1], 3
	s_add_u32 s0, s4, s0
	v_add_f64 v[0:1], -s[2:3], 1.0
	s_addc_u32 s1, s5, s1
	global_store_dwordx2 v2, v[0:1], s[0:1]
	s_endpgm
	.section	.rodata,"a",@progbits
	.p2align	6, 0x0
	.amdhsa_kernel _ZN9rocsolver6v33100L12subtract_tauIdPdEEviiT0_iilPT_l
		.amdhsa_group_segment_fixed_size 0
		.amdhsa_private_segment_fixed_size 0
		.amdhsa_kernarg_size 48
		.amdhsa_user_sgpr_count 6
		.amdhsa_user_sgpr_private_segment_buffer 1
		.amdhsa_user_sgpr_dispatch_ptr 0
		.amdhsa_user_sgpr_queue_ptr 0
		.amdhsa_user_sgpr_kernarg_segment_ptr 1
		.amdhsa_user_sgpr_dispatch_id 0
		.amdhsa_user_sgpr_flat_scratch_init 0
		.amdhsa_user_sgpr_kernarg_preload_length 0
		.amdhsa_user_sgpr_kernarg_preload_offset 0
		.amdhsa_user_sgpr_private_segment_size 0
		.amdhsa_uses_dynamic_stack 0
		.amdhsa_system_sgpr_private_segment_wavefront_offset 0
		.amdhsa_system_sgpr_workgroup_id_x 1
		.amdhsa_system_sgpr_workgroup_id_y 0
		.amdhsa_system_sgpr_workgroup_id_z 0
		.amdhsa_system_sgpr_workgroup_info 0
		.amdhsa_system_vgpr_workitem_id 0
		.amdhsa_next_free_vgpr 3
		.amdhsa_next_free_sgpr 16
		.amdhsa_accum_offset 4
		.amdhsa_reserve_vcc 0
		.amdhsa_reserve_flat_scratch 0
		.amdhsa_float_round_mode_32 0
		.amdhsa_float_round_mode_16_64 0
		.amdhsa_float_denorm_mode_32 3
		.amdhsa_float_denorm_mode_16_64 3
		.amdhsa_dx10_clamp 1
		.amdhsa_ieee_mode 1
		.amdhsa_fp16_overflow 0
		.amdhsa_tg_split 0
		.amdhsa_exception_fp_ieee_invalid_op 0
		.amdhsa_exception_fp_denorm_src 0
		.amdhsa_exception_fp_ieee_div_zero 0
		.amdhsa_exception_fp_ieee_overflow 0
		.amdhsa_exception_fp_ieee_underflow 0
		.amdhsa_exception_fp_ieee_inexact 0
		.amdhsa_exception_int_div_zero 0
	.end_amdhsa_kernel
	.section	.text._ZN9rocsolver6v33100L12subtract_tauIdPdEEviiT0_iilPT_l,"axG",@progbits,_ZN9rocsolver6v33100L12subtract_tauIdPdEEviiT0_iilPT_l,comdat
.Lfunc_end119:
	.size	_ZN9rocsolver6v33100L12subtract_tauIdPdEEviiT0_iilPT_l, .Lfunc_end119-_ZN9rocsolver6v33100L12subtract_tauIdPdEEviiT0_iilPT_l
                                        ; -- End function
	.section	.AMDGPU.csdata,"",@progbits
; Kernel info:
; codeLenInByte = 196
; NumSgprs: 20
; NumVgprs: 3
; NumAgprs: 0
; TotalNumVgprs: 3
; ScratchSize: 0
; MemoryBound: 0
; FloatMode: 240
; IeeeMode: 1
; LDSByteSize: 0 bytes/workgroup (compile time only)
; SGPRBlocks: 2
; VGPRBlocks: 0
; NumSGPRsForWavesPerEU: 20
; NumVGPRsForWavesPerEU: 3
; AccumOffset: 4
; Occupancy: 8
; WaveLimiterHint : 0
; COMPUTE_PGM_RSRC2:SCRATCH_EN: 0
; COMPUTE_PGM_RSRC2:USER_SGPR: 6
; COMPUTE_PGM_RSRC2:TRAP_HANDLER: 0
; COMPUTE_PGM_RSRC2:TGID_X_EN: 1
; COMPUTE_PGM_RSRC2:TGID_Y_EN: 0
; COMPUTE_PGM_RSRC2:TGID_Z_EN: 0
; COMPUTE_PGM_RSRC2:TIDIG_COMP_CNT: 0
; COMPUTE_PGM_RSRC3_GFX90A:ACCUM_OFFSET: 0
; COMPUTE_PGM_RSRC3_GFX90A:TG_SPLIT: 0
	.section	.text._ZN9rocsolver6v33100L6restauIdEEviPT_l,"axG",@progbits,_ZN9rocsolver6v33100L6restauIdEEviPT_l,comdat
	.globl	_ZN9rocsolver6v33100L6restauIdEEviPT_l ; -- Begin function _ZN9rocsolver6v33100L6restauIdEEviPT_l
	.p2align	8
	.type	_ZN9rocsolver6v33100L6restauIdEEviPT_l,@function
_ZN9rocsolver6v33100L6restauIdEEviPT_l: ; @_ZN9rocsolver6v33100L6restauIdEEviPT_l
; %bb.0:
	s_load_dword s0, s[4:5], 0x24
	s_load_dword s1, s[4:5], 0x0
	s_waitcnt lgkmcnt(0)
	s_and_b32 s0, s0, 0xffff
	s_mul_i32 s6, s6, s0
	v_add_u32_e32 v0, s6, v0
	v_cmp_gt_u32_e32 vcc, s1, v0
	s_and_saveexec_b64 s[0:1], vcc
	s_cbranch_execz .LBB120_2
; %bb.1:
	s_load_dwordx4 s[0:3], s[4:5], 0x8
	v_mov_b32_e32 v1, 0
	v_lshlrev_b64 v[0:1], 3, v[0:1]
	s_waitcnt lgkmcnt(0)
	s_mul_i32 s3, s7, s3
	s_mul_hi_u32 s4, s7, s2
	s_mul_i32 s2, s7, s2
	s_add_i32 s3, s4, s3
	s_lshl_b64 s[2:3], s[2:3], 3
	s_add_u32 s0, s0, s2
	s_addc_u32 s1, s1, s3
	v_mov_b32_e32 v2, s1
	v_add_co_u32_e32 v0, vcc, s0, v0
	v_addc_co_u32_e32 v1, vcc, v2, v1, vcc
	global_load_dwordx2 v[2:3], v[0:1], off
	s_waitcnt vmcnt(0)
	v_xor_b32_e32 v3, 0x80000000, v3
	global_store_dwordx2 v[0:1], v[2:3], off
.LBB120_2:
	s_endpgm
	.section	.rodata,"a",@progbits
	.p2align	6, 0x0
	.amdhsa_kernel _ZN9rocsolver6v33100L6restauIdEEviPT_l
		.amdhsa_group_segment_fixed_size 0
		.amdhsa_private_segment_fixed_size 0
		.amdhsa_kernarg_size 280
		.amdhsa_user_sgpr_count 6
		.amdhsa_user_sgpr_private_segment_buffer 1
		.amdhsa_user_sgpr_dispatch_ptr 0
		.amdhsa_user_sgpr_queue_ptr 0
		.amdhsa_user_sgpr_kernarg_segment_ptr 1
		.amdhsa_user_sgpr_dispatch_id 0
		.amdhsa_user_sgpr_flat_scratch_init 0
		.amdhsa_user_sgpr_kernarg_preload_length 0
		.amdhsa_user_sgpr_kernarg_preload_offset 0
		.amdhsa_user_sgpr_private_segment_size 0
		.amdhsa_uses_dynamic_stack 0
		.amdhsa_system_sgpr_private_segment_wavefront_offset 0
		.amdhsa_system_sgpr_workgroup_id_x 1
		.amdhsa_system_sgpr_workgroup_id_y 1
		.amdhsa_system_sgpr_workgroup_id_z 0
		.amdhsa_system_sgpr_workgroup_info 0
		.amdhsa_system_vgpr_workitem_id 0
		.amdhsa_next_free_vgpr 4
		.amdhsa_next_free_sgpr 8
		.amdhsa_accum_offset 4
		.amdhsa_reserve_vcc 1
		.amdhsa_reserve_flat_scratch 0
		.amdhsa_float_round_mode_32 0
		.amdhsa_float_round_mode_16_64 0
		.amdhsa_float_denorm_mode_32 3
		.amdhsa_float_denorm_mode_16_64 3
		.amdhsa_dx10_clamp 1
		.amdhsa_ieee_mode 1
		.amdhsa_fp16_overflow 0
		.amdhsa_tg_split 0
		.amdhsa_exception_fp_ieee_invalid_op 0
		.amdhsa_exception_fp_denorm_src 0
		.amdhsa_exception_fp_ieee_div_zero 0
		.amdhsa_exception_fp_ieee_overflow 0
		.amdhsa_exception_fp_ieee_underflow 0
		.amdhsa_exception_fp_ieee_inexact 0
		.amdhsa_exception_int_div_zero 0
	.end_amdhsa_kernel
	.section	.text._ZN9rocsolver6v33100L6restauIdEEviPT_l,"axG",@progbits,_ZN9rocsolver6v33100L6restauIdEEviPT_l,comdat
.Lfunc_end120:
	.size	_ZN9rocsolver6v33100L6restauIdEEviPT_l, .Lfunc_end120-_ZN9rocsolver6v33100L6restauIdEEviPT_l
                                        ; -- End function
	.section	.AMDGPU.csdata,"",@progbits
; Kernel info:
; codeLenInByte = 144
; NumSgprs: 12
; NumVgprs: 4
; NumAgprs: 0
; TotalNumVgprs: 4
; ScratchSize: 0
; MemoryBound: 0
; FloatMode: 240
; IeeeMode: 1
; LDSByteSize: 0 bytes/workgroup (compile time only)
; SGPRBlocks: 1
; VGPRBlocks: 0
; NumSGPRsForWavesPerEU: 12
; NumVGPRsForWavesPerEU: 4
; AccumOffset: 4
; Occupancy: 8
; WaveLimiterHint : 0
; COMPUTE_PGM_RSRC2:SCRATCH_EN: 0
; COMPUTE_PGM_RSRC2:USER_SGPR: 6
; COMPUTE_PGM_RSRC2:TRAP_HANDLER: 0
; COMPUTE_PGM_RSRC2:TGID_X_EN: 1
; COMPUTE_PGM_RSRC2:TGID_Y_EN: 1
; COMPUTE_PGM_RSRC2:TGID_Z_EN: 0
; COMPUTE_PGM_RSRC2:TIDIG_COMP_CNT: 0
; COMPUTE_PGM_RSRC3_GFX90A:ACCUM_OFFSET: 0
; COMPUTE_PGM_RSRC3_GFX90A:TG_SPLIT: 0
	.section	.text._ZN9rocsolver6v33100L8set_zeroIdPdEEviiT0_iil13rocblas_fill_,"axG",@progbits,_ZN9rocsolver6v33100L8set_zeroIdPdEEviiT0_iil13rocblas_fill_,comdat
	.globl	_ZN9rocsolver6v33100L8set_zeroIdPdEEviiT0_iil13rocblas_fill_ ; -- Begin function _ZN9rocsolver6v33100L8set_zeroIdPdEEviiT0_iil13rocblas_fill_
	.p2align	8
	.type	_ZN9rocsolver6v33100L8set_zeroIdPdEEviiT0_iil13rocblas_fill_,@function
_ZN9rocsolver6v33100L8set_zeroIdPdEEviiT0_iil13rocblas_fill_: ; @_ZN9rocsolver6v33100L8set_zeroIdPdEEviiT0_iil13rocblas_fill_
; %bb.0:
	s_load_dword s2, s[4:5], 0x34
	s_load_dwordx2 s[0:1], s[4:5], 0x0
	v_and_b32_e32 v1, 0x3ff, v0
	v_bfe_u32 v0, v0, 10, 10
	s_waitcnt lgkmcnt(0)
	s_lshr_b32 s3, s2, 16
	s_and_b32 s2, s2, 0xffff
	s_mul_i32 s6, s6, s2
	s_mul_i32 s7, s7, s3
	v_add_u32_e32 v2, s6, v1
	v_add_u32_e32 v0, s7, v0
	v_cmp_gt_u32_e32 vcc, s0, v2
	v_cmp_gt_u32_e64 s[0:1], s1, v0
	s_and_b64 s[0:1], vcc, s[0:1]
	s_and_saveexec_b64 s[2:3], s[0:1]
	s_cbranch_execz .LBB121_12
; %bb.1:
	s_load_dword s6, s[4:5], 0x20
	s_waitcnt lgkmcnt(0)
	s_cmpk_lt_i32 s6, 0x7a
	s_cbranch_scc1 .LBB121_4
; %bb.2:
	s_cmpk_gt_i32 s6, 0x7a
	s_cbranch_scc0 .LBB121_5
; %bb.3:
	s_cmpk_eq_i32 s6, 0x7b
	s_cselect_b64 s[0:1], -1, 0
	s_cbranch_execz .LBB121_6
	s_branch .LBB121_7
.LBB121_4:
	s_mov_b64 s[0:1], 0
	s_cbranch_execnz .LBB121_8
	s_branch .LBB121_10
.LBB121_5:
	s_mov_b64 s[0:1], 0
.LBB121_6:
	v_cmp_gt_u32_e32 vcc, v0, v2
	s_andn2_b64 s[0:1], s[0:1], exec
	s_and_b64 s[2:3], vcc, exec
	s_or_b64 s[0:1], s[0:1], s[2:3]
.LBB121_7:
	s_branch .LBB121_10
.LBB121_8:
	s_cmpk_eq_i32 s6, 0x79
	s_cbranch_scc0 .LBB121_10
; %bb.9:
	v_cmp_gt_u32_e32 vcc, v2, v0
	s_andn2_b64 s[0:1], s[0:1], exec
	s_and_b64 s[2:3], vcc, exec
	s_or_b64 s[0:1], s[0:1], s[2:3]
.LBB121_10:
	s_and_b64 exec, exec, s[0:1]
	s_cbranch_execz .LBB121_12
; %bb.11:
	s_load_dwordx4 s[0:3], s[4:5], 0x8
	s_load_dwordx2 s[6:7], s[4:5], 0x18
	s_waitcnt lgkmcnt(0)
	s_ashr_i32 s5, s2, 31
	s_mov_b32 s4, s2
	s_mul_i32 s2, s8, s7
	s_mul_hi_u32 s7, s8, s6
	s_add_i32 s7, s7, s2
	s_mul_i32 s6, s8, s6
	s_lshl_b64 s[6:7], s[6:7], 3
	s_add_u32 s2, s0, s6
	s_addc_u32 s6, s1, s7
	s_lshl_b64 s[0:1], s[4:5], 3
	s_add_u32 s2, s2, s0
	s_addc_u32 s4, s6, s1
	v_mad_u64_u32 v[0:1], s[0:1], v0, s3, v[2:3]
	v_mov_b32_e32 v1, 0
	v_lshlrev_b64 v[2:3], 3, v[0:1]
	v_mov_b32_e32 v0, s4
	v_add_co_u32_e32 v2, vcc, s2, v2
	v_addc_co_u32_e32 v3, vcc, v0, v3, vcc
	v_mov_b32_e32 v0, v1
	global_store_dwordx2 v[2:3], v[0:1], off
.LBB121_12:
	s_endpgm
	.section	.rodata,"a",@progbits
	.p2align	6, 0x0
	.amdhsa_kernel _ZN9rocsolver6v33100L8set_zeroIdPdEEviiT0_iil13rocblas_fill_
		.amdhsa_group_segment_fixed_size 0
		.amdhsa_private_segment_fixed_size 0
		.amdhsa_kernarg_size 296
		.amdhsa_user_sgpr_count 6
		.amdhsa_user_sgpr_private_segment_buffer 1
		.amdhsa_user_sgpr_dispatch_ptr 0
		.amdhsa_user_sgpr_queue_ptr 0
		.amdhsa_user_sgpr_kernarg_segment_ptr 1
		.amdhsa_user_sgpr_dispatch_id 0
		.amdhsa_user_sgpr_flat_scratch_init 0
		.amdhsa_user_sgpr_kernarg_preload_length 0
		.amdhsa_user_sgpr_kernarg_preload_offset 0
		.amdhsa_user_sgpr_private_segment_size 0
		.amdhsa_uses_dynamic_stack 0
		.amdhsa_system_sgpr_private_segment_wavefront_offset 0
		.amdhsa_system_sgpr_workgroup_id_x 1
		.amdhsa_system_sgpr_workgroup_id_y 1
		.amdhsa_system_sgpr_workgroup_id_z 1
		.amdhsa_system_sgpr_workgroup_info 0
		.amdhsa_system_vgpr_workitem_id 1
		.amdhsa_next_free_vgpr 4
		.amdhsa_next_free_sgpr 9
		.amdhsa_accum_offset 4
		.amdhsa_reserve_vcc 1
		.amdhsa_reserve_flat_scratch 0
		.amdhsa_float_round_mode_32 0
		.amdhsa_float_round_mode_16_64 0
		.amdhsa_float_denorm_mode_32 3
		.amdhsa_float_denorm_mode_16_64 3
		.amdhsa_dx10_clamp 1
		.amdhsa_ieee_mode 1
		.amdhsa_fp16_overflow 0
		.amdhsa_tg_split 0
		.amdhsa_exception_fp_ieee_invalid_op 0
		.amdhsa_exception_fp_denorm_src 0
		.amdhsa_exception_fp_ieee_div_zero 0
		.amdhsa_exception_fp_ieee_overflow 0
		.amdhsa_exception_fp_ieee_underflow 0
		.amdhsa_exception_fp_ieee_inexact 0
		.amdhsa_exception_int_div_zero 0
	.end_amdhsa_kernel
	.section	.text._ZN9rocsolver6v33100L8set_zeroIdPdEEviiT0_iil13rocblas_fill_,"axG",@progbits,_ZN9rocsolver6v33100L8set_zeroIdPdEEviiT0_iil13rocblas_fill_,comdat
.Lfunc_end121:
	.size	_ZN9rocsolver6v33100L8set_zeroIdPdEEviiT0_iil13rocblas_fill_, .Lfunc_end121-_ZN9rocsolver6v33100L8set_zeroIdPdEEviiT0_iil13rocblas_fill_
                                        ; -- End function
	.section	.AMDGPU.csdata,"",@progbits
; Kernel info:
; codeLenInByte = 316
; NumSgprs: 13
; NumVgprs: 4
; NumAgprs: 0
; TotalNumVgprs: 4
; ScratchSize: 0
; MemoryBound: 0
; FloatMode: 240
; IeeeMode: 1
; LDSByteSize: 0 bytes/workgroup (compile time only)
; SGPRBlocks: 1
; VGPRBlocks: 0
; NumSGPRsForWavesPerEU: 13
; NumVGPRsForWavesPerEU: 4
; AccumOffset: 4
; Occupancy: 8
; WaveLimiterHint : 0
; COMPUTE_PGM_RSRC2:SCRATCH_EN: 0
; COMPUTE_PGM_RSRC2:USER_SGPR: 6
; COMPUTE_PGM_RSRC2:TRAP_HANDLER: 0
; COMPUTE_PGM_RSRC2:TGID_X_EN: 1
; COMPUTE_PGM_RSRC2:TGID_Y_EN: 1
; COMPUTE_PGM_RSRC2:TGID_Z_EN: 1
; COMPUTE_PGM_RSRC2:TIDIG_COMP_CNT: 1
; COMPUTE_PGM_RSRC3_GFX90A:ACCUM_OFFSET: 0
; COMPUTE_PGM_RSRC3_GFX90A:TG_SPLIT: 0
	.section	.text._ZN9rocsolver6v33100L14copy_trans_matIddPdS2_NS0_7no_maskEEEv18rocblas_operation_iiT1_iilT2_iilT3_13rocblas_fill_17rocblas_diagonal_,"axG",@progbits,_ZN9rocsolver6v33100L14copy_trans_matIddPdS2_NS0_7no_maskEEEv18rocblas_operation_iiT1_iilT2_iilT3_13rocblas_fill_17rocblas_diagonal_,comdat
	.globl	_ZN9rocsolver6v33100L14copy_trans_matIddPdS2_NS0_7no_maskEEEv18rocblas_operation_iiT1_iilT2_iilT3_13rocblas_fill_17rocblas_diagonal_ ; -- Begin function _ZN9rocsolver6v33100L14copy_trans_matIddPdS2_NS0_7no_maskEEEv18rocblas_operation_iiT1_iilT2_iilT3_13rocblas_fill_17rocblas_diagonal_
	.p2align	8
	.type	_ZN9rocsolver6v33100L14copy_trans_matIddPdS2_NS0_7no_maskEEEv18rocblas_operation_iiT1_iilT2_iilT3_13rocblas_fill_17rocblas_diagonal_,@function
_ZN9rocsolver6v33100L14copy_trans_matIddPdS2_NS0_7no_maskEEEv18rocblas_operation_iiT1_iilT2_iilT3_13rocblas_fill_17rocblas_diagonal_: ; @_ZN9rocsolver6v33100L14copy_trans_matIddPdS2_NS0_7no_maskEEEv18rocblas_operation_iiT1_iilT2_iilT3_13rocblas_fill_17rocblas_diagonal_
; %bb.0:
	s_load_dword s0, s[4:5], 0x5c
	s_load_dwordx4 s[20:23], s[4:5], 0x0
	v_bfe_u32 v1, v0, 10, 10
	v_and_b32_e32 v0, 0x3ff, v0
	s_waitcnt lgkmcnt(0)
	s_lshr_b32 s1, s0, 16
	s_and_b32 s0, s0, 0xffff
	s_mul_i32 s7, s7, s1
	s_mul_i32 s6, s6, s0
	v_add_u32_e32 v2, s7, v1
	v_add_u32_e32 v0, s6, v0
	v_cmp_gt_u32_e32 vcc, s21, v0
	v_cmp_gt_u32_e64 s[0:1], s22, v2
	s_and_b64 s[0:1], s[0:1], vcc
	s_and_saveexec_b64 s[2:3], s[0:1]
	s_cbranch_execz .LBB122_24
; %bb.1:
	s_load_dwordx2 s[2:3], s[4:5], 0x44
	s_waitcnt lgkmcnt(0)
	s_cmpk_lt_i32 s2, 0x7a
	s_cbranch_scc1 .LBB122_4
; %bb.2:
	s_cmpk_gt_i32 s2, 0x7a
	s_cbranch_scc0 .LBB122_5
; %bb.3:
	s_cmpk_lg_i32 s2, 0x7b
	s_mov_b64 s[6:7], -1
	s_cselect_b64 s[10:11], -1, 0
	s_cbranch_execz .LBB122_6
	s_branch .LBB122_7
.LBB122_4:
	s_mov_b64 s[10:11], 0
	s_mov_b64 s[6:7], 0
	s_cbranch_execnz .LBB122_8
	s_branch .LBB122_10
.LBB122_5:
	s_mov_b64 s[6:7], 0
	s_mov_b64 s[10:11], 0
.LBB122_6:
	v_cmp_gt_u32_e32 vcc, v0, v2
	v_cmp_le_u32_e64 s[0:1], v0, v2
	s_andn2_b64 s[6:7], s[6:7], exec
	s_and_b64 s[12:13], vcc, exec
	s_andn2_b64 s[10:11], s[10:11], exec
	s_and_b64 s[0:1], s[0:1], exec
	s_or_b64 s[6:7], s[6:7], s[12:13]
	s_or_b64 s[10:11], s[10:11], s[0:1]
.LBB122_7:
	s_branch .LBB122_10
.LBB122_8:
	s_cmpk_eq_i32 s2, 0x79
	s_mov_b64 s[10:11], -1
	s_cbranch_scc0 .LBB122_10
; %bb.9:
	v_cmp_gt_u32_e32 vcc, v2, v0
	v_cmp_le_u32_e64 s[0:1], v2, v0
	s_andn2_b64 s[6:7], s[6:7], exec
	s_and_b64 s[10:11], vcc, exec
	s_or_b64 s[6:7], s[6:7], s[10:11]
	s_orn2_b64 s[10:11], s[0:1], exec
.LBB122_10:
	s_and_saveexec_b64 s[0:1], s[10:11]
; %bb.11:
	s_cmpk_eq_i32 s3, 0x83
	s_cselect_b64 s[2:3], -1, 0
	v_cmp_eq_u32_e32 vcc, v0, v2
	s_and_b64 s[2:3], s[2:3], vcc
	s_andn2_b64 s[6:7], s[6:7], exec
	s_and_b64 s[2:3], s[2:3], exec
	s_or_b64 s[6:7], s[6:7], s[2:3]
; %bb.12:
	s_or_b64 exec, exec, s[0:1]
	s_and_b64 exec, exec, s[6:7]
	s_cbranch_execz .LBB122_24
; %bb.13:
	s_load_dwordx8 s[12:19], s[4:5], 0x10
	s_waitcnt lgkmcnt(0)
	s_mul_i32 s3, s8, s17
	s_mul_hi_u32 s6, s8, s16
	s_mul_i32 s2, s8, s16
	s_add_i32 s3, s6, s3
	s_ashr_i32 s1, s14, 31
	s_lshl_b64 s[2:3], s[2:3], 3
	s_mov_b32 s0, s14
	s_add_u32 s2, s12, s2
	s_addc_u32 s3, s13, s3
	s_lshl_b64 s[0:1], s[0:1], 3
	s_add_u32 s2, s2, s0
	s_addc_u32 s3, s3, s1
	v_mad_u64_u32 v[4:5], s[0:1], v2, s15, v[0:1]
	v_mov_b32_e32 v5, 0
	v_lshlrev_b64 v[4:5], 3, v[4:5]
	v_mov_b32_e32 v1, s3
	v_add_co_u32_e32 v4, vcc, s2, v4
	v_addc_co_u32_e32 v5, vcc, v1, v5, vcc
	global_load_dwordx2 v[4:5], v[4:5], off
	s_load_dwordx2 s[0:1], s[4:5], 0x30
	s_cmpk_lt_i32 s20, 0x71
	s_mov_b64 s[2:3], 0
	s_cbranch_scc1 .LBB122_16
; %bb.14:
	s_cmpk_eq_i32 s20, 0x71
	s_cbranch_scc0 .LBB122_17
; %bb.15:
	s_waitcnt lgkmcnt(0)
	v_mad_u64_u32 v[6:7], s[6:7], v0, s1, v[2:3]
	s_mov_b64 s[6:7], 0
	s_branch .LBB122_18
.LBB122_16:
                                        ; implicit-def: $vgpr6
	s_mov_b64 s[6:7], 0
	s_cbranch_execnz .LBB122_19
	s_branch .LBB122_20
.LBB122_17:
	s_mov_b64 s[6:7], -1
                                        ; implicit-def: $vgpr6
.LBB122_18:
	s_branch .LBB122_20
.LBB122_19:
	s_cmpk_lg_i32 s20, 0x70
	s_mov_b64 s[2:3], -1
	s_cselect_b64 s[6:7], -1, 0
                                        ; implicit-def: $vgpr6
.LBB122_20:
	s_andn2_b64 vcc, exec, s[6:7]
	s_cbranch_vccz .LBB122_25
; %bb.21:
	s_andn2_b64 vcc, exec, s[2:3]
	s_cbranch_vccnz .LBB122_23
.LBB122_22:
	s_waitcnt lgkmcnt(0)
	v_mad_u64_u32 v[6:7], s[2:3], v0, s1, v[2:3]
.LBB122_23:
	s_load_dwordx2 s[2:3], s[4:5], 0x38
	s_waitcnt lgkmcnt(0)
	s_ashr_i32 s1, s0, 31
	v_mov_b32_e32 v7, 0
	v_lshlrev_b64 v[0:1], 3, v[6:7]
	s_mul_i32 s3, s8, s3
	s_mul_hi_u32 s4, s8, s2
	s_mul_i32 s2, s8, s2
	s_add_i32 s3, s4, s3
	s_lshl_b64 s[2:3], s[2:3], 3
	s_add_u32 s2, s18, s2
	s_addc_u32 s3, s19, s3
	s_lshl_b64 s[0:1], s[0:1], 3
	s_add_u32 s0, s2, s0
	s_addc_u32 s1, s3, s1
	v_mov_b32_e32 v2, s1
	v_add_co_u32_e32 v0, vcc, s0, v0
	v_addc_co_u32_e32 v1, vcc, v2, v1, vcc
	s_waitcnt vmcnt(0)
	global_store_dwordx2 v[0:1], v[4:5], off
.LBB122_24:
	s_endpgm
.LBB122_25:
	s_waitcnt lgkmcnt(0)
	v_mad_u64_u32 v[6:7], s[2:3], v2, s1, v[0:1]
	s_cbranch_execz .LBB122_22
	s_branch .LBB122_23
	.section	.rodata,"a",@progbits
	.p2align	6, 0x0
	.amdhsa_kernel _ZN9rocsolver6v33100L14copy_trans_matIddPdS2_NS0_7no_maskEEEv18rocblas_operation_iiT1_iilT2_iilT3_13rocblas_fill_17rocblas_diagonal_
		.amdhsa_group_segment_fixed_size 0
		.amdhsa_private_segment_fixed_size 0
		.amdhsa_kernarg_size 336
		.amdhsa_user_sgpr_count 6
		.amdhsa_user_sgpr_private_segment_buffer 1
		.amdhsa_user_sgpr_dispatch_ptr 0
		.amdhsa_user_sgpr_queue_ptr 0
		.amdhsa_user_sgpr_kernarg_segment_ptr 1
		.amdhsa_user_sgpr_dispatch_id 0
		.amdhsa_user_sgpr_flat_scratch_init 0
		.amdhsa_user_sgpr_kernarg_preload_length 0
		.amdhsa_user_sgpr_kernarg_preload_offset 0
		.amdhsa_user_sgpr_private_segment_size 0
		.amdhsa_uses_dynamic_stack 0
		.amdhsa_system_sgpr_private_segment_wavefront_offset 0
		.amdhsa_system_sgpr_workgroup_id_x 1
		.amdhsa_system_sgpr_workgroup_id_y 1
		.amdhsa_system_sgpr_workgroup_id_z 1
		.amdhsa_system_sgpr_workgroup_info 0
		.amdhsa_system_vgpr_workitem_id 1
		.amdhsa_next_free_vgpr 8
		.amdhsa_next_free_sgpr 24
		.amdhsa_accum_offset 8
		.amdhsa_reserve_vcc 1
		.amdhsa_reserve_flat_scratch 0
		.amdhsa_float_round_mode_32 0
		.amdhsa_float_round_mode_16_64 0
		.amdhsa_float_denorm_mode_32 3
		.amdhsa_float_denorm_mode_16_64 3
		.amdhsa_dx10_clamp 1
		.amdhsa_ieee_mode 1
		.amdhsa_fp16_overflow 0
		.amdhsa_tg_split 0
		.amdhsa_exception_fp_ieee_invalid_op 0
		.amdhsa_exception_fp_denorm_src 0
		.amdhsa_exception_fp_ieee_div_zero 0
		.amdhsa_exception_fp_ieee_overflow 0
		.amdhsa_exception_fp_ieee_underflow 0
		.amdhsa_exception_fp_ieee_inexact 0
		.amdhsa_exception_int_div_zero 0
	.end_amdhsa_kernel
	.section	.text._ZN9rocsolver6v33100L14copy_trans_matIddPdS2_NS0_7no_maskEEEv18rocblas_operation_iiT1_iilT2_iilT3_13rocblas_fill_17rocblas_diagonal_,"axG",@progbits,_ZN9rocsolver6v33100L14copy_trans_matIddPdS2_NS0_7no_maskEEEv18rocblas_operation_iiT1_iilT2_iilT3_13rocblas_fill_17rocblas_diagonal_,comdat
.Lfunc_end122:
	.size	_ZN9rocsolver6v33100L14copy_trans_matIddPdS2_NS0_7no_maskEEEv18rocblas_operation_iiT1_iilT2_iilT3_13rocblas_fill_17rocblas_diagonal_, .Lfunc_end122-_ZN9rocsolver6v33100L14copy_trans_matIddPdS2_NS0_7no_maskEEEv18rocblas_operation_iiT1_iilT2_iilT3_13rocblas_fill_17rocblas_diagonal_
                                        ; -- End function
	.section	.AMDGPU.csdata,"",@progbits
; Kernel info:
; codeLenInByte = 608
; NumSgprs: 28
; NumVgprs: 8
; NumAgprs: 0
; TotalNumVgprs: 8
; ScratchSize: 0
; MemoryBound: 0
; FloatMode: 240
; IeeeMode: 1
; LDSByteSize: 0 bytes/workgroup (compile time only)
; SGPRBlocks: 3
; VGPRBlocks: 0
; NumSGPRsForWavesPerEU: 28
; NumVGPRsForWavesPerEU: 8
; AccumOffset: 8
; Occupancy: 8
; WaveLimiterHint : 0
; COMPUTE_PGM_RSRC2:SCRATCH_EN: 0
; COMPUTE_PGM_RSRC2:USER_SGPR: 6
; COMPUTE_PGM_RSRC2:TRAP_HANDLER: 0
; COMPUTE_PGM_RSRC2:TGID_X_EN: 1
; COMPUTE_PGM_RSRC2:TGID_Y_EN: 1
; COMPUTE_PGM_RSRC2:TGID_Z_EN: 1
; COMPUTE_PGM_RSRC2:TIDIG_COMP_CNT: 1
; COMPUTE_PGM_RSRC3_GFX90A:ACCUM_OFFSET: 1
; COMPUTE_PGM_RSRC3_GFX90A:TG_SPLIT: 0
	.section	.text._ZN9rocsolver6v33100L16orgl2_init_identIdPdEEviiiT0_iil,"axG",@progbits,_ZN9rocsolver6v33100L16orgl2_init_identIdPdEEviiiT0_iil,comdat
	.globl	_ZN9rocsolver6v33100L16orgl2_init_identIdPdEEviiiT0_iil ; -- Begin function _ZN9rocsolver6v33100L16orgl2_init_identIdPdEEviiiT0_iil
	.p2align	8
	.type	_ZN9rocsolver6v33100L16orgl2_init_identIdPdEEviiiT0_iil,@function
_ZN9rocsolver6v33100L16orgl2_init_identIdPdEEviiiT0_iil: ; @_ZN9rocsolver6v33100L16orgl2_init_identIdPdEEviiiT0_iil
; %bb.0:
	s_load_dword s9, s[4:5], 0x34
	s_load_dwordx4 s[0:3], s[4:5], 0x0
	v_bfe_u32 v1, v0, 10, 10
	v_and_b32_e32 v0, 0x3ff, v0
	s_waitcnt lgkmcnt(0)
	s_lshr_b32 s3, s9, 16
	s_and_b32 s9, s9, 0xffff
	s_mul_i32 s7, s7, s3
	s_mul_i32 s6, s6, s9
	v_add_u32_e32 v2, s7, v1
	v_add_u32_e32 v6, s6, v0
	v_cmp_gt_u32_e32 vcc, s0, v6
	v_cmp_gt_u32_e64 s[0:1], s1, v2
	s_and_b64 s[0:1], vcc, s[0:1]
	s_and_saveexec_b64 s[6:7], s[0:1]
	s_cbranch_execz .LBB123_5
; %bb.1:
	s_load_dwordx2 s[0:1], s[4:5], 0x18
	v_cmp_ne_u32_e32 vcc, v6, v2
	s_mov_b64 s[10:11], 0
                                        ; implicit-def: $vgpr4_vgpr5
                                        ; implicit-def: $vgpr0
	s_and_saveexec_b64 s[6:7], vcc
	s_xor_b64 s[6:7], exec, s[6:7]
	s_cbranch_execnz .LBB123_6
; %bb.2:
	s_andn2_saveexec_b64 s[2:3], s[6:7]
	s_cbranch_execnz .LBB123_13
.LBB123_3:
	s_or_b64 exec, exec, s[2:3]
	s_and_b64 exec, exec, s[10:11]
	s_cbranch_execz .LBB123_5
.LBB123_4:
	s_load_dwordx2 s[2:3], s[4:5], 0x20
	s_load_dwordx2 s[6:7], s[4:5], 0x10
	s_waitcnt lgkmcnt(0)
	s_ashr_i32 s1, s0, 31
	v_mov_b32_e32 v1, 0
	v_lshlrev_b64 v[0:1], 3, v[0:1]
	s_mul_i32 s3, s8, s3
	s_mul_hi_u32 s4, s8, s2
	s_mul_i32 s2, s8, s2
	s_add_i32 s3, s4, s3
	s_lshl_b64 s[2:3], s[2:3], 3
	s_add_u32 s2, s6, s2
	s_addc_u32 s3, s7, s3
	s_lshl_b64 s[0:1], s[0:1], 3
	s_add_u32 s0, s2, s0
	s_addc_u32 s1, s3, s1
	v_mov_b32_e32 v2, s1
	v_add_co_u32_e32 v0, vcc, s0, v0
	v_addc_co_u32_e32 v1, vcc, v2, v1, vcc
	global_store_dwordx2 v[0:1], v[4:5], off
.LBB123_5:
	s_endpgm
.LBB123_6:
	v_cmp_ge_u32_e32 vcc, v2, v6
                                        ; implicit-def: $sgpr12_sgpr13
                                        ; implicit-def: $vgpr0
	s_and_saveexec_b64 s[14:15], vcc
	s_xor_b64 s[14:15], exec, s[14:15]
	s_cbranch_execz .LBB123_10
; %bb.7:
	v_cmp_le_u32_e32 vcc, s2, v6
	s_mov_b64 s[2:3], 0
                                        ; implicit-def: $sgpr12_sgpr13
                                        ; implicit-def: $vgpr0
	s_and_saveexec_b64 s[10:11], vcc
	s_xor_b64 s[10:11], exec, s[10:11]
	s_cbranch_execz .LBB123_9
; %bb.8:
	s_waitcnt lgkmcnt(0)
	v_mad_u64_u32 v[0:1], s[12:13], v2, s1, v[6:7]
	s_mov_b64 s[2:3], exec
	s_mov_b64 s[12:13], 0
.LBB123_9:
	s_or_b64 exec, exec, s[10:11]
	s_and_b64 s[10:11], s[2:3], exec
                                        ; implicit-def: $vgpr6
                                        ; implicit-def: $vgpr2
.LBB123_10:
	s_or_saveexec_b64 s[2:3], s[14:15]
	v_pk_mov_b32 v[4:5], s[12:13], s[12:13] op_sel:[0,1]
	s_xor_b64 exec, exec, s[2:3]
	s_cbranch_execz .LBB123_12
; %bb.11:
	s_waitcnt lgkmcnt(0)
	v_mad_u64_u32 v[0:1], s[12:13], v2, s1, v[6:7]
	v_pk_mov_b32 v[4:5], 0, 0
	s_or_b64 s[10:11], s[10:11], exec
.LBB123_12:
	s_or_b64 exec, exec, s[2:3]
	s_and_b64 s[10:11], s[10:11], exec
                                        ; implicit-def: $vgpr2
	s_andn2_saveexec_b64 s[2:3], s[6:7]
	s_cbranch_execz .LBB123_3
.LBB123_13:
	v_mov_b32_e32 v4, 0
	s_waitcnt lgkmcnt(0)
	v_mad_u64_u32 v[0:1], s[6:7], v2, s1, v[2:3]
	v_mov_b32_e32 v5, 0x3ff00000
	s_or_b64 s[10:11], s[10:11], exec
	s_or_b64 exec, exec, s[2:3]
	s_and_b64 exec, exec, s[10:11]
	s_cbranch_execnz .LBB123_4
	s_branch .LBB123_5
	.section	.rodata,"a",@progbits
	.p2align	6, 0x0
	.amdhsa_kernel _ZN9rocsolver6v33100L16orgl2_init_identIdPdEEviiiT0_iil
		.amdhsa_group_segment_fixed_size 0
		.amdhsa_private_segment_fixed_size 0
		.amdhsa_kernarg_size 296
		.amdhsa_user_sgpr_count 6
		.amdhsa_user_sgpr_private_segment_buffer 1
		.amdhsa_user_sgpr_dispatch_ptr 0
		.amdhsa_user_sgpr_queue_ptr 0
		.amdhsa_user_sgpr_kernarg_segment_ptr 1
		.amdhsa_user_sgpr_dispatch_id 0
		.amdhsa_user_sgpr_flat_scratch_init 0
		.amdhsa_user_sgpr_kernarg_preload_length 0
		.amdhsa_user_sgpr_kernarg_preload_offset 0
		.amdhsa_user_sgpr_private_segment_size 0
		.amdhsa_uses_dynamic_stack 0
		.amdhsa_system_sgpr_private_segment_wavefront_offset 0
		.amdhsa_system_sgpr_workgroup_id_x 1
		.amdhsa_system_sgpr_workgroup_id_y 1
		.amdhsa_system_sgpr_workgroup_id_z 1
		.amdhsa_system_sgpr_workgroup_info 0
		.amdhsa_system_vgpr_workitem_id 1
		.amdhsa_next_free_vgpr 8
		.amdhsa_next_free_sgpr 16
		.amdhsa_accum_offset 8
		.amdhsa_reserve_vcc 1
		.amdhsa_reserve_flat_scratch 0
		.amdhsa_float_round_mode_32 0
		.amdhsa_float_round_mode_16_64 0
		.amdhsa_float_denorm_mode_32 3
		.amdhsa_float_denorm_mode_16_64 3
		.amdhsa_dx10_clamp 1
		.amdhsa_ieee_mode 1
		.amdhsa_fp16_overflow 0
		.amdhsa_tg_split 0
		.amdhsa_exception_fp_ieee_invalid_op 0
		.amdhsa_exception_fp_denorm_src 0
		.amdhsa_exception_fp_ieee_div_zero 0
		.amdhsa_exception_fp_ieee_overflow 0
		.amdhsa_exception_fp_ieee_underflow 0
		.amdhsa_exception_fp_ieee_inexact 0
		.amdhsa_exception_int_div_zero 0
	.end_amdhsa_kernel
	.section	.text._ZN9rocsolver6v33100L16orgl2_init_identIdPdEEviiiT0_iil,"axG",@progbits,_ZN9rocsolver6v33100L16orgl2_init_identIdPdEEviiiT0_iil,comdat
.Lfunc_end123:
	.size	_ZN9rocsolver6v33100L16orgl2_init_identIdPdEEviiiT0_iil, .Lfunc_end123-_ZN9rocsolver6v33100L16orgl2_init_identIdPdEEviiiT0_iil
                                        ; -- End function
	.section	.AMDGPU.csdata,"",@progbits
; Kernel info:
; codeLenInByte = 404
; NumSgprs: 20
; NumVgprs: 8
; NumAgprs: 0
; TotalNumVgprs: 8
; ScratchSize: 0
; MemoryBound: 0
; FloatMode: 240
; IeeeMode: 1
; LDSByteSize: 0 bytes/workgroup (compile time only)
; SGPRBlocks: 2
; VGPRBlocks: 0
; NumSGPRsForWavesPerEU: 20
; NumVGPRsForWavesPerEU: 8
; AccumOffset: 8
; Occupancy: 8
; WaveLimiterHint : 0
; COMPUTE_PGM_RSRC2:SCRATCH_EN: 0
; COMPUTE_PGM_RSRC2:USER_SGPR: 6
; COMPUTE_PGM_RSRC2:TRAP_HANDLER: 0
; COMPUTE_PGM_RSRC2:TGID_X_EN: 1
; COMPUTE_PGM_RSRC2:TGID_Y_EN: 1
; COMPUTE_PGM_RSRC2:TGID_Z_EN: 1
; COMPUTE_PGM_RSRC2:TIDIG_COMP_CNT: 1
; COMPUTE_PGM_RSRC3_GFX90A:ACCUM_OFFSET: 1
; COMPUTE_PGM_RSRC3_GFX90A:TG_SPLIT: 0
	.section	.text._ZN9rocsolver6v33100L6iota_nI19rocblas_complex_numIfEEEvPT_jS4_,"axG",@progbits,_ZN9rocsolver6v33100L6iota_nI19rocblas_complex_numIfEEEvPT_jS4_,comdat
	.globl	_ZN9rocsolver6v33100L6iota_nI19rocblas_complex_numIfEEEvPT_jS4_ ; -- Begin function _ZN9rocsolver6v33100L6iota_nI19rocblas_complex_numIfEEEvPT_jS4_
	.p2align	8
	.type	_ZN9rocsolver6v33100L6iota_nI19rocblas_complex_numIfEEEvPT_jS4_,@function
_ZN9rocsolver6v33100L6iota_nI19rocblas_complex_numIfEEEvPT_jS4_: ; @_ZN9rocsolver6v33100L6iota_nI19rocblas_complex_numIfEEEvPT_jS4_
; %bb.0:
	s_load_dword s0, s[4:5], 0x8
	s_waitcnt lgkmcnt(0)
	v_cmp_gt_u32_e32 vcc, s0, v0
	s_and_saveexec_b64 s[0:1], vcc
	s_cbranch_execz .LBB124_2
; %bb.1:
	s_load_dwordx2 s[0:1], s[4:5], 0xc
	s_load_dwordx2 s[2:3], s[4:5], 0x0
	v_cvt_f32_ubyte0_e32 v2, v0
	v_mov_b32_e32 v3, 0
	v_lshlrev_b32_e32 v4, 3, v0
	s_waitcnt lgkmcnt(0)
	v_pk_add_f32 v[0:1], s[0:1], v[2:3]
	global_store_dwordx2 v4, v[0:1], s[2:3]
.LBB124_2:
	s_endpgm
	.section	.rodata,"a",@progbits
	.p2align	6, 0x0
	.amdhsa_kernel _ZN9rocsolver6v33100L6iota_nI19rocblas_complex_numIfEEEvPT_jS4_
		.amdhsa_group_segment_fixed_size 0
		.amdhsa_private_segment_fixed_size 0
		.amdhsa_kernarg_size 20
		.amdhsa_user_sgpr_count 6
		.amdhsa_user_sgpr_private_segment_buffer 1
		.amdhsa_user_sgpr_dispatch_ptr 0
		.amdhsa_user_sgpr_queue_ptr 0
		.amdhsa_user_sgpr_kernarg_segment_ptr 1
		.amdhsa_user_sgpr_dispatch_id 0
		.amdhsa_user_sgpr_flat_scratch_init 0
		.amdhsa_user_sgpr_kernarg_preload_length 0
		.amdhsa_user_sgpr_kernarg_preload_offset 0
		.amdhsa_user_sgpr_private_segment_size 0
		.amdhsa_uses_dynamic_stack 0
		.amdhsa_system_sgpr_private_segment_wavefront_offset 0
		.amdhsa_system_sgpr_workgroup_id_x 1
		.amdhsa_system_sgpr_workgroup_id_y 0
		.amdhsa_system_sgpr_workgroup_id_z 0
		.amdhsa_system_sgpr_workgroup_info 0
		.amdhsa_system_vgpr_workitem_id 0
		.amdhsa_next_free_vgpr 5
		.amdhsa_next_free_sgpr 6
		.amdhsa_accum_offset 8
		.amdhsa_reserve_vcc 1
		.amdhsa_reserve_flat_scratch 0
		.amdhsa_float_round_mode_32 0
		.amdhsa_float_round_mode_16_64 0
		.amdhsa_float_denorm_mode_32 3
		.amdhsa_float_denorm_mode_16_64 3
		.amdhsa_dx10_clamp 1
		.amdhsa_ieee_mode 1
		.amdhsa_fp16_overflow 0
		.amdhsa_tg_split 0
		.amdhsa_exception_fp_ieee_invalid_op 0
		.amdhsa_exception_fp_denorm_src 0
		.amdhsa_exception_fp_ieee_div_zero 0
		.amdhsa_exception_fp_ieee_overflow 0
		.amdhsa_exception_fp_ieee_underflow 0
		.amdhsa_exception_fp_ieee_inexact 0
		.amdhsa_exception_int_div_zero 0
	.end_amdhsa_kernel
	.section	.text._ZN9rocsolver6v33100L6iota_nI19rocblas_complex_numIfEEEvPT_jS4_,"axG",@progbits,_ZN9rocsolver6v33100L6iota_nI19rocblas_complex_numIfEEEvPT_jS4_,comdat
.Lfunc_end124:
	.size	_ZN9rocsolver6v33100L6iota_nI19rocblas_complex_numIfEEEvPT_jS4_, .Lfunc_end124-_ZN9rocsolver6v33100L6iota_nI19rocblas_complex_numIfEEEvPT_jS4_
                                        ; -- End function
	.section	.AMDGPU.csdata,"",@progbits
; Kernel info:
; codeLenInByte = 76
; NumSgprs: 10
; NumVgprs: 5
; NumAgprs: 0
; TotalNumVgprs: 5
; ScratchSize: 0
; MemoryBound: 0
; FloatMode: 240
; IeeeMode: 1
; LDSByteSize: 0 bytes/workgroup (compile time only)
; SGPRBlocks: 1
; VGPRBlocks: 0
; NumSGPRsForWavesPerEU: 10
; NumVGPRsForWavesPerEU: 5
; AccumOffset: 8
; Occupancy: 8
; WaveLimiterHint : 0
; COMPUTE_PGM_RSRC2:SCRATCH_EN: 0
; COMPUTE_PGM_RSRC2:USER_SGPR: 6
; COMPUTE_PGM_RSRC2:TRAP_HANDLER: 0
; COMPUTE_PGM_RSRC2:TGID_X_EN: 1
; COMPUTE_PGM_RSRC2:TGID_Y_EN: 0
; COMPUTE_PGM_RSRC2:TGID_Z_EN: 0
; COMPUTE_PGM_RSRC2:TIDIG_COMP_CNT: 0
; COMPUTE_PGM_RSRC3_GFX90A:ACCUM_OFFSET: 1
; COMPUTE_PGM_RSRC3_GFX90A:TG_SPLIT: 0
	.section	.text._ZN9rocsolver6v33100L16syev_scalar_caseI19rocblas_complex_numIfEfPS3_TnNSt9enable_ifIX18rocblas_is_complexIT_EEiE4typeELi0EEEv14rocblas_evect_T1_lPT0_li,"axG",@progbits,_ZN9rocsolver6v33100L16syev_scalar_caseI19rocblas_complex_numIfEfPS3_TnNSt9enable_ifIX18rocblas_is_complexIT_EEiE4typeELi0EEEv14rocblas_evect_T1_lPT0_li,comdat
	.globl	_ZN9rocsolver6v33100L16syev_scalar_caseI19rocblas_complex_numIfEfPS3_TnNSt9enable_ifIX18rocblas_is_complexIT_EEiE4typeELi0EEEv14rocblas_evect_T1_lPT0_li ; -- Begin function _ZN9rocsolver6v33100L16syev_scalar_caseI19rocblas_complex_numIfEfPS3_TnNSt9enable_ifIX18rocblas_is_complexIT_EEiE4typeELi0EEEv14rocblas_evect_T1_lPT0_li
	.p2align	8
	.type	_ZN9rocsolver6v33100L16syev_scalar_caseI19rocblas_complex_numIfEfPS3_TnNSt9enable_ifIX18rocblas_is_complexIT_EEiE4typeELi0EEEv14rocblas_evect_T1_lPT0_li,@function
_ZN9rocsolver6v33100L16syev_scalar_caseI19rocblas_complex_numIfEfPS3_TnNSt9enable_ifIX18rocblas_is_complexIT_EEiE4typeELi0EEEv14rocblas_evect_T1_lPT0_li: ; @_ZN9rocsolver6v33100L16syev_scalar_caseI19rocblas_complex_numIfEfPS3_TnNSt9enable_ifIX18rocblas_is_complexIT_EEiE4typeELi0EEEv14rocblas_evect_T1_lPT0_li
; %bb.0:
	s_load_dword s0, s[4:5], 0x3c
	s_load_dword s1, s[4:5], 0x28
	s_waitcnt lgkmcnt(0)
	s_and_b32 s0, s0, 0xffff
	s_mul_i32 s6, s6, s0
	v_add_u32_e32 v2, s6, v0
	v_cmp_gt_i32_e32 vcc, s1, v2
	s_and_saveexec_b64 s[0:1], vcc
	s_cbranch_execz .LBB125_3
; %bb.1:
	s_load_dwordx8 s[8:15], s[4:5], 0x8
	v_ashrrev_i32_e32 v3, 31, v2
	s_load_dword s2, s[4:5], 0x0
	s_waitcnt lgkmcnt(0)
	v_mul_lo_u32 v4, v2, s11
	v_mul_lo_u32 v5, v3, s10
	v_mad_u64_u32 v[0:1], s[0:1], v2, s10, 0
	v_add3_u32 v1, v1, v4, v5
	v_lshlrev_b64 v[0:1], 3, v[0:1]
	v_mov_b32_e32 v4, s9
	v_add_co_u32_e32 v0, vcc, s8, v0
	v_addc_co_u32_e32 v1, vcc, v4, v1, vcc
	global_load_dword v4, v[0:1], off
	v_mul_lo_u32 v5, v2, s15
	v_mul_lo_u32 v6, v3, s14
	v_mad_u64_u32 v[2:3], s[0:1], v2, s14, 0
	v_add3_u32 v3, v3, v5, v6
	v_lshlrev_b64 v[2:3], 2, v[2:3]
	v_mov_b32_e32 v5, s13
	v_add_co_u32_e32 v2, vcc, s12, v2
	v_addc_co_u32_e32 v3, vcc, v5, v3, vcc
	s_cmpk_lg_i32 s2, 0xd3
	s_waitcnt vmcnt(0)
	global_store_dword v[2:3], v4, off
	s_cbranch_scc1 .LBB125_3
; %bb.2:
	v_mov_b32_e32 v2, 1.0
	v_mov_b32_e32 v3, 0
	global_store_dwordx2 v[0:1], v[2:3], off
.LBB125_3:
	s_endpgm
	.section	.rodata,"a",@progbits
	.p2align	6, 0x0
	.amdhsa_kernel _ZN9rocsolver6v33100L16syev_scalar_caseI19rocblas_complex_numIfEfPS3_TnNSt9enable_ifIX18rocblas_is_complexIT_EEiE4typeELi0EEEv14rocblas_evect_T1_lPT0_li
		.amdhsa_group_segment_fixed_size 0
		.amdhsa_private_segment_fixed_size 0
		.amdhsa_kernarg_size 304
		.amdhsa_user_sgpr_count 6
		.amdhsa_user_sgpr_private_segment_buffer 1
		.amdhsa_user_sgpr_dispatch_ptr 0
		.amdhsa_user_sgpr_queue_ptr 0
		.amdhsa_user_sgpr_kernarg_segment_ptr 1
		.amdhsa_user_sgpr_dispatch_id 0
		.amdhsa_user_sgpr_flat_scratch_init 0
		.amdhsa_user_sgpr_kernarg_preload_length 0
		.amdhsa_user_sgpr_kernarg_preload_offset 0
		.amdhsa_user_sgpr_private_segment_size 0
		.amdhsa_uses_dynamic_stack 0
		.amdhsa_system_sgpr_private_segment_wavefront_offset 0
		.amdhsa_system_sgpr_workgroup_id_x 1
		.amdhsa_system_sgpr_workgroup_id_y 0
		.amdhsa_system_sgpr_workgroup_id_z 0
		.amdhsa_system_sgpr_workgroup_info 0
		.amdhsa_system_vgpr_workitem_id 0
		.amdhsa_next_free_vgpr 7
		.amdhsa_next_free_sgpr 16
		.amdhsa_accum_offset 8
		.amdhsa_reserve_vcc 1
		.amdhsa_reserve_flat_scratch 0
		.amdhsa_float_round_mode_32 0
		.amdhsa_float_round_mode_16_64 0
		.amdhsa_float_denorm_mode_32 3
		.amdhsa_float_denorm_mode_16_64 3
		.amdhsa_dx10_clamp 1
		.amdhsa_ieee_mode 1
		.amdhsa_fp16_overflow 0
		.amdhsa_tg_split 0
		.amdhsa_exception_fp_ieee_invalid_op 0
		.amdhsa_exception_fp_denorm_src 0
		.amdhsa_exception_fp_ieee_div_zero 0
		.amdhsa_exception_fp_ieee_overflow 0
		.amdhsa_exception_fp_ieee_underflow 0
		.amdhsa_exception_fp_ieee_inexact 0
		.amdhsa_exception_int_div_zero 0
	.end_amdhsa_kernel
	.section	.text._ZN9rocsolver6v33100L16syev_scalar_caseI19rocblas_complex_numIfEfPS3_TnNSt9enable_ifIX18rocblas_is_complexIT_EEiE4typeELi0EEEv14rocblas_evect_T1_lPT0_li,"axG",@progbits,_ZN9rocsolver6v33100L16syev_scalar_caseI19rocblas_complex_numIfEfPS3_TnNSt9enable_ifIX18rocblas_is_complexIT_EEiE4typeELi0EEEv14rocblas_evect_T1_lPT0_li,comdat
.Lfunc_end125:
	.size	_ZN9rocsolver6v33100L16syev_scalar_caseI19rocblas_complex_numIfEfPS3_TnNSt9enable_ifIX18rocblas_is_complexIT_EEiE4typeELi0EEEv14rocblas_evect_T1_lPT0_li, .Lfunc_end125-_ZN9rocsolver6v33100L16syev_scalar_caseI19rocblas_complex_numIfEfPS3_TnNSt9enable_ifIX18rocblas_is_complexIT_EEiE4typeELi0EEEv14rocblas_evect_T1_lPT0_li
                                        ; -- End function
	.section	.AMDGPU.csdata,"",@progbits
; Kernel info:
; codeLenInByte = 224
; NumSgprs: 20
; NumVgprs: 7
; NumAgprs: 0
; TotalNumVgprs: 7
; ScratchSize: 0
; MemoryBound: 0
; FloatMode: 240
; IeeeMode: 1
; LDSByteSize: 0 bytes/workgroup (compile time only)
; SGPRBlocks: 2
; VGPRBlocks: 0
; NumSGPRsForWavesPerEU: 20
; NumVGPRsForWavesPerEU: 7
; AccumOffset: 8
; Occupancy: 8
; WaveLimiterHint : 0
; COMPUTE_PGM_RSRC2:SCRATCH_EN: 0
; COMPUTE_PGM_RSRC2:USER_SGPR: 6
; COMPUTE_PGM_RSRC2:TRAP_HANDLER: 0
; COMPUTE_PGM_RSRC2:TGID_X_EN: 1
; COMPUTE_PGM_RSRC2:TGID_Y_EN: 0
; COMPUTE_PGM_RSRC2:TGID_Z_EN: 0
; COMPUTE_PGM_RSRC2:TIDIG_COMP_CNT: 0
; COMPUTE_PGM_RSRC3_GFX90A:ACCUM_OFFSET: 1
; COMPUTE_PGM_RSRC3_GFX90A:TG_SPLIT: 0
	.section	.text._ZN9rocsolver6v33100L24sytd2_lower_kernel_smallILi256E19rocblas_complex_numIfEifPS3_EEvT1_T3_lS5_lPT2_lS8_lPT0_l,"axG",@progbits,_ZN9rocsolver6v33100L24sytd2_lower_kernel_smallILi256E19rocblas_complex_numIfEifPS3_EEvT1_T3_lS5_lPT2_lS8_lPT0_l,comdat
	.globl	_ZN9rocsolver6v33100L24sytd2_lower_kernel_smallILi256E19rocblas_complex_numIfEifPS3_EEvT1_T3_lS5_lPT2_lS8_lPT0_l ; -- Begin function _ZN9rocsolver6v33100L24sytd2_lower_kernel_smallILi256E19rocblas_complex_numIfEifPS3_EEvT1_T3_lS5_lPT2_lS8_lPT0_l
	.p2align	8
	.type	_ZN9rocsolver6v33100L24sytd2_lower_kernel_smallILi256E19rocblas_complex_numIfEifPS3_EEvT1_T3_lS5_lPT2_lS8_lPT0_l,@function
_ZN9rocsolver6v33100L24sytd2_lower_kernel_smallILi256E19rocblas_complex_numIfEifPS3_EEvT1_T3_lS5_lPT2_lS8_lPT0_l: ; @_ZN9rocsolver6v33100L24sytd2_lower_kernel_smallILi256E19rocblas_complex_numIfEifPS3_EEvT1_T3_lS5_lPT2_lS8_lPT0_l
; %bb.0:
	s_load_dwordx2 s[8:9], s[4:5], 0x20
	s_load_dword s26, s[4:5], 0x0
	s_load_dwordx4 s[0:3], s[4:5], 0x8
	s_load_dword s29, s[4:5], 0x18
	s_ashr_i32 s6, s7, 31
	s_waitcnt lgkmcnt(0)
	s_mul_i32 s9, s7, s9
	s_mul_hi_u32 s10, s7, s8
	s_add_i32 s9, s10, s9
	s_mul_i32 s10, s6, s8
	s_add_i32 s9, s9, s10
	s_mul_i32 s8, s7, s8
	s_lshl_b64 s[8:9], s[8:9], 3
	s_add_u32 s8, s0, s8
	s_addc_u32 s9, s1, s9
	s_lshl_b64 s[0:1], s[2:3], 3
	s_add_u32 s27, s8, s0
	v_and_b32_e32 v2, 0x7f, v0
	s_addc_u32 s28, s9, s1
	v_cmp_gt_i32_e64 s[0:1], s26, v2
	v_lshrrev_b32_e32 v3, 7, v0
	v_lshlrev_b32_e32 v12, 3, v2
	s_and_saveexec_b64 s[8:9], s[0:1]
	s_cbranch_execz .LBB126_6
; %bb.1:
	v_lshrrev_b32_e32 v1, 7, v0
	v_mul_lo_u32 v4, s26, v1
	v_lshl_add_u32 v4, v4, 3, v12
	v_add3_u32 v8, v4, 0, 8
	v_mad_u64_u32 v[4:5], s[2:3], s29, v1, v[2:3]
	v_cmp_gt_u32_e32 vcc, s26, v1
	s_lshl_b32 s16, s26, 4
	s_lshl_b32 s17, s29, 1
	s_mov_b64 s[10:11], 0
	v_mov_b32_e32 v5, v2
	s_branch .LBB126_3
.LBB126_2:                              ;   in Loop: Header=BB126_3 Depth=1
	s_or_b64 exec, exec, s[12:13]
	v_add_u32_e32 v5, 0x80, v5
	v_cmp_le_i32_e64 s[2:3], s26, v5
	v_add_u32_e32 v8, 0x400, v8
	s_or_b64 s[10:11], s[2:3], s[10:11]
	v_add_u32_e32 v4, 0x80, v4
	s_andn2_b64 exec, exec, s[10:11]
	s_cbranch_execz .LBB126_6
.LBB126_3:                              ; =>This Loop Header: Depth=1
                                        ;     Child Loop BB126_5 Depth 2
	s_and_saveexec_b64 s[12:13], vcc
	s_cbranch_execz .LBB126_2
; %bb.4:                                ;   in Loop: Header=BB126_3 Depth=1
	s_mov_b64 s[14:15], 0
	v_mov_b32_e32 v6, v4
	v_mov_b32_e32 v9, v8
	;; [unrolled: 1-line block ×3, first 2 shown]
.LBB126_5:                              ;   Parent Loop BB126_3 Depth=1
                                        ; =>  This Inner Loop Header: Depth=2
	v_ashrrev_i32_e32 v7, 31, v6
	v_lshlrev_b64 v[14:15], 3, v[6:7]
	v_mov_b32_e32 v11, s28
	v_add_co_u32_e64 v14, s[2:3], s27, v14
	v_addc_co_u32_e64 v15, s[2:3], v11, v15, s[2:3]
	global_load_dwordx2 v[14:15], v[14:15], off
	v_add_u32_e32 v10, 2, v10
	v_cmp_le_i32_e64 s[2:3], s26, v10
	v_add_u32_e32 v6, s17, v6
	s_or_b64 s[14:15], s[2:3], s[14:15]
	s_waitcnt vmcnt(0)
	ds_write_b64 v9, v[14:15]
	v_add_u32_e32 v9, s16, v9
	s_andn2_b64 exec, exec, s[14:15]
	s_cbranch_execnz .LBB126_5
	s_branch .LBB126_2
.LBB126_6:
	s_or_b64 exec, exec, s[8:9]
	s_waitcnt lgkmcnt(0)
	s_barrier
	s_and_saveexec_b64 s[8:9], s[0:1]
	s_cbranch_execz .LBB126_16
; %bb.7:
	v_lshrrev_b32_e32 v1, 7, v0
	v_mul_lo_u32 v4, s26, v2
	v_lshlrev_b32_e32 v5, 3, v1
	v_lshl_add_u32 v4, v4, 3, v5
	v_mul_lo_u32 v5, s26, v1
	v_lshl_add_u32 v5, v5, 3, v12
	v_cmp_gt_u32_e32 vcc, s26, v1
	v_add3_u32 v4, v4, 0, 8
	s_lshl_b32 s18, s26, 10
	v_add3_u32 v5, v5, 0, 8
	s_lshl_b32 s19, s26, 4
	s_mov_b64 s[10:11], 0
	v_mov_b32_e32 v6, 0
	v_mov_b32_e32 v7, v2
	s_branch .LBB126_9
.LBB126_8:                              ;   in Loop: Header=BB126_9 Depth=1
	s_or_b64 exec, exec, s[12:13]
	v_add_u32_e32 v7, 0x80, v7
	v_cmp_le_i32_e64 s[2:3], s26, v7
	v_add_u32_e32 v4, s18, v4
	s_or_b64 s[10:11], s[2:3], s[10:11]
	v_add_u32_e32 v5, 0x400, v5
	s_andn2_b64 exec, exec, s[10:11]
	s_cbranch_execz .LBB126_16
.LBB126_9:                              ; =>This Loop Header: Depth=1
                                        ;     Child Loop BB126_12 Depth 2
	s_and_saveexec_b64 s[12:13], vcc
	s_cbranch_execz .LBB126_8
; %bb.10:                               ;   in Loop: Header=BB126_9 Depth=1
	v_mul_lo_u32 v9, v7, s26
	v_lshl_add_u32 v8, v7, 3, 0
	v_lshlrev_b32_e32 v9, 3, v9
	v_add3_u32 v8, v8, v9, 4
	s_mov_b64 s[14:15], 0
	v_mov_b32_e32 v9, v5
	v_mov_b32_e32 v10, v4
	;; [unrolled: 1-line block ×3, first 2 shown]
	s_branch .LBB126_12
.LBB126_11:                             ;   in Loop: Header=BB126_12 Depth=2
	s_or_b64 exec, exec, s[16:17]
	v_add_u32_e32 v11, 2, v11
	v_cmp_le_i32_e64 s[2:3], s26, v11
	v_add_u32_e32 v10, 16, v10
	s_or_b64 s[14:15], s[2:3], s[14:15]
	v_add_u32_e32 v9, s19, v9
	s_andn2_b64 exec, exec, s[14:15]
	s_cbranch_execz .LBB126_8
.LBB126_12:                             ;   Parent Loop BB126_9 Depth=1
                                        ; =>  This Inner Loop Header: Depth=2
	v_cmp_eq_u32_e64 s[2:3], v7, v11
	s_and_saveexec_b64 s[16:17], s[2:3]
	s_cbranch_execz .LBB126_14
; %bb.13:                               ;   in Loop: Header=BB126_12 Depth=2
	ds_write_b32 v8, v6 offset:8
.LBB126_14:                             ;   in Loop: Header=BB126_12 Depth=2
	s_or_b64 exec, exec, s[16:17]
	v_cmp_lt_u32_e64 s[2:3], v7, v11
	s_and_saveexec_b64 s[16:17], s[2:3]
	s_cbranch_execz .LBB126_11
; %bb.15:                               ;   in Loop: Header=BB126_12 Depth=2
	ds_read_b64 v[14:15], v10
	s_waitcnt lgkmcnt(0)
	v_xor_b32_e32 v15, 0x80000000, v15
	ds_write_b64 v9, v[14:15]
	s_branch .LBB126_11
.LBB126_16:
	s_or_b64 exec, exec, s[8:9]
	s_cmp_lt_i32 s26, 2
	s_waitcnt lgkmcnt(0)
	s_barrier
	s_cbranch_scc1 .LBB126_68
; %bb.17:
	s_load_dwordx8 s[8:15], s[4:5], 0x38
	v_mbcnt_lo_u32_b32 v1, -1, 0
	v_mbcnt_hi_u32_b32 v4, -1, v1
	v_and_b32_e32 v5, 63, v4
	v_cmp_ne_u32_e32 vcc, 63, v5
	s_waitcnt lgkmcnt(0)
	s_mul_i32 s3, s7, s11
	s_mul_hi_u32 s4, s7, s10
	s_mul_i32 s5, s6, s10
	s_add_i32 s3, s4, s3
	s_mul_i32 s2, s7, s10
	s_add_i32 s3, s3, s5
	v_addc_co_u32_e32 v1, vcc, 0, v4, vcc
	s_lshl_b64 s[2:3], s[2:3], 2
	v_cmp_gt_u32_e32 vcc, 62, v5
	s_mul_i32 s10, s7, s15
	s_add_u32 s30, s8, s2
	s_mul_hi_u32 s2, s7, s14
	v_cndmask_b32_e64 v6, 0, 1, vcc
	s_addc_u32 s31, s9, s3
	s_add_i32 s2, s2, s10
	s_mul_i32 s3, s6, s14
	v_lshlrev_b32_e32 v6, 1, v6
	v_cmp_gt_u32_e32 vcc, 60, v5
	s_add_i32 s3, s2, s3
	s_mul_i32 s2, s7, s14
	v_add_lshl_u32 v13, v6, v4, 2
	v_cndmask_b32_e64 v6, 0, 1, vcc
	s_lshl_b64 s[2:3], s[2:3], 3
	v_lshlrev_b32_e32 v6, 2, v6
	v_cmp_gt_u32_e32 vcc, 56, v5
	s_add_u32 s33, s12, s2
	s_mul_i32 s2, s26, s26
	v_add_lshl_u32 v14, v6, v4, 2
	v_cndmask_b32_e64 v6, 0, 1, vcc
	s_addc_u32 s34, s13, s3
	s_lshl_b32 s2, s2, 3
	v_lshlrev_b32_e32 v6, 3, v6
	v_cmp_gt_u32_e32 vcc, 48, v5
	s_add_i32 s6, s2, 0
	s_lshl_b32 s36, s26, 3
	v_add_lshl_u32 v15, v6, v4, 2
	v_cndmask_b32_e64 v6, 0, 1, vcc
	v_cmp_gt_u32_e32 vcc, 32, v5
	s_add_i32 s39, s6, s36
	v_cndmask_b32_e64 v5, 0, 1, vcc
	s_add_i32 s35, s6, 8
	s_add_i32 s37, s39, s36
	v_lshlrev_b32_e32 v5, 5, v5
	v_lshlrev_b32_e32 v6, 4, v6
	v_add_lshl_u32 v17, v5, v4, 2
	s_cmp_lg_u64 s[8:9], 0
	v_lshlrev_b32_e32 v5, 3, v0
	v_add_lshl_u32 v16, v6, v4, 2
	s_cselect_b64 s[14:15], -1, 0
	v_add_u32_e32 v6, s6, v5
	v_add_u32_e32 v7, 16, v5
	s_add_i32 s40, s36, 8
	s_add_i32 s6, s36, 0
	v_and_b32_e32 v4, 63, v0
	v_add_u32_e32 v21, s6, v7
	s_mul_i32 s6, s26, s40
	s_mov_b32 s13, 0
	v_cmp_eq_u32_e64 s[2:3], 0, v4
	v_lshrrev_b32_e32 v4, 3, v0
	s_add_i32 s6, s6, 0
	v_lshlrev_b32_e32 v1, 2, v1
	v_cmp_eq_u32_e64 s[4:5], 0, v0
	s_add_i32 s38, s26, -2
	s_add_i32 s39, s39, 8
	v_add_u32_e32 v18, 8, v6
	v_add_u32_e32 v19, 0, v7
	;; [unrolled: 1-line block ×3, first 2 shown]
	v_add3_u32 v22, s6, v5, 8
	v_add_u32_e32 v23, s37, v4
	v_mov_b32_e32 v4, 0
	v_mov_b32_e32 v24, 1.0
	s_mov_b32 s41, 0xf800000
	v_mov_b32_e32 v25, 0x260
	s_mov_b32 s12, s13
	s_branch .LBB126_19
.LBB126_18:                             ;   in Loop: Header=BB126_19 Depth=1
	s_or_b64 exec, exec, s[8:9]
	s_add_i32 s6, s12, 1
	v_add_u32_e32 v19, s40, v19
	v_add_u32_e32 v21, s40, v21
	s_cmp_eq_u32 s12, s38
	s_mov_b32 s12, s6
	s_waitcnt lgkmcnt(0)
	s_barrier
	s_cbranch_scc1 .LBB126_68
.LBB126_19:                             ; =>This Loop Header: Depth=1
                                        ;     Child Loop BB126_21 Depth 2
                                        ;     Child Loop BB126_24 Depth 2
                                        ;     Child Loop BB126_43 Depth 2
                                        ;     Child Loop BB126_46 Depth 2
                                        ;       Child Loop BB126_47 Depth 3
                                        ;     Child Loop BB126_50 Depth 2
                                        ;     Child Loop BB126_53 Depth 2
	;; [unrolled: 1-line block ×4, first 2 shown]
                                        ;       Child Loop BB126_65 Depth 3
	s_not_b32 s42, s12
	s_add_i32 s42, s42, s26
	v_cmp_gt_i32_e64 s[6:7], s42, v0
	s_and_saveexec_b64 s[8:9], s[6:7]
	s_cbranch_execz .LBB126_22
; %bb.20:                               ;   in Loop: Header=BB126_19 Depth=1
	s_mov_b64 s[10:11], 0
	v_mov_b32_e32 v5, v19
	v_mov_b32_e32 v6, v18
	;; [unrolled: 1-line block ×3, first 2 shown]
.LBB126_21:                             ;   Parent Loop BB126_19 Depth=1
                                        ; =>  This Inner Loop Header: Depth=2
	ds_read_b64 v[8:9], v5
	v_add_u32_e32 v7, 0x100, v7
	v_cmp_le_i32_e32 vcc, s42, v7
	v_add_u32_e32 v5, 0x800, v5
	s_or_b64 s[10:11], vcc, s[10:11]
	s_waitcnt lgkmcnt(0)
	ds_write_b64 v6, v[8:9]
	v_add_u32_e32 v6, 0x800, v6
	s_andn2_b64 exec, exec, s[10:11]
	s_cbranch_execnz .LBB126_21
.LBB126_22:                             ;   in Loop: Header=BB126_19 Depth=1
	s_or_b64 exec, exec, s[8:9]
	s_add_i32 s43, s42, -1
	v_cmp_gt_i32_e64 s[8:9], s43, v0
	v_mov_b32_e32 v5, 0
	v_mov_b32_e32 v6, 0
	s_waitcnt lgkmcnt(0)
	s_barrier
	s_and_saveexec_b64 s[10:11], s[8:9]
	s_cbranch_execz .LBB126_26
; %bb.23:                               ;   in Loop: Header=BB126_19 Depth=1
	s_mov_b64 s[16:17], 0
	v_mov_b32_e32 v5, 0
	v_mov_b32_e32 v7, v20
	;; [unrolled: 1-line block ×4, first 2 shown]
.LBB126_24:                             ;   Parent Loop BB126_19 Depth=1
                                        ; =>  This Inner Loop Header: Depth=2
	ds_read_b64 v[10:11], v7
	v_add_u32_e32 v8, 0x100, v8
	v_cmp_le_i32_e32 vcc, s43, v8
	v_add_u32_e32 v7, 0x800, v7
	s_or_b64 s[16:17], vcc, s[16:17]
	s_waitcnt lgkmcnt(0)
	v_mul_f32_e32 v9, v11, v11
	v_mul_f32_e32 v26, v11, v10
	v_fmac_f32_e32 v9, v10, v10
	v_fma_f32 v10, v10, v11, -v26
	v_add_f32_e32 v6, v6, v9
	v_add_f32_e32 v5, v5, v10
	s_andn2_b64 exec, exec, s[16:17]
	s_cbranch_execnz .LBB126_24
; %bb.25:                               ;   in Loop: Header=BB126_19 Depth=1
	s_or_b64 exec, exec, s[16:17]
.LBB126_26:                             ;   in Loop: Header=BB126_19 Depth=1
	s_or_b64 exec, exec, s[10:11]
	ds_bpermute_b32 v7, v1, v6
	ds_bpermute_b32 v8, v1, v5
	s_waitcnt lgkmcnt(1)
	v_add_f32_e32 v6, v6, v7
	s_waitcnt lgkmcnt(0)
	v_add_f32_e32 v5, v5, v8
	ds_bpermute_b32 v7, v13, v6
	ds_bpermute_b32 v8, v13, v5
	s_waitcnt lgkmcnt(1)
	v_add_f32_e32 v6, v6, v7
	s_waitcnt lgkmcnt(0)
	v_add_f32_e32 v5, v5, v8
	;; [unrolled: 6-line block ×5, first 2 shown]
	ds_bpermute_b32 v8, v17, v6
	ds_bpermute_b32 v7, v17, v5
	s_waitcnt lgkmcnt(1)
	v_add_f32_e32 v6, v6, v8
	s_and_saveexec_b64 s[10:11], s[2:3]
	s_cbranch_execz .LBB126_28
; %bb.27:                               ;   in Loop: Header=BB126_19 Depth=1
	s_waitcnt lgkmcnt(0)
	v_add_f32_e32 v5, v5, v7
	ds_write2_b32 v23, v6, v5 offset0:2 offset1:3
.LBB126_28:                             ;   in Loop: Header=BB126_19 Depth=1
	s_or_b64 exec, exec, s[10:11]
	s_waitcnt lgkmcnt(0)
	s_barrier
	s_and_saveexec_b64 s[16:17], s[4:5]
	s_cbranch_execz .LBB126_41
; %bb.29:                               ;   in Loop: Header=BB126_19 Depth=1
	v_mov_b32_e32 v5, s37
	ds_read2_b32 v[8:9], v5 offset0:4 offset1:6
	ds_read_b32 v7, v5 offset:32
	v_mov_b32_e32 v5, s35
	ds_read_b32 v5, v5 offset:4
	s_lshl_b64 s[10:11], s[12:13], 2
	s_waitcnt lgkmcnt(2)
	v_add_f32_e32 v6, v6, v8
	v_add_f32_e32 v6, v6, v9
	s_waitcnt lgkmcnt(1)
	v_add_f32_e32 v9, v6, v7
	s_waitcnt lgkmcnt(0)
	v_mul_f32_e32 v8, v5, v5
	s_add_u32 s22, s30, s10
	v_max_f32_e32 v6, v9, v8
	s_addc_u32 s23, s31, s11
	v_cmp_nlt_f32_e32 vcc, 0, v6
	s_mov_b64 s[20:21], 0
                                        ; implicit-def: $sgpr47
                                        ; implicit-def: $sgpr46
                                        ; implicit-def: $sgpr10_sgpr11
                                        ; implicit-def: $sgpr44
                                        ; implicit-def: $sgpr45
                                        ; implicit-def: $sgpr18_sgpr19
	s_and_saveexec_b64 s[24:25], vcc
	s_xor_b64 s[24:25], exec, s[24:25]
	s_cbranch_execz .LBB126_33
; %bb.30:                               ;   in Loop: Header=BB126_19 Depth=1
	v_mov_b32_e32 v5, v4
	s_mov_b64 s[18:19], 0
	s_and_b64 vcc, exec, s[14:15]
	ds_write_b64 v4, v[4:5]
                                        ; implicit-def: $sgpr47
                                        ; implicit-def: $sgpr46
                                        ; implicit-def: $sgpr10_sgpr11
	s_cbranch_vccz .LBB126_32
; %bb.31:                               ;   in Loop: Header=BB126_19 Depth=1
	v_mov_b32_e32 v5, s35
	ds_read_b32 v6, v5
	s_mov_b64 s[20:21], -1
	s_mov_b64 s[10:11], 0
	s_mov_b32 s46, 1.0
	s_mov_b32 s47, 0
	ds_write_b32 v5, v24
	s_waitcnt lgkmcnt(1)
	global_store_dword v4, v6, s[22:23]
.LBB126_32:                             ;   in Loop: Header=BB126_19 Depth=1
	s_mov_b32 s45, 1.0
	s_mov_b32 s44, 0
	s_and_b64 s[20:21], s[20:21], exec
                                        ; implicit-def: $vgpr8
                                        ; implicit-def: $vgpr9
                                        ; implicit-def: $vgpr5
.LBB126_33:                             ;   in Loop: Header=BB126_19 Depth=1
	s_or_saveexec_b64 s[24:25], s[24:25]
	v_mov_b32_e32 v27, s47
	v_mov_b32_e32 v26, s46
	v_pk_mov_b32 v[6:7], s[10:11], s[10:11] op_sel:[0,1]
	s_xor_b64 exec, exec, s[24:25]
	s_cbranch_execz .LBB126_38
; %bb.34:                               ;   in Loop: Header=BB126_19 Depth=1
	v_mov_b32_e32 v6, s35
	ds_read_b32 v6, v6
	s_waitcnt lgkmcnt(0)
	v_fma_f32 v7, v6, v6, v8
	v_add_f32_e32 v7, v9, v7
	v_mul_f32_e32 v9, 0x4f800000, v7
	v_cmp_gt_f32_e32 vcc, s41, v7
	v_cndmask_b32_e32 v7, v7, v9, vcc
	v_sqrt_f32_e32 v9, v7
	v_add_u32_e32 v10, -1, v9
	v_add_u32_e32 v11, 1, v9
	v_fma_f32 v26, -v10, v9, v7
	v_fma_f32 v27, -v11, v9, v7
	v_cmp_ge_f32_e64 s[10:11], 0, v26
	v_cndmask_b32_e64 v9, v9, v10, s[10:11]
	v_cmp_lt_f32_e64 s[10:11], 0, v27
	v_cndmask_b32_e64 v9, v9, v11, s[10:11]
	v_mul_f32_e32 v10, 0x37800000, v9
	v_cndmask_b32_e32 v9, v9, v10, vcc
	v_cmp_class_f32_e32 vcc, v7, v25
	v_cndmask_b32_e32 v7, v9, v7, vcc
	v_cmp_le_f32_e32 vcc, 0, v6
	v_cndmask_b32_e64 v9, v7, -v7, vcc
	v_sub_f32_e32 v7, v6, v9
	v_fmac_f32_e32 v8, v7, v7
	v_div_scale_f32 v10, s[10:11], v8, v8, v7
	v_rcp_f32_e32 v11, v10
	v_div_scale_f32 v26, vcc, v7, v8, v7
	v_sub_f32_e32 v6, v9, v6
	v_fma_f32 v27, -v10, v11, 1.0
	v_fmac_f32_e32 v11, v27, v11
	v_mul_f32_e32 v27, v26, v11
	v_fma_f32 v28, -v10, v27, v26
	v_fmac_f32_e32 v27, v28, v11
	v_div_scale_f32 v28, s[10:11], v8, v8, -v5
	v_rcp_f32_e32 v29, v28
	v_fma_f32 v10, -v10, v27, v26
	v_div_fmas_f32 v10, v10, v11, v27
	v_div_fixup_f32 v26, v10, v8, v7
	v_fma_f32 v7, -v28, v29, 1.0
	v_fmac_f32_e32 v29, v7, v29
	v_div_scale_f32 v7, vcc, -v5, v8, -v5
	v_mul_f32_e32 v10, v7, v29
	v_fma_f32 v11, -v28, v10, v7
	v_fmac_f32_e32 v10, v11, v29
	v_div_scale_f32 v11, s[10:11], v9, v9, v6
	v_fma_f32 v7, -v28, v10, v7
	v_rcp_f32_e32 v28, v11
	v_div_fmas_f32 v7, v7, v29, v10
	v_div_fixup_f32 v27, v7, v8, -v5
	v_fma_f32 v7, -v11, v28, 1.0
	v_fmac_f32_e32 v28, v7, v28
	v_div_scale_f32 v7, vcc, v6, v9, v6
	v_mul_f32_e32 v8, v7, v28
	v_fma_f32 v10, -v11, v8, v7
	v_fmac_f32_e32 v8, v10, v28
	v_div_scale_f32 v10, s[10:11], v9, v9, -v5
	v_fma_f32 v7, -v11, v8, v7
	v_rcp_f32_e32 v11, v10
	v_div_fmas_f32 v7, v7, v28, v8
	v_div_fixup_f32 v6, v7, v9, v6
	v_fma_f32 v7, -v10, v11, 1.0
	v_fmac_f32_e32 v11, v7, v11
	v_div_scale_f32 v7, vcc, -v5, v9, -v5
	v_mul_f32_e32 v8, v7, v11
	v_fma_f32 v28, -v10, v8, v7
	v_fmac_f32_e32 v8, v28, v11
	v_fma_f32 v7, -v10, v8, v7
	v_div_fmas_f32 v7, v7, v11, v8
	v_div_fixup_f32 v7, v7, v9, -v5
	s_and_b64 vcc, exec, s[14:15]
	ds_write_b64 v4, v[6:7]
	s_cbranch_vccz .LBB126_67
; %bb.35:                               ;   in Loop: Header=BB126_19 Depth=1
	v_mov_b32_e32 v5, s35
	global_store_dword v4, v9, s[22:23]
	ds_write_b32 v5, v24
	s_cbranch_execnz .LBB126_37
.LBB126_36:                             ;   in Loop: Header=BB126_19 Depth=1
	v_mov_b32_e32 v5, s35
	ds_write_b32 v5, v9
.LBB126_37:                             ;   in Loop: Header=BB126_19 Depth=1
	s_or_b64 s[20:21], s[20:21], exec
.LBB126_38:                             ;   in Loop: Header=BB126_19 Depth=1
	s_or_b64 exec, exec, s[24:25]
	v_pk_mov_b32 v[10:11], s[18:19], s[18:19] op_sel:[0,1]
	v_mov_b32_e32 v8, s45
	v_mov_b32_e32 v9, s44
	s_and_saveexec_b64 s[10:11], s[20:21]
	s_cbranch_execz .LBB126_40
; %bb.39:                               ;   in Loop: Header=BB126_19 Depth=1
	v_mov_b32_e32 v5, s35
	v_pk_mov_b32 v[10:11], v[6:7], v[6:7] op_sel:[0,1]
	v_mov_b32_e32 v8, v26
	v_mov_b32_e32 v9, v27
	ds_write_b32 v5, v4 offset:4
.LBB126_40:                             ;   in Loop: Header=BB126_19 Depth=1
	s_or_b64 exec, exec, s[10:11]
	s_lshl_b64 s[10:11], s[12:13], 3
	s_add_u32 s10, s33, s10
	s_addc_u32 s11, s34, s11
	v_mov_b32_e32 v5, s37
	global_store_dwordx2 v4, v[10:11], s[10:11]
	ds_write_b64 v5, v[8:9] offset:8
.LBB126_41:                             ;   in Loop: Header=BB126_19 Depth=1
	s_or_b64 exec, exec, s[16:17]
	s_waitcnt lgkmcnt(0)
	s_barrier
	s_and_saveexec_b64 s[10:11], s[8:9]
	s_cbranch_execz .LBB126_44
; %bb.42:                               ;   in Loop: Header=BB126_19 Depth=1
	s_mov_b64 s[8:9], 0
	v_mov_b32_e32 v5, v20
	v_mov_b32_e32 v6, v0
.LBB126_43:                             ;   Parent Loop BB126_19 Depth=1
                                        ; =>  This Inner Loop Header: Depth=2
	v_mov_b32_e32 v7, s37
	ds_read_b64 v[8:9], v5
	ds_read_b64 v[10:11], v7 offset:8
	v_add_u32_e32 v6, 0x100, v6
	v_cmp_le_i32_e32 vcc, s43, v6
	s_or_b64 s[8:9], vcc, s[8:9]
	s_waitcnt lgkmcnt(0)
	v_mul_f32_e32 v7, v11, v9
	v_mul_f32_e32 v27, v10, v9
	v_fma_f32 v26, v10, v8, -v7
	v_fmac_f32_e32 v27, v11, v8
	ds_write_b64 v5, v[26:27]
	v_add_u32_e32 v5, 0x800, v5
	s_andn2_b64 exec, exec, s[8:9]
	s_cbranch_execnz .LBB126_43
.LBB126_44:                             ;   in Loop: Header=BB126_19 Depth=1
	s_or_b64 exec, exec, s[10:11]
	s_waitcnt lgkmcnt(0)
	s_barrier
	s_and_saveexec_b64 s[8:9], s[6:7]
	s_cbranch_execz .LBB126_51
; %bb.45:                               ;   in Loop: Header=BB126_19 Depth=1
	s_mov_b64 s[10:11], 0
	v_mov_b32_e32 v5, v21
	v_mov_b32_e32 v6, v0
.LBB126_46:                             ;   Parent Loop BB126_19 Depth=1
                                        ; =>  This Loop Header: Depth=2
                                        ;       Child Loop BB126_47 Depth 3
	s_mov_b32 s16, 0
	v_mov_b32_e32 v7, 0
	v_mov_b32_e32 v9, v5
	s_mov_b32 s17, s35
	v_mov_b32_e32 v8, 0
.LBB126_47:                             ;   Parent Loop BB126_19 Depth=1
                                        ;     Parent Loop BB126_46 Depth=2
                                        ; =>    This Inner Loop Header: Depth=3
	v_mov_b32_e32 v26, s17
	ds_read_b64 v[10:11], v9
	ds_read_b64 v[26:27], v26
	s_add_i32 s16, s16, 1
	s_add_i32 s17, s17, 8
	v_add_u32_e32 v9, s36, v9
	s_cmp_ge_i32 s16, s42
	s_waitcnt lgkmcnt(0)
	v_mul_f32_e32 v28, v27, v11
	v_mul_f32_e32 v11, v26, v11
	v_fma_f32 v26, v26, v10, -v28
	v_fmac_f32_e32 v11, v27, v10
	v_add_f32_e32 v8, v8, v26
	v_add_f32_e32 v7, v7, v11
	s_cbranch_scc0 .LBB126_47
; %bb.48:                               ;   in Loop: Header=BB126_46 Depth=2
	ds_read_b64 v[10:11], v4
	v_lshl_add_u32 v26, v6, 3, s39
	v_add_u32_e32 v6, 0x100, v6
	v_cmp_le_i32_e32 vcc, s42, v6
	s_or_b64 s[10:11], vcc, s[10:11]
	s_waitcnt lgkmcnt(0)
	v_mul_f32_e32 v27, v7, v11
	v_mul_f32_e32 v9, v8, v11
	v_fma_f32 v8, v8, v10, -v27
	v_fmac_f32_e32 v9, v7, v10
	v_add_u32_e32 v5, 0x800, v5
	ds_write_b64 v26, v[8:9]
	s_andn2_b64 exec, exec, s[10:11]
	s_cbranch_execnz .LBB126_46
; %bb.49:                               ;   in Loop: Header=BB126_19 Depth=1
	s_or_b64 exec, exec, s[10:11]
	s_mov_b32 s16, 0
	s_mov_b64 s[10:11], 0
	v_mov_b32_e32 v5, v0
.LBB126_50:                             ;   Parent Loop BB126_19 Depth=1
                                        ; =>  This Inner Loop Header: Depth=2
	v_add_u32_e32 v6, s16, v18
	ds_read_b64 v[6:7], v6
	v_add_u32_e32 v5, 0x100, v5
	v_add_u32_e32 v8, s16, v19
	s_addk_i32 s16, 0x800
	v_cmp_le_i32_e32 vcc, s42, v5
	s_or_b64 s[10:11], vcc, s[10:11]
	s_waitcnt lgkmcnt(0)
	ds_write_b64 v8, v[6:7]
	s_andn2_b64 exec, exec, s[10:11]
	s_cbranch_execnz .LBB126_50
.LBB126_51:                             ;   in Loop: Header=BB126_19 Depth=1
	s_or_b64 exec, exec, s[8:9]
	v_mov_b32_e32 v7, 0
	v_mov_b32_e32 v6, 0
	s_waitcnt lgkmcnt(0)
	s_barrier
	s_and_saveexec_b64 s[8:9], s[6:7]
	s_cbranch_execz .LBB126_55
; %bb.52:                               ;   in Loop: Header=BB126_19 Depth=1
	v_mov_b32_e32 v7, 0
	s_mov_b64 s[10:11], 0
	v_mov_b32_e32 v5, v18
	v_mov_b32_e32 v8, v22
	v_mov_b32_e32 v9, v0
	v_mov_b32_e32 v6, v7
.LBB126_53:                             ;   Parent Loop BB126_19 Depth=1
                                        ; =>  This Inner Loop Header: Depth=2
	ds_read_b64 v[10:11], v8
	ds_read_b64 v[26:27], v5
	v_add_u32_e32 v9, 0x100, v9
	v_cmp_le_i32_e32 vcc, s42, v9
	v_add_u32_e32 v8, 0x800, v8
	v_add_u32_e32 v5, 0x800, v5
	s_waitcnt lgkmcnt(0)
	v_mul_f32_e32 v28, v11, v27
	v_mul_f32_e32 v11, v11, v26
	v_fmac_f32_e32 v28, v10, v26
	v_fma_f32 v10, v10, v27, -v11
	s_or_b64 s[10:11], vcc, s[10:11]
	v_add_f32_e32 v6, v6, v28
	v_add_f32_e32 v7, v7, v10
	s_andn2_b64 exec, exec, s[10:11]
	s_cbranch_execnz .LBB126_53
; %bb.54:                               ;   in Loop: Header=BB126_19 Depth=1
	s_or_b64 exec, exec, s[10:11]
.LBB126_55:                             ;   in Loop: Header=BB126_19 Depth=1
	s_or_b64 exec, exec, s[8:9]
	ds_bpermute_b32 v8, v1, v6
	ds_bpermute_b32 v9, v1, v7
	s_waitcnt lgkmcnt(0)
	v_pk_add_f32 v[6:7], v[6:7], v[8:9]
	ds_bpermute_b32 v8, v13, v6
	ds_bpermute_b32 v9, v13, v7
	s_waitcnt lgkmcnt(0)
	v_pk_add_f32 v[6:7], v[6:7], v[8:9]
	;; [unrolled: 4-line block ×6, first 2 shown]
	s_and_saveexec_b64 s[8:9], s[2:3]
	s_cbranch_execz .LBB126_57
; %bb.56:                               ;   in Loop: Header=BB126_19 Depth=1
	ds_write2_b32 v23, v6, v7 offset0:2 offset1:3
.LBB126_57:                             ;   in Loop: Header=BB126_19 Depth=1
	s_or_b64 exec, exec, s[8:9]
	s_waitcnt lgkmcnt(0)
	s_barrier
	s_and_saveexec_b64 s[8:9], s[4:5]
	s_cbranch_execz .LBB126_59
; %bb.58:                               ;   in Loop: Header=BB126_19 Depth=1
	v_mov_b32_e32 v5, s37
	ds_read_b64 v[26:27], v4
	ds_read2_b64 v[8:11], v5 offset0:2 offset1:3
	ds_read_b64 v[28:29], v5 offset:32
	s_waitcnt lgkmcnt(1)
	v_pk_add_f32 v[6:7], v[6:7], v[8:9]
	v_pk_add_f32 v[6:7], v[6:7], v[10:11]
	v_mul_f32_e32 v30, -0.5, v27
	s_waitcnt lgkmcnt(0)
	v_pk_add_f32 v[6:7], v[6:7], v[28:29]
	v_mul_f32_e32 v26, -0.5, v26
	v_pk_mul_f32 v[8:9], v[6:7], v[30:31] op_sel_hi:[1,0]
	v_pk_fma_f32 v[10:11], v[6:7], v[26:27], v[8:9] op_sel:[0,0,1] op_sel_hi:[1,1,0] neg_lo:[0,0,1] neg_hi:[0,0,1]
	v_pk_fma_f32 v[6:7], v[6:7], v[26:27], v[8:9] op_sel:[0,0,1] op_sel_hi:[1,0,0]
	v_mov_b32_e32 v11, v7
	ds_write_b64 v5, v[10:11] offset:8
.LBB126_59:                             ;   in Loop: Header=BB126_19 Depth=1
	s_or_b64 exec, exec, s[8:9]
	s_waitcnt lgkmcnt(0)
	s_barrier
	s_and_saveexec_b64 s[8:9], s[6:7]
	s_cbranch_execz .LBB126_62
; %bb.60:                               ;   in Loop: Header=BB126_19 Depth=1
	s_mov_b64 s[10:11], 0
	v_mov_b32_e32 v5, v18
	v_mov_b32_e32 v6, v22
	;; [unrolled: 1-line block ×3, first 2 shown]
.LBB126_61:                             ;   Parent Loop BB126_19 Depth=1
                                        ; =>  This Inner Loop Header: Depth=2
	v_mov_b32_e32 v26, s37
	ds_read_b64 v[8:9], v5
	ds_read_b64 v[10:11], v6
	ds_read_b64 v[26:27], v26 offset:8
	v_add_u32_e32 v7, 0x100, v7
	v_cmp_le_i32_e32 vcc, s42, v7
	v_add_u32_e32 v5, 0x800, v5
	s_or_b64 s[10:11], vcc, s[10:11]
	s_waitcnt lgkmcnt(0)
	v_pk_mul_f32 v[28:29], v[8:9], v[26:27] op_sel:[0,1]
	v_pk_fma_f32 v[30:31], v[8:9], v[26:27], v[28:29] op_sel:[0,0,1] op_sel_hi:[1,1,0] neg_lo:[0,0,1] neg_hi:[0,0,1]
	v_pk_fma_f32 v[8:9], v[8:9], v[26:27], v[28:29] op_sel:[0,0,1] op_sel_hi:[1,0,0]
	v_mov_b32_e32 v31, v9
	v_pk_add_f32 v[8:9], v[10:11], v[30:31]
	ds_write_b64 v6, v[8:9]
	v_add_u32_e32 v6, 0x800, v6
	s_andn2_b64 exec, exec, s[10:11]
	s_cbranch_execnz .LBB126_61
.LBB126_62:                             ;   in Loop: Header=BB126_19 Depth=1
	s_or_b64 exec, exec, s[8:9]
	s_waitcnt lgkmcnt(0)
	s_barrier
	s_and_saveexec_b64 s[8:9], s[6:7]
	s_cbranch_execz .LBB126_18
; %bb.63:                               ;   in Loop: Header=BB126_19 Depth=1
	s_mov_b64 s[6:7], 0
	v_mov_b32_e32 v5, v21
	v_mov_b32_e32 v6, v0
.LBB126_64:                             ;   Parent Loop BB126_19 Depth=1
                                        ; =>  This Loop Header: Depth=2
                                        ;       Child Loop BB126_65 Depth 3
	v_lshlrev_b32_e32 v8, 3, v6
	v_add_u32_e32 v7, s35, v8
	v_add_u32_e32 v8, s39, v8
	s_mov_b32 s10, 0
	v_mov_b32_e32 v9, v5
	s_mov_b32 s11, s39
	s_mov_b32 s16, s35
.LBB126_65:                             ;   Parent Loop BB126_19 Depth=1
                                        ;     Parent Loop BB126_64 Depth=2
                                        ; =>    This Inner Loop Header: Depth=3
	v_mov_b32_e32 v30, s11
	v_mov_b32_e32 v32, s16
	ds_read_b64 v[10:11], v9
	ds_read_b64 v[26:27], v7
	;; [unrolled: 1-line block ×5, first 2 shown]
	s_add_i32 s10, s10, 1
	s_add_i32 s16, s16, 8
	s_add_i32 s11, s11, 8
	s_waitcnt lgkmcnt(1)
	v_pk_mul_f32 v[34:35], v[30:31], v[26:27] op_sel:[0,1]
	s_waitcnt lgkmcnt(0)
	v_pk_mul_f32 v[36:37], v[32:33], v[28:29] op_sel:[0,1]
	v_pk_fma_f32 v[38:39], v[30:31], v[26:27], v[34:35] op_sel:[0,0,1] op_sel_hi:[1,1,0]
	v_pk_fma_f32 v[26:27], v[30:31], v[26:27], v[34:35] op_sel:[0,0,1] op_sel_hi:[1,0,0] neg_lo:[1,0,0] neg_hi:[1,0,0]
	v_pk_fma_f32 v[30:31], v[32:33], v[28:29], v[36:37] op_sel:[0,0,1] op_sel_hi:[1,1,0]
	v_pk_fma_f32 v[28:29], v[32:33], v[28:29], v[36:37] op_sel:[0,0,1] op_sel_hi:[1,0,0] neg_lo:[1,0,0] neg_hi:[1,0,0]
	v_mov_b32_e32 v39, v27
	v_mov_b32_e32 v31, v29
	v_pk_add_f32 v[10:11], v[10:11], v[38:39] neg_lo:[0,1] neg_hi:[0,1]
	v_pk_add_f32 v[10:11], v[10:11], v[30:31] neg_lo:[0,1] neg_hi:[0,1]
	s_cmp_ge_i32 s10, s42
	ds_write_b64 v9, v[10:11]
	v_add_u32_e32 v9, s36, v9
	s_cbranch_scc0 .LBB126_65
; %bb.66:                               ;   in Loop: Header=BB126_64 Depth=2
	v_add_u32_e32 v6, 0x100, v6
	v_cmp_le_i32_e32 vcc, s42, v6
	s_or_b64 s[6:7], vcc, s[6:7]
	v_add_u32_e32 v5, 0x800, v5
	s_andn2_b64 exec, exec, s[6:7]
	s_cbranch_execnz .LBB126_64
	s_branch .LBB126_18
.LBB126_67:                             ;   in Loop: Header=BB126_19 Depth=1
	s_branch .LBB126_36
.LBB126_68:
	s_and_saveexec_b64 s[2:3], s[0:1]
	s_cbranch_execz .LBB126_76
; %bb.69:
	v_mad_u64_u32 v[0:1], s[0:1], s29, v3, v[2:3]
	v_mul_lo_u32 v1, s26, v3
	v_lshl_add_u32 v1, v1, 3, v12
	v_cmp_gt_u32_e32 vcc, s26, v3
	s_lshl_b32 s10, s29, 1
	v_add3_u32 v1, v1, 0, 8
	s_lshl_b32 s11, s26, 4
	s_mov_b64 s[2:3], 0
	s_branch .LBB126_71
.LBB126_70:                             ;   in Loop: Header=BB126_71 Depth=1
	s_or_b64 exec, exec, s[4:5]
	v_add_u32_e32 v2, 0x80, v2
	v_cmp_le_i32_e64 s[0:1], s26, v2
	v_add_u32_e32 v0, 0x80, v0
	s_or_b64 s[2:3], s[0:1], s[2:3]
	v_add_u32_e32 v1, 0x400, v1
	s_andn2_b64 exec, exec, s[2:3]
	s_cbranch_execz .LBB126_76
.LBB126_71:                             ; =>This Loop Header: Depth=1
                                        ;     Child Loop BB126_74 Depth 2
	s_and_saveexec_b64 s[4:5], vcc
	s_cbranch_execz .LBB126_70
; %bb.72:                               ;   in Loop: Header=BB126_71 Depth=1
	s_mov_b64 s[6:7], 0
	v_mov_b32_e32 v6, v1
	v_mov_b32_e32 v4, v0
	;; [unrolled: 1-line block ×3, first 2 shown]
	s_branch .LBB126_74
.LBB126_73:                             ;   in Loop: Header=BB126_74 Depth=2
	s_or_b64 exec, exec, s[8:9]
	v_add_u32_e32 v7, 2, v7
	v_cmp_le_i32_e64 s[0:1], s26, v7
	v_add_u32_e32 v4, s10, v4
	s_or_b64 s[6:7], s[0:1], s[6:7]
	v_add_u32_e32 v6, s11, v6
	s_andn2_b64 exec, exec, s[6:7]
	s_cbranch_execz .LBB126_70
.LBB126_74:                             ;   Parent Loop BB126_71 Depth=1
                                        ; =>  This Inner Loop Header: Depth=2
	v_cmp_ge_u32_e64 s[0:1], v2, v7
	s_and_saveexec_b64 s[8:9], s[0:1]
	s_cbranch_execz .LBB126_73
; %bb.75:                               ;   in Loop: Header=BB126_74 Depth=2
	ds_read_b64 v[10:11], v6
	v_ashrrev_i32_e32 v5, 31, v4
	v_lshlrev_b64 v[8:9], 3, v[4:5]
	v_mov_b32_e32 v5, s28
	v_add_co_u32_e64 v8, s[0:1], s27, v8
	v_addc_co_u32_e64 v9, s[0:1], v5, v9, s[0:1]
	s_waitcnt lgkmcnt(0)
	global_store_dwordx2 v[8:9], v[10:11], off
	s_branch .LBB126_73
.LBB126_76:
	s_endpgm
	.section	.rodata,"a",@progbits
	.p2align	6, 0x0
	.amdhsa_kernel _ZN9rocsolver6v33100L24sytd2_lower_kernel_smallILi256E19rocblas_complex_numIfEifPS3_EEvT1_T3_lS5_lPT2_lS8_lPT0_l
		.amdhsa_group_segment_fixed_size 0
		.amdhsa_private_segment_fixed_size 0
		.amdhsa_kernarg_size 88
		.amdhsa_user_sgpr_count 6
		.amdhsa_user_sgpr_private_segment_buffer 1
		.amdhsa_user_sgpr_dispatch_ptr 0
		.amdhsa_user_sgpr_queue_ptr 0
		.amdhsa_user_sgpr_kernarg_segment_ptr 1
		.amdhsa_user_sgpr_dispatch_id 0
		.amdhsa_user_sgpr_flat_scratch_init 0
		.amdhsa_user_sgpr_kernarg_preload_length 0
		.amdhsa_user_sgpr_kernarg_preload_offset 0
		.amdhsa_user_sgpr_private_segment_size 0
		.amdhsa_uses_dynamic_stack 0
		.amdhsa_system_sgpr_private_segment_wavefront_offset 0
		.amdhsa_system_sgpr_workgroup_id_x 1
		.amdhsa_system_sgpr_workgroup_id_y 0
		.amdhsa_system_sgpr_workgroup_id_z 1
		.amdhsa_system_sgpr_workgroup_info 0
		.amdhsa_system_vgpr_workitem_id 0
		.amdhsa_next_free_vgpr 40
		.amdhsa_next_free_sgpr 48
		.amdhsa_accum_offset 40
		.amdhsa_reserve_vcc 1
		.amdhsa_reserve_flat_scratch 0
		.amdhsa_float_round_mode_32 0
		.amdhsa_float_round_mode_16_64 0
		.amdhsa_float_denorm_mode_32 3
		.amdhsa_float_denorm_mode_16_64 3
		.amdhsa_dx10_clamp 1
		.amdhsa_ieee_mode 1
		.amdhsa_fp16_overflow 0
		.amdhsa_tg_split 0
		.amdhsa_exception_fp_ieee_invalid_op 0
		.amdhsa_exception_fp_denorm_src 0
		.amdhsa_exception_fp_ieee_div_zero 0
		.amdhsa_exception_fp_ieee_overflow 0
		.amdhsa_exception_fp_ieee_underflow 0
		.amdhsa_exception_fp_ieee_inexact 0
		.amdhsa_exception_int_div_zero 0
	.end_amdhsa_kernel
	.section	.text._ZN9rocsolver6v33100L24sytd2_lower_kernel_smallILi256E19rocblas_complex_numIfEifPS3_EEvT1_T3_lS5_lPT2_lS8_lPT0_l,"axG",@progbits,_ZN9rocsolver6v33100L24sytd2_lower_kernel_smallILi256E19rocblas_complex_numIfEifPS3_EEvT1_T3_lS5_lPT2_lS8_lPT0_l,comdat
.Lfunc_end126:
	.size	_ZN9rocsolver6v33100L24sytd2_lower_kernel_smallILi256E19rocblas_complex_numIfEifPS3_EEvT1_T3_lS5_lPT2_lS8_lPT0_l, .Lfunc_end126-_ZN9rocsolver6v33100L24sytd2_lower_kernel_smallILi256E19rocblas_complex_numIfEifPS3_EEvT1_T3_lS5_lPT2_lS8_lPT0_l
                                        ; -- End function
	.section	.AMDGPU.csdata,"",@progbits
; Kernel info:
; codeLenInByte = 3876
; NumSgprs: 52
; NumVgprs: 40
; NumAgprs: 0
; TotalNumVgprs: 40
; ScratchSize: 0
; MemoryBound: 0
; FloatMode: 240
; IeeeMode: 1
; LDSByteSize: 0 bytes/workgroup (compile time only)
; SGPRBlocks: 6
; VGPRBlocks: 4
; NumSGPRsForWavesPerEU: 52
; NumVGPRsForWavesPerEU: 40
; AccumOffset: 40
; Occupancy: 8
; WaveLimiterHint : 0
; COMPUTE_PGM_RSRC2:SCRATCH_EN: 0
; COMPUTE_PGM_RSRC2:USER_SGPR: 6
; COMPUTE_PGM_RSRC2:TRAP_HANDLER: 0
; COMPUTE_PGM_RSRC2:TGID_X_EN: 1
; COMPUTE_PGM_RSRC2:TGID_Y_EN: 0
; COMPUTE_PGM_RSRC2:TGID_Z_EN: 1
; COMPUTE_PGM_RSRC2:TIDIG_COMP_CNT: 0
; COMPUTE_PGM_RSRC3_GFX90A:ACCUM_OFFSET: 9
; COMPUTE_PGM_RSRC3_GFX90A:TG_SPLIT: 0
	.section	.text._ZN9rocsolver6v33100L16reset_batch_infoI19rocblas_complex_numIfEiiPS3_EEvT2_lT0_T1_,"axG",@progbits,_ZN9rocsolver6v33100L16reset_batch_infoI19rocblas_complex_numIfEiiPS3_EEvT2_lT0_T1_,comdat
	.globl	_ZN9rocsolver6v33100L16reset_batch_infoI19rocblas_complex_numIfEiiPS3_EEvT2_lT0_T1_ ; -- Begin function _ZN9rocsolver6v33100L16reset_batch_infoI19rocblas_complex_numIfEiiPS3_EEvT2_lT0_T1_
	.p2align	8
	.type	_ZN9rocsolver6v33100L16reset_batch_infoI19rocblas_complex_numIfEiiPS3_EEvT2_lT0_T1_,@function
_ZN9rocsolver6v33100L16reset_batch_infoI19rocblas_complex_numIfEiiPS3_EEvT2_lT0_T1_: ; @_ZN9rocsolver6v33100L16reset_batch_infoI19rocblas_complex_numIfEiiPS3_EEvT2_lT0_T1_
; %bb.0:
	s_load_dword s2, s[4:5], 0x24
	s_load_dwordx2 s[0:1], s[4:5], 0x10
	s_waitcnt lgkmcnt(0)
	s_and_b32 s2, s2, 0xffff
	s_mul_i32 s6, s6, s2
	v_add_u32_e32 v0, s6, v0
	v_cmp_gt_i32_e32 vcc, s0, v0
	s_and_saveexec_b64 s[2:3], vcc
	s_cbranch_execz .LBB127_2
; %bb.1:
	s_load_dwordx4 s[8:11], s[4:5], 0x0
	s_ashr_i32 s0, s7, 31
	v_ashrrev_i32_e32 v1, 31, v0
	v_cvt_f32_i32_e32 v2, s1
	v_lshlrev_b64 v[0:1], 3, v[0:1]
	s_waitcnt lgkmcnt(0)
	s_mul_i32 s3, s7, s11
	s_mul_hi_u32 s4, s7, s10
	s_mul_i32 s0, s0, s10
	s_add_i32 s3, s4, s3
	s_mul_i32 s2, s7, s10
	s_add_i32 s3, s3, s0
	s_lshl_b64 s[2:3], s[2:3], 3
	s_add_u32 s0, s8, s2
	s_addc_u32 s2, s9, s3
	v_mov_b32_e32 v3, s2
	v_add_co_u32_e32 v0, vcc, s0, v0
	v_addc_co_u32_e32 v1, vcc, v3, v1, vcc
	v_mov_b32_e32 v3, 0
	global_store_dwordx2 v[0:1], v[2:3], off
.LBB127_2:
	s_endpgm
	.section	.rodata,"a",@progbits
	.p2align	6, 0x0
	.amdhsa_kernel _ZN9rocsolver6v33100L16reset_batch_infoI19rocblas_complex_numIfEiiPS3_EEvT2_lT0_T1_
		.amdhsa_group_segment_fixed_size 0
		.amdhsa_private_segment_fixed_size 0
		.amdhsa_kernarg_size 280
		.amdhsa_user_sgpr_count 6
		.amdhsa_user_sgpr_private_segment_buffer 1
		.amdhsa_user_sgpr_dispatch_ptr 0
		.amdhsa_user_sgpr_queue_ptr 0
		.amdhsa_user_sgpr_kernarg_segment_ptr 1
		.amdhsa_user_sgpr_dispatch_id 0
		.amdhsa_user_sgpr_flat_scratch_init 0
		.amdhsa_user_sgpr_kernarg_preload_length 0
		.amdhsa_user_sgpr_kernarg_preload_offset 0
		.amdhsa_user_sgpr_private_segment_size 0
		.amdhsa_uses_dynamic_stack 0
		.amdhsa_system_sgpr_private_segment_wavefront_offset 0
		.amdhsa_system_sgpr_workgroup_id_x 1
		.amdhsa_system_sgpr_workgroup_id_y 1
		.amdhsa_system_sgpr_workgroup_id_z 0
		.amdhsa_system_sgpr_workgroup_info 0
		.amdhsa_system_vgpr_workitem_id 0
		.amdhsa_next_free_vgpr 4
		.amdhsa_next_free_sgpr 12
		.amdhsa_accum_offset 4
		.amdhsa_reserve_vcc 1
		.amdhsa_reserve_flat_scratch 0
		.amdhsa_float_round_mode_32 0
		.amdhsa_float_round_mode_16_64 0
		.amdhsa_float_denorm_mode_32 3
		.amdhsa_float_denorm_mode_16_64 3
		.amdhsa_dx10_clamp 1
		.amdhsa_ieee_mode 1
		.amdhsa_fp16_overflow 0
		.amdhsa_tg_split 0
		.amdhsa_exception_fp_ieee_invalid_op 0
		.amdhsa_exception_fp_denorm_src 0
		.amdhsa_exception_fp_ieee_div_zero 0
		.amdhsa_exception_fp_ieee_overflow 0
		.amdhsa_exception_fp_ieee_underflow 0
		.amdhsa_exception_fp_ieee_inexact 0
		.amdhsa_exception_int_div_zero 0
	.end_amdhsa_kernel
	.section	.text._ZN9rocsolver6v33100L16reset_batch_infoI19rocblas_complex_numIfEiiPS3_EEvT2_lT0_T1_,"axG",@progbits,_ZN9rocsolver6v33100L16reset_batch_infoI19rocblas_complex_numIfEiiPS3_EEvT2_lT0_T1_,comdat
.Lfunc_end127:
	.size	_ZN9rocsolver6v33100L16reset_batch_infoI19rocblas_complex_numIfEiiPS3_EEvT2_lT0_T1_, .Lfunc_end127-_ZN9rocsolver6v33100L16reset_batch_infoI19rocblas_complex_numIfEiiPS3_EEvT2_lT0_T1_
                                        ; -- End function
	.section	.AMDGPU.csdata,"",@progbits
; Kernel info:
; codeLenInByte = 144
; NumSgprs: 16
; NumVgprs: 4
; NumAgprs: 0
; TotalNumVgprs: 4
; ScratchSize: 0
; MemoryBound: 0
; FloatMode: 240
; IeeeMode: 1
; LDSByteSize: 0 bytes/workgroup (compile time only)
; SGPRBlocks: 1
; VGPRBlocks: 0
; NumSGPRsForWavesPerEU: 16
; NumVGPRsForWavesPerEU: 4
; AccumOffset: 4
; Occupancy: 8
; WaveLimiterHint : 0
; COMPUTE_PGM_RSRC2:SCRATCH_EN: 0
; COMPUTE_PGM_RSRC2:USER_SGPR: 6
; COMPUTE_PGM_RSRC2:TRAP_HANDLER: 0
; COMPUTE_PGM_RSRC2:TGID_X_EN: 1
; COMPUTE_PGM_RSRC2:TGID_Y_EN: 1
; COMPUTE_PGM_RSRC2:TGID_Z_EN: 0
; COMPUTE_PGM_RSRC2:TIDIG_COMP_CNT: 0
; COMPUTE_PGM_RSRC3_GFX90A:ACCUM_OFFSET: 0
; COMPUTE_PGM_RSRC3_GFX90A:TG_SPLIT: 0
	.section	.text._ZN9rocsolver6v33100L8set_diagI19rocblas_complex_numIfEifPS3_TnNSt9enable_ifIXaa18rocblas_is_complexIT_Ent18rocblas_is_complexIT1_EEiE4typeELi0EEEvPS7_llT2_lT0_lSC_b,"axG",@progbits,_ZN9rocsolver6v33100L8set_diagI19rocblas_complex_numIfEifPS3_TnNSt9enable_ifIXaa18rocblas_is_complexIT_Ent18rocblas_is_complexIT1_EEiE4typeELi0EEEvPS7_llT2_lT0_lSC_b,comdat
	.globl	_ZN9rocsolver6v33100L8set_diagI19rocblas_complex_numIfEifPS3_TnNSt9enable_ifIXaa18rocblas_is_complexIT_Ent18rocblas_is_complexIT1_EEiE4typeELi0EEEvPS7_llT2_lT0_lSC_b ; -- Begin function _ZN9rocsolver6v33100L8set_diagI19rocblas_complex_numIfEifPS3_TnNSt9enable_ifIXaa18rocblas_is_complexIT_Ent18rocblas_is_complexIT1_EEiE4typeELi0EEEvPS7_llT2_lT0_lSC_b
	.p2align	8
	.type	_ZN9rocsolver6v33100L8set_diagI19rocblas_complex_numIfEifPS3_TnNSt9enable_ifIXaa18rocblas_is_complexIT_Ent18rocblas_is_complexIT1_EEiE4typeELi0EEEvPS7_llT2_lT0_lSC_b,@function
_ZN9rocsolver6v33100L8set_diagI19rocblas_complex_numIfEifPS3_TnNSt9enable_ifIXaa18rocblas_is_complexIT_Ent18rocblas_is_complexIT1_EEiE4typeELi0EEEvPS7_llT2_lT0_lSC_b: ; @_ZN9rocsolver6v33100L8set_diagI19rocblas_complex_numIfEifPS3_TnNSt9enable_ifIXaa18rocblas_is_complexIT_Ent18rocblas_is_complexIT1_EEiE4typeELi0EEEvPS7_llT2_lT0_lSC_b
; %bb.0:
	s_load_dword s2, s[4:5], 0x4c
	s_load_dwordx2 s[0:1], s[4:5], 0x38
	v_bfe_u32 v0, v0, 10, 10
	s_waitcnt lgkmcnt(0)
	s_lshr_b32 s2, s2, 16
	s_mul_i32 s7, s7, s2
	v_add_u32_e32 v0, s7, v0
	v_cmp_gt_i32_e32 vcc, s0, v0
	s_and_saveexec_b64 s[2:3], vcc
	s_cbranch_execz .LBB128_5
; %bb.1:
	s_load_dwordx2 s[2:3], s[4:5], 0x20
	s_load_dword s7, s[4:5], 0x28
	s_load_dwordx2 s[16:17], s[4:5], 0x30
	s_load_dwordx8 s[8:15], s[4:5], 0x0
	s_bitcmp1_b32 s1, 0
	s_cselect_b64 s[0:1], -1, 0
	s_ashr_i32 s18, s6, 31
	s_waitcnt lgkmcnt(0)
	s_mul_i32 s4, s6, s17
	s_mul_hi_u32 s5, s6, s16
	s_add_i32 s4, s5, s4
	s_mul_i32 s5, s18, s16
	s_add_i32 s5, s4, s5
	s_mul_i32 s4, s6, s16
	s_lshl_b64 s[4:5], s[4:5], 3
	s_add_u32 s4, s14, s4
	s_addc_u32 s5, s15, s5
	s_lshl_b64 s[2:3], s[2:3], 3
	s_add_u32 s4, s4, s2
	s_addc_u32 s5, s5, s3
	v_mad_u64_u32 v[2:3], s[2:3], v0, s7, v[0:1]
	v_ashrrev_i32_e32 v3, 31, v2
	v_lshlrev_b64 v[2:3], 3, v[2:3]
	v_mov_b32_e32 v1, s5
	v_add_co_u32_e32 v2, vcc, s4, v2
	v_addc_co_u32_e32 v3, vcc, v1, v3, vcc
	global_load_dword v4, v[2:3], off
	s_mul_i32 s3, s6, s13
	s_mul_hi_u32 s4, s6, s12
	s_mul_i32 s18, s18, s12
	s_add_i32 s3, s4, s3
	s_mul_i32 s2, s6, s12
	s_add_i32 s3, s3, s18
	s_lshl_b64 s[2:3], s[2:3], 2
	s_add_u32 s4, s8, s2
	s_addc_u32 s5, s9, s3
	s_lshl_b64 s[2:3], s[10:11], 2
	v_ashrrev_i32_e32 v1, 31, v0
	s_add_u32 s2, s4, s2
	v_lshlrev_b64 v[0:1], 2, v[0:1]
	s_addc_u32 s3, s5, s3
	s_and_b64 vcc, exec, s[0:1]
	v_mov_b32_e32 v5, s3
	v_add_co_u32_e64 v0, s[0:1], s2, v0
	v_addc_co_u32_e64 v1, s[0:1], v5, v1, s[0:1]
	s_waitcnt vmcnt(0)
	global_store_dword v[0:1], v4, off
	s_cbranch_vccnz .LBB128_3
; %bb.2:
	global_load_dword v5, v[2:3], off offset:4
	s_branch .LBB128_4
.LBB128_3:
	v_mov_b32_e32 v4, 1.0
	v_mov_b32_e32 v5, 0
.LBB128_4:
	s_waitcnt vmcnt(0)
	global_store_dwordx2 v[2:3], v[4:5], off
.LBB128_5:
	s_endpgm
	.section	.rodata,"a",@progbits
	.p2align	6, 0x0
	.amdhsa_kernel _ZN9rocsolver6v33100L8set_diagI19rocblas_complex_numIfEifPS3_TnNSt9enable_ifIXaa18rocblas_is_complexIT_Ent18rocblas_is_complexIT1_EEiE4typeELi0EEEvPS7_llT2_lT0_lSC_b
		.amdhsa_group_segment_fixed_size 0
		.amdhsa_private_segment_fixed_size 0
		.amdhsa_kernarg_size 320
		.amdhsa_user_sgpr_count 6
		.amdhsa_user_sgpr_private_segment_buffer 1
		.amdhsa_user_sgpr_dispatch_ptr 0
		.amdhsa_user_sgpr_queue_ptr 0
		.amdhsa_user_sgpr_kernarg_segment_ptr 1
		.amdhsa_user_sgpr_dispatch_id 0
		.amdhsa_user_sgpr_flat_scratch_init 0
		.amdhsa_user_sgpr_kernarg_preload_length 0
		.amdhsa_user_sgpr_kernarg_preload_offset 0
		.amdhsa_user_sgpr_private_segment_size 0
		.amdhsa_uses_dynamic_stack 0
		.amdhsa_system_sgpr_private_segment_wavefront_offset 0
		.amdhsa_system_sgpr_workgroup_id_x 1
		.amdhsa_system_sgpr_workgroup_id_y 1
		.amdhsa_system_sgpr_workgroup_id_z 0
		.amdhsa_system_sgpr_workgroup_info 0
		.amdhsa_system_vgpr_workitem_id 1
		.amdhsa_next_free_vgpr 6
		.amdhsa_next_free_sgpr 19
		.amdhsa_accum_offset 8
		.amdhsa_reserve_vcc 1
		.amdhsa_reserve_flat_scratch 0
		.amdhsa_float_round_mode_32 0
		.amdhsa_float_round_mode_16_64 0
		.amdhsa_float_denorm_mode_32 3
		.amdhsa_float_denorm_mode_16_64 3
		.amdhsa_dx10_clamp 1
		.amdhsa_ieee_mode 1
		.amdhsa_fp16_overflow 0
		.amdhsa_tg_split 0
		.amdhsa_exception_fp_ieee_invalid_op 0
		.amdhsa_exception_fp_denorm_src 0
		.amdhsa_exception_fp_ieee_div_zero 0
		.amdhsa_exception_fp_ieee_overflow 0
		.amdhsa_exception_fp_ieee_underflow 0
		.amdhsa_exception_fp_ieee_inexact 0
		.amdhsa_exception_int_div_zero 0
	.end_amdhsa_kernel
	.section	.text._ZN9rocsolver6v33100L8set_diagI19rocblas_complex_numIfEifPS3_TnNSt9enable_ifIXaa18rocblas_is_complexIT_Ent18rocblas_is_complexIT1_EEiE4typeELi0EEEvPS7_llT2_lT0_lSC_b,"axG",@progbits,_ZN9rocsolver6v33100L8set_diagI19rocblas_complex_numIfEifPS3_TnNSt9enable_ifIXaa18rocblas_is_complexIT_Ent18rocblas_is_complexIT1_EEiE4typeELi0EEEvPS7_llT2_lT0_lSC_b,comdat
.Lfunc_end128:
	.size	_ZN9rocsolver6v33100L8set_diagI19rocblas_complex_numIfEifPS3_TnNSt9enable_ifIXaa18rocblas_is_complexIT_Ent18rocblas_is_complexIT1_EEiE4typeELi0EEEvPS7_llT2_lT0_lSC_b, .Lfunc_end128-_ZN9rocsolver6v33100L8set_diagI19rocblas_complex_numIfEifPS3_TnNSt9enable_ifIXaa18rocblas_is_complexIT_Ent18rocblas_is_complexIT1_EEiE4typeELi0EEEvPS7_llT2_lT0_lSC_b
                                        ; -- End function
	.section	.AMDGPU.csdata,"",@progbits
; Kernel info:
; codeLenInByte = 324
; NumSgprs: 23
; NumVgprs: 6
; NumAgprs: 0
; TotalNumVgprs: 6
; ScratchSize: 0
; MemoryBound: 0
; FloatMode: 240
; IeeeMode: 1
; LDSByteSize: 0 bytes/workgroup (compile time only)
; SGPRBlocks: 2
; VGPRBlocks: 0
; NumSGPRsForWavesPerEU: 23
; NumVGPRsForWavesPerEU: 6
; AccumOffset: 8
; Occupancy: 8
; WaveLimiterHint : 0
; COMPUTE_PGM_RSRC2:SCRATCH_EN: 0
; COMPUTE_PGM_RSRC2:USER_SGPR: 6
; COMPUTE_PGM_RSRC2:TRAP_HANDLER: 0
; COMPUTE_PGM_RSRC2:TGID_X_EN: 1
; COMPUTE_PGM_RSRC2:TGID_Y_EN: 1
; COMPUTE_PGM_RSRC2:TGID_Z_EN: 0
; COMPUTE_PGM_RSRC2:TIDIG_COMP_CNT: 1
; COMPUTE_PGM_RSRC3_GFX90A:ACCUM_OFFSET: 1
; COMPUTE_PGM_RSRC3_GFX90A:TG_SPLIT: 0
	.section	.text._ZN9rocsolver6v33100L11set_taubetaI19rocblas_complex_numIfEifPS3_EEvPT_lS6_T2_llPT1_ll,"axG",@progbits,_ZN9rocsolver6v33100L11set_taubetaI19rocblas_complex_numIfEifPS3_EEvPT_lS6_T2_llPT1_ll,comdat
	.globl	_ZN9rocsolver6v33100L11set_taubetaI19rocblas_complex_numIfEifPS3_EEvPT_lS6_T2_llPT1_ll ; -- Begin function _ZN9rocsolver6v33100L11set_taubetaI19rocblas_complex_numIfEifPS3_EEvPT_lS6_T2_llPT1_ll
	.p2align	8
	.type	_ZN9rocsolver6v33100L11set_taubetaI19rocblas_complex_numIfEifPS3_EEvPT_lS6_T2_llPT1_ll,@function
_ZN9rocsolver6v33100L11set_taubetaI19rocblas_complex_numIfEifPS3_EEvPT_lS6_T2_llPT1_ll: ; @_ZN9rocsolver6v33100L11set_taubetaI19rocblas_complex_numIfEifPS3_EEvPT_lS6_T2_llPT1_ll
; %bb.0:
	s_load_dwordx16 s[8:23], s[4:5], 0x0
	s_ashr_i32 s7, s6, 31
	s_mov_b64 s[0:1], 0
	s_mov_b64 s[24:25], 0
	s_waitcnt lgkmcnt(0)
	s_cmp_eq_u64 s[20:21], 0
	s_cbranch_scc1 .LBB129_2
; %bb.1:
	s_load_dwordx2 s[2:3], s[4:5], 0x40
	s_waitcnt lgkmcnt(0)
	s_mul_i32 s3, s6, s3
	s_mul_hi_u32 s4, s6, s2
	s_mul_i32 s5, s7, s2
	s_add_i32 s3, s4, s3
	s_mul_i32 s2, s6, s2
	s_add_i32 s3, s3, s5
	s_lshl_b64 s[2:3], s[2:3], 2
	s_add_u32 s4, s20, s2
	s_addc_u32 s5, s21, s3
	s_lshl_b64 s[2:3], s[22:23], 2
	s_add_u32 s24, s4, s2
	s_addc_u32 s25, s5, s3
.LBB129_2:
	s_mul_i32 s2, s6, s19
	s_mul_hi_u32 s3, s6, s18
	s_add_i32 s2, s3, s2
	s_mul_i32 s3, s7, s18
	s_add_i32 s3, s2, s3
	s_mul_i32 s2, s6, s18
	s_lshl_b64 s[2:3], s[2:3], 3
	s_add_u32 s4, s14, s2
	s_addc_u32 s5, s15, s3
	s_lshl_b64 s[2:3], s[16:17], 3
	s_add_u32 s2, s4, s2
	s_addc_u32 s3, s5, s3
	s_mul_i32 s4, s6, s11
	s_mul_hi_u32 s5, s6, s10
	s_add_i32 s4, s5, s4
	s_mul_i32 s5, s7, s10
	s_add_i32 s5, s4, s5
	s_mul_i32 s4, s6, s10
	s_lshl_b64 s[4:5], s[4:5], 3
	s_add_u32 s4, s8, s4
	s_addc_u32 s5, s9, s5
	s_lshl_b64 s[6:7], s[6:7], 3
	s_add_u32 s8, s12, s6
	s_addc_u32 s9, s13, s7
	s_load_dword s14, s[2:3], 0x4
	s_load_dword s12, s[8:9], 0x0
	s_cmp_lg_u64 s[24:25], 0
	s_cselect_b64 s[6:7], -1, 0
	s_mov_b64 s[10:11], -1
	s_waitcnt lgkmcnt(0)
	v_mul_f32_e64 v2, s14, s14
	v_max_f32_e64 v0, s12, s12
	v_max_f32_e32 v0, v0, v2
	v_cmp_nlt_f32_e32 vcc, 0, v0
	s_cbranch_vccz .LBB129_5
; %bb.3:
	v_mov_b32_e32 v1, 0
	v_mov_b32_e32 v0, 1.0
	v_mov_b32_e32 v4, v1
	v_mov_b32_e32 v5, v1
	s_mov_b64 s[10:11], 0
	s_and_b64 vcc, exec, s[6:7]
	global_store_dwordx2 v1, v[0:1], s[8:9]
	global_store_dwordx2 v1, v[4:5], s[4:5]
	s_cbranch_vccz .LBB129_5
; %bb.4:
	global_load_dword v3, v1, s[2:3]
	v_pk_mov_b32 v[4:5], s[24:25], s[24:25] op_sel:[0,1]
	s_mov_b64 s[0:1], -1
	s_waitcnt vmcnt(0)
	flat_store_dword v[4:5], v3
	global_store_dword v1, v0, s[2:3]
.LBB129_5:
	s_and_b64 vcc, exec, s[10:11]
	s_cbranch_vccnz .LBB129_8
; %bb.6:
	s_andn2_b64 vcc, exec, s[0:1]
	s_cbranch_vccz .LBB129_12
; %bb.7:
	s_endpgm
.LBB129_8:
	s_load_dword s10, s[2:3], 0x0
	s_mov_b32 s0, 0xf800000
	v_mov_b32_e32 v3, 0x260
	s_waitcnt lgkmcnt(0)
	v_fma_f32 v0, s10, s10, v2
	v_add_f32_e32 v0, s12, v0
	v_mul_f32_e32 v1, 0x4f800000, v0
	v_cmp_gt_f32_e32 vcc, s0, v0
	v_cndmask_b32_e32 v0, v0, v1, vcc
	v_sqrt_f32_e32 v1, v0
	v_add_u32_e32 v4, -1, v1
	v_add_u32_e32 v5, 1, v1
	v_fma_f32 v6, -v4, v1, v0
	v_fma_f32 v7, -v5, v1, v0
	v_cmp_ge_f32_e64 s[0:1], 0, v6
	v_cndmask_b32_e64 v1, v1, v4, s[0:1]
	v_cmp_lt_f32_e64 s[0:1], 0, v7
	v_cndmask_b32_e64 v1, v1, v5, s[0:1]
	v_mul_f32_e32 v4, 0x37800000, v1
	v_cndmask_b32_e32 v1, v1, v4, vcc
	v_cmp_class_f32_e32 vcc, v0, v3
	v_cndmask_b32_e32 v0, v1, v0, vcc
	v_cmp_ge_f32_e64 s[0:1], s10, 0
	v_cndmask_b32_e64 v0, v0, -v0, s[0:1]
	v_sub_f32_e32 v1, s10, v0
	v_fmac_f32_e32 v2, v1, v1
	v_div_scale_f32 v3, s[0:1], v2, v2, v1
	v_rcp_f32_e32 v4, v3
	v_fma_f32 v5, -v3, v4, 1.0
	v_fmac_f32_e32 v4, v5, v4
	v_div_scale_f32 v5, vcc, v1, v2, v1
	v_mul_f32_e32 v6, v5, v4
	v_fma_f32 v7, -v3, v6, v5
	v_fmac_f32_e32 v6, v7, v4
	v_fma_f32 v3, -v3, v6, v5
	v_div_scale_f32 v5, s[0:1], v2, v2, -s14
	v_rcp_f32_e32 v7, v5
	v_div_fmas_f32 v3, v3, v4, v6
	v_div_fixup_f32 v4, v3, v2, v1
	v_fma_f32 v1, -v5, v7, 1.0
	v_fmac_f32_e32 v7, v1, v7
	v_div_scale_f32 v1, vcc, -s14, v2, -s14
	v_mul_f32_e32 v3, v1, v7
	v_fma_f32 v6, -v5, v3, v1
	v_fmac_f32_e32 v3, v6, v7
	v_fma_f32 v1, -v5, v3, v1
	v_div_fmas_f32 v1, v1, v7, v3
	v_subrev_f32_e32 v3, s10, v0
	v_div_scale_f32 v6, s[0:1], v0, v0, v3
	v_rcp_f32_e32 v7, v6
	v_div_fixup_f32 v5, v1, v2, -s14
	v_mov_b32_e32 v1, 0
	global_store_dwordx2 v1, v[4:5], s[8:9]
	v_fma_f32 v2, -v6, v7, 1.0
	v_fmac_f32_e32 v7, v2, v7
	v_div_scale_f32 v2, vcc, v3, v0, v3
	v_mul_f32_e32 v4, v2, v7
	v_fma_f32 v5, -v6, v4, v2
	v_fmac_f32_e32 v4, v5, v7
	v_div_scale_f32 v5, s[0:1], v0, v0, -s14
	v_fma_f32 v2, -v6, v4, v2
	v_rcp_f32_e32 v6, v5
	v_div_fmas_f32 v2, v2, v7, v4
	v_div_fixup_f32 v2, v2, v0, v3
	v_fma_f32 v3, -v5, v6, 1.0
	v_fmac_f32_e32 v6, v3, v6
	v_div_scale_f32 v3, vcc, -s14, v0, -s14
	v_mul_f32_e32 v4, v3, v6
	v_fma_f32 v7, -v5, v4, v3
	v_fmac_f32_e32 v4, v7, v6
	v_fma_f32 v3, -v5, v4, v3
	v_div_fmas_f32 v3, v3, v6, v4
	v_div_fixup_f32 v3, v3, v0, -s14
	s_and_b64 vcc, exec, s[6:7]
	global_store_dwordx2 v1, v[2:3], s[4:5]
	s_cbranch_vccz .LBB129_13
; %bb.9:
	v_pk_mov_b32 v[2:3], s[24:25], s[24:25] op_sel:[0,1]
	flat_store_dword v[2:3], v0
	v_mov_b32_e32 v2, 1.0
	s_waitcnt lgkmcnt(0)
	global_store_dword v1, v2, s[2:3]
	s_cbranch_execnz .LBB129_11
.LBB129_10:
	v_mov_b32_e32 v1, 0
	global_store_dword v1, v0, s[2:3]
.LBB129_11:
.LBB129_12:
	v_mov_b32_e32 v0, 0
	global_store_dword v0, v0, s[2:3] offset:4
	s_endpgm
.LBB129_13:
	s_branch .LBB129_10
	.section	.rodata,"a",@progbits
	.p2align	6, 0x0
	.amdhsa_kernel _ZN9rocsolver6v33100L11set_taubetaI19rocblas_complex_numIfEifPS3_EEvPT_lS6_T2_llPT1_ll
		.amdhsa_group_segment_fixed_size 0
		.amdhsa_private_segment_fixed_size 0
		.amdhsa_kernarg_size 72
		.amdhsa_user_sgpr_count 6
		.amdhsa_user_sgpr_private_segment_buffer 1
		.amdhsa_user_sgpr_dispatch_ptr 0
		.amdhsa_user_sgpr_queue_ptr 0
		.amdhsa_user_sgpr_kernarg_segment_ptr 1
		.amdhsa_user_sgpr_dispatch_id 0
		.amdhsa_user_sgpr_flat_scratch_init 0
		.amdhsa_user_sgpr_kernarg_preload_length 0
		.amdhsa_user_sgpr_kernarg_preload_offset 0
		.amdhsa_user_sgpr_private_segment_size 0
		.amdhsa_uses_dynamic_stack 0
		.amdhsa_system_sgpr_private_segment_wavefront_offset 0
		.amdhsa_system_sgpr_workgroup_id_x 1
		.amdhsa_system_sgpr_workgroup_id_y 0
		.amdhsa_system_sgpr_workgroup_id_z 0
		.amdhsa_system_sgpr_workgroup_info 0
		.amdhsa_system_vgpr_workitem_id 0
		.amdhsa_next_free_vgpr 8
		.amdhsa_next_free_sgpr 26
		.amdhsa_accum_offset 8
		.amdhsa_reserve_vcc 1
		.amdhsa_reserve_flat_scratch 0
		.amdhsa_float_round_mode_32 0
		.amdhsa_float_round_mode_16_64 0
		.amdhsa_float_denorm_mode_32 3
		.amdhsa_float_denorm_mode_16_64 3
		.amdhsa_dx10_clamp 1
		.amdhsa_ieee_mode 1
		.amdhsa_fp16_overflow 0
		.amdhsa_tg_split 0
		.amdhsa_exception_fp_ieee_invalid_op 0
		.amdhsa_exception_fp_denorm_src 0
		.amdhsa_exception_fp_ieee_div_zero 0
		.amdhsa_exception_fp_ieee_overflow 0
		.amdhsa_exception_fp_ieee_underflow 0
		.amdhsa_exception_fp_ieee_inexact 0
		.amdhsa_exception_int_div_zero 0
	.end_amdhsa_kernel
	.section	.text._ZN9rocsolver6v33100L11set_taubetaI19rocblas_complex_numIfEifPS3_EEvPT_lS6_T2_llPT1_ll,"axG",@progbits,_ZN9rocsolver6v33100L11set_taubetaI19rocblas_complex_numIfEifPS3_EEvPT_lS6_T2_llPT1_ll,comdat
.Lfunc_end129:
	.size	_ZN9rocsolver6v33100L11set_taubetaI19rocblas_complex_numIfEifPS3_EEvPT_lS6_T2_llPT1_ll, .Lfunc_end129-_ZN9rocsolver6v33100L11set_taubetaI19rocblas_complex_numIfEifPS3_EEvPT_lS6_T2_llPT1_ll
                                        ; -- End function
	.section	.AMDGPU.csdata,"",@progbits
; Kernel info:
; codeLenInByte = 900
; NumSgprs: 30
; NumVgprs: 8
; NumAgprs: 0
; TotalNumVgprs: 8
; ScratchSize: 0
; MemoryBound: 0
; FloatMode: 240
; IeeeMode: 1
; LDSByteSize: 0 bytes/workgroup (compile time only)
; SGPRBlocks: 3
; VGPRBlocks: 0
; NumSGPRsForWavesPerEU: 30
; NumVGPRsForWavesPerEU: 8
; AccumOffset: 8
; Occupancy: 8
; WaveLimiterHint : 0
; COMPUTE_PGM_RSRC2:SCRATCH_EN: 0
; COMPUTE_PGM_RSRC2:USER_SGPR: 6
; COMPUTE_PGM_RSRC2:TRAP_HANDLER: 0
; COMPUTE_PGM_RSRC2:TGID_X_EN: 1
; COMPUTE_PGM_RSRC2:TGID_Y_EN: 0
; COMPUTE_PGM_RSRC2:TGID_Z_EN: 0
; COMPUTE_PGM_RSRC2:TIDIG_COMP_CNT: 0
; COMPUTE_PGM_RSRC3_GFX90A:ACCUM_OFFSET: 1
; COMPUTE_PGM_RSRC3_GFX90A:TG_SPLIT: 0
	.section	.text._ZN9rocsolver6v33100L20latrd_dot_scale_axpyILi64E19rocblas_complex_numIfEiPS3_EEvT1_T2_llPT0_llS8_l,"axG",@progbits,_ZN9rocsolver6v33100L20latrd_dot_scale_axpyILi64E19rocblas_complex_numIfEiPS3_EEvT1_T2_llPT0_llS8_l,comdat
	.globl	_ZN9rocsolver6v33100L20latrd_dot_scale_axpyILi64E19rocblas_complex_numIfEiPS3_EEvT1_T2_llPT0_llS8_l ; -- Begin function _ZN9rocsolver6v33100L20latrd_dot_scale_axpyILi64E19rocblas_complex_numIfEiPS3_EEvT1_T2_llPT0_llS8_l
	.p2align	8
	.type	_ZN9rocsolver6v33100L20latrd_dot_scale_axpyILi64E19rocblas_complex_numIfEiPS3_EEvT1_T2_llPT0_llS8_l,@function
_ZN9rocsolver6v33100L20latrd_dot_scale_axpyILi64E19rocblas_complex_numIfEiPS3_EEvT1_T2_llPT0_llS8_l: ; @_ZN9rocsolver6v33100L20latrd_dot_scale_axpyILi64E19rocblas_complex_numIfEiPS3_EEvT1_T2_llPT0_llS8_l
; %bb.0:
	s_load_dword s6, s[4:5], 0x0
	s_load_dwordx16 s[8:23], s[4:5], 0x8
	s_ashr_i32 s33, s7, 31
	v_mov_b32_e32 v3, 0
	v_lshlrev_b32_e32 v1, 3, v0
	s_waitcnt lgkmcnt(0)
	v_cmp_gt_i32_e64 s[0:1], s6, v0
	s_mul_i32 s26, s12, s33
	s_mul_hi_u32 s27, s12, s7
	s_mul_i32 s28, s13, s7
	s_mul_i32 s2, s12, s7
	;; [unrolled: 1-line block ×3, first 2 shown]
	s_mul_hi_u32 s30, s18, s7
	s_mul_i32 s31, s19, s7
	s_mul_i32 s4, s18, s7
	v_mov_b32_e32 v2, v3
	s_and_saveexec_b64 s[12:13], s[0:1]
	s_cbranch_execz .LBB130_6
; %bb.1:
	s_add_i32 s3, s27, s26
	s_add_i32 s3, s3, s28
	s_lshl_b64 s[18:19], s[2:3], 3
	s_lshl_b64 s[24:25], s[10:11], 3
	s_add_u32 s3, s18, s24
	s_addc_u32 s5, s19, s25
	v_lshlrev_b32_e32 v12, 3, v0
	s_add_u32 s3, s8, s3
	s_addc_u32 s5, s9, s5
	v_add_co_u32_e32 v4, vcc, s3, v12
	s_add_i32 s3, s30, s29
	v_mov_b32_e32 v2, s5
	s_add_i32 s5, s3, s31
	s_lshl_b64 s[18:19], s[4:5], 3
	s_lshl_b64 s[24:25], s[16:17], 3
	s_add_u32 s3, s18, s24
	s_addc_u32 s5, s19, s25
	s_add_u32 s3, s14, s3
	v_addc_co_u32_e32 v5, vcc, 0, v2, vcc
	s_addc_u32 s5, s15, s5
	v_mov_b32_e32 v2, s5
	v_add_co_u32_e32 v6, vcc, s3, v12
	v_addc_co_u32_e32 v7, vcc, 0, v2, vcc
	v_mov_b32_e32 v2, 0
	s_mov_b64 s[18:19], 0
	v_mov_b32_e32 v13, v0
	v_mov_b32_e32 v3, v2
	s_branch .LBB130_3
.LBB130_2:                              ;   in Loop: Header=BB130_3 Depth=1
	s_or_b64 exec, exec, s[24:25]
	s_waitcnt vmcnt(1)
	v_mov_b32_e32 v14, v11
	v_mov_b32_e32 v15, v10
	s_waitcnt vmcnt(0)
	v_mov_b32_e32 v16, v9
	v_pk_mul_f32 v[16:17], v[16:17], v[14:15]
	v_add_co_u32_e32 v4, vcc, 0x200, v4
	v_pk_fma_f32 v[10:11], v[10:11], v[8:9], v[16:17] op_sel_hi:[0,1,1]
	v_pk_mul_f32 v[16:17], v[14:15], v[8:9]
	v_addc_co_u32_e32 v5, vcc, 0, v5, vcc
	v_mov_b32_e32 v11, v16
	v_add_co_u32_e32 v6, vcc, 0x200, v6
	v_pk_fma_f32 v[8:9], v[14:15], v[8:9], v[10:11] neg_lo:[1,0,0] neg_hi:[1,0,0]
	v_add_u32_e32 v13, 64, v13
	v_addc_co_u32_e32 v7, vcc, 0, v7, vcc
	v_mov_b32_e32 v11, v9
	v_cmp_le_i32_e32 vcc, s6, v13
	v_pk_add_f32 v[2:3], v[2:3], v[10:11]
	s_or_b64 s[18:19], vcc, s[18:19]
	v_add_u32_e32 v12, 0x200, v12
	s_andn2_b64 exec, exec, s[18:19]
	s_cbranch_execz .LBB130_5
.LBB130_3:                              ; =>This Inner Loop Header: Depth=1
	global_load_dwordx2 v[10:11], v[4:5], off
	global_load_dwordx2 v[8:9], v[6:7], off
	v_cmp_gt_u32_e32 vcc, 64, v13
	s_and_saveexec_b64 s[24:25], vcc
	s_cbranch_execz .LBB130_2
; %bb.4:                                ;   in Loop: Header=BB130_3 Depth=1
	s_waitcnt vmcnt(0)
	ds_write2st64_b64 v12, v[10:11], v[8:9] offset1:1
	s_branch .LBB130_2
.LBB130_5:
	s_or_b64 exec, exec, s[18:19]
.LBB130_6:
	s_or_b64 exec, exec, s[12:13]
	v_mbcnt_lo_u32_b32 v4, -1, 0
	v_mbcnt_hi_u32_b32 v6, -1, v4
	v_and_b32_e32 v7, 63, v6
	v_cmp_ne_u32_e32 vcc, 63, v7
	v_addc_co_u32_e32 v4, vcc, 0, v6, vcc
	v_lshlrev_b32_e32 v5, 2, v4
	ds_bpermute_b32 v4, v5, v2
	ds_bpermute_b32 v5, v5, v3
	v_cmp_gt_u32_e32 vcc, 62, v7
	v_cndmask_b32_e64 v8, 0, 1, vcc
	v_lshlrev_b32_e32 v8, 1, v8
	v_add_lshl_u32 v8, v8, v6, 2
	s_waitcnt lgkmcnt(0)
	v_pk_add_f32 v[2:3], v[2:3], v[4:5]
	ds_bpermute_b32 v4, v8, v2
	ds_bpermute_b32 v5, v8, v3
	v_cmp_gt_u32_e32 vcc, 60, v7
	v_cndmask_b32_e64 v8, 0, 1, vcc
	v_lshlrev_b32_e32 v8, 2, v8
	v_add_lshl_u32 v8, v8, v6, 2
	s_waitcnt lgkmcnt(0)
	v_pk_add_f32 v[2:3], v[2:3], v[4:5]
	;; [unrolled: 8-line block ×5, first 2 shown]
	ds_bpermute_b32 v4, v6, v2
	ds_bpermute_b32 v5, v6, v3
	v_cmp_eq_u32_e32 vcc, 0, v0
	s_waitcnt lgkmcnt(0)
	v_pk_add_f32 v[2:3], v[2:3], v[4:5]
	s_and_saveexec_b64 s[12:13], vcc
	s_cbranch_execz .LBB130_8
; %bb.7:
	v_mov_b32_e32 v4, 0
	ds_write_b64 v4, v[2:3] offset:1024
.LBB130_8:
	s_or_b64 exec, exec, s[12:13]
	v_cmp_eq_u32_e32 vcc, 0, v0
	s_waitcnt lgkmcnt(0)
	; wave barrier
	s_waitcnt lgkmcnt(0)
	s_and_saveexec_b64 s[12:13], vcc
	s_cbranch_execz .LBB130_10
; %bb.9:
	s_mul_i32 s3, s7, s23
	s_mul_hi_u32 s5, s7, s22
	s_add_i32 s3, s5, s3
	s_mul_i32 s5, s33, s22
	s_add_i32 s19, s3, s5
	s_mul_i32 s18, s7, s22
	s_lshl_b64 s[18:19], s[18:19], 3
	s_add_u32 s18, s20, s18
	s_addc_u32 s19, s21, s19
	s_load_dwordx2 s[18:19], s[18:19], 0x0
	s_waitcnt lgkmcnt(0)
	v_mul_f32_e64 v6, s19, -0.5
	v_mul_f32_e64 v4, s18, -0.5
	v_pk_mul_f32 v[6:7], v[2:3], v[6:7] op_sel_hi:[1,0]
	v_pk_fma_f32 v[8:9], v[2:3], v[4:5], v[6:7] op_sel:[0,0,1] op_sel_hi:[1,1,0] neg_lo:[0,0,1] neg_hi:[0,0,1]
	v_pk_fma_f32 v[2:3], v[2:3], v[4:5], v[6:7] op_sel:[0,0,1] op_sel_hi:[1,0,0]
	v_mov_b32_e32 v9, v3
	v_mov_b32_e32 v2, 0
	ds_write_b64 v2, v[8:9] offset:1024
.LBB130_10:
	s_or_b64 exec, exec, s[12:13]
	s_waitcnt lgkmcnt(0)
	; wave barrier
	s_waitcnt lgkmcnt(0)
	s_and_saveexec_b64 s[12:13], s[0:1]
	s_cbranch_execz .LBB130_17
; %bb.11:
	s_add_i32 s0, s30, s29
	s_add_i32 s5, s0, s31
	s_lshl_b64 s[0:1], s[4:5], 3
	s_lshl_b64 s[4:5], s[16:17], 3
	s_add_u32 s0, s0, s4
	s_addc_u32 s1, s1, s5
	s_add_u32 s0, s14, s0
	s_addc_u32 s1, s15, s1
	v_add_co_u32_e32 v7, vcc, s0, v1
	s_add_i32 s0, s27, s26
	s_add_i32 s3, s0, s28
	v_mov_b32_e32 v6, s1
	s_lshl_b64 s[0:1], s[2:3], 3
	s_lshl_b64 s[2:3], s[10:11], 3
	s_add_u32 s0, s0, s2
	v_mov_b32_e32 v2, 0
	v_addc_co_u32_e32 v8, vcc, 0, v6, vcc
	s_addc_u32 s1, s1, s3
	ds_read_b64 v[2:3], v2 offset:1024
	v_add_co_u32_e32 v6, vcc, 4, v7
	s_add_u32 s0, s8, s0
	v_addc_co_u32_e32 v7, vcc, 0, v8, vcc
	s_addc_u32 s1, s9, s1
	v_mov_b32_e32 v8, s1
	v_add_co_u32_e32 v9, vcc, s0, v1
	v_addc_co_u32_e32 v10, vcc, 0, v8, vcc
	v_add_co_u32_e32 v8, vcc, 4, v9
	s_waitcnt lgkmcnt(0)
	v_mov_b32_e32 v4, v3
	v_mov_b32_e32 v5, v2
	v_addc_co_u32_e32 v9, vcc, 0, v10, vcc
	s_mov_b64 s[2:3], 0
	s_branch .LBB130_13
.LBB130_12:                             ;   in Loop: Header=BB130_13 Depth=1
	s_or_b64 exec, exec, s[0:1]
	global_store_dword v[6:7], v10, off
	v_add_co_u32_e32 v6, vcc, 0x200, v6
	v_add_u32_e32 v0, 64, v0
	v_addc_co_u32_e32 v7, vcc, 0, v7, vcc
	v_add_co_u32_e32 v8, vcc, 0x200, v8
	v_cmp_le_i32_e64 s[0:1], s6, v0
	v_add_u32_e32 v1, 0x200, v1
	s_or_b64 s[2:3], s[0:1], s[2:3]
	v_addc_co_u32_e32 v9, vcc, 0, v9, vcc
	s_andn2_b64 exec, exec, s[2:3]
	s_cbranch_execz .LBB130_17
.LBB130_13:                             ; =>This Inner Loop Header: Depth=1
	v_cmp_lt_u32_e32 vcc, 63, v0
                                        ; implicit-def: $vgpr10
	s_and_saveexec_b64 s[0:1], vcc
	s_xor_b64 s[0:1], exec, s[0:1]
	s_cbranch_execz .LBB130_15
; %bb.14:                               ;   in Loop: Header=BB130_13 Depth=1
	global_load_dwordx2 v[10:11], v[8:9], off offset:-4
	global_load_dwordx2 v[12:13], v[6:7], off offset:-4
	s_waitcnt vmcnt(1)
	v_mul_f32_e32 v14, v11, v3
	v_mul_f32_e32 v15, v10, v3
	v_fma_f32 v10, v10, v2, -v14
	v_fmac_f32_e32 v15, v11, v2
	s_waitcnt vmcnt(0)
	v_add_f32_e32 v11, v10, v12
	v_add_f32_e32 v10, v15, v13
	global_store_dword v[6:7], v11, off offset:-4
.LBB130_15:                             ;   in Loop: Header=BB130_13 Depth=1
	s_andn2_saveexec_b64 s[0:1], s[0:1]
	s_cbranch_execz .LBB130_12
; %bb.16:                               ;   in Loop: Header=BB130_13 Depth=1
	ds_read2st64_b64 v[10:13], v1 offset1:1
	s_waitcnt lgkmcnt(0)
	v_mul_f32_e32 v16, v10, v2
	v_pk_mul_f32 v[14:15], v[10:11], v[4:5]
	v_fma_f32 v10, -v11, v4, v16
	v_add_f32_e32 v11, v15, v14
	v_add_f32_e32 v12, v10, v12
	;; [unrolled: 1-line block ×3, first 2 shown]
	global_store_dword v[6:7], v12, off offset:-4
	s_branch .LBB130_12
.LBB130_17:
	s_endpgm
	.section	.rodata,"a",@progbits
	.p2align	6, 0x0
	.amdhsa_kernel _ZN9rocsolver6v33100L20latrd_dot_scale_axpyILi64E19rocblas_complex_numIfEiPS3_EEvT1_T2_llPT0_llS8_l
		.amdhsa_group_segment_fixed_size 1032
		.amdhsa_private_segment_fixed_size 0
		.amdhsa_kernarg_size 72
		.amdhsa_user_sgpr_count 6
		.amdhsa_user_sgpr_private_segment_buffer 1
		.amdhsa_user_sgpr_dispatch_ptr 0
		.amdhsa_user_sgpr_queue_ptr 0
		.amdhsa_user_sgpr_kernarg_segment_ptr 1
		.amdhsa_user_sgpr_dispatch_id 0
		.amdhsa_user_sgpr_flat_scratch_init 0
		.amdhsa_user_sgpr_kernarg_preload_length 0
		.amdhsa_user_sgpr_kernarg_preload_offset 0
		.amdhsa_user_sgpr_private_segment_size 0
		.amdhsa_uses_dynamic_stack 0
		.amdhsa_system_sgpr_private_segment_wavefront_offset 0
		.amdhsa_system_sgpr_workgroup_id_x 1
		.amdhsa_system_sgpr_workgroup_id_y 0
		.amdhsa_system_sgpr_workgroup_id_z 1
		.amdhsa_system_sgpr_workgroup_info 0
		.amdhsa_system_vgpr_workitem_id 0
		.amdhsa_next_free_vgpr 18
		.amdhsa_next_free_sgpr 34
		.amdhsa_accum_offset 20
		.amdhsa_reserve_vcc 1
		.amdhsa_reserve_flat_scratch 0
		.amdhsa_float_round_mode_32 0
		.amdhsa_float_round_mode_16_64 0
		.amdhsa_float_denorm_mode_32 3
		.amdhsa_float_denorm_mode_16_64 3
		.amdhsa_dx10_clamp 1
		.amdhsa_ieee_mode 1
		.amdhsa_fp16_overflow 0
		.amdhsa_tg_split 0
		.amdhsa_exception_fp_ieee_invalid_op 0
		.amdhsa_exception_fp_denorm_src 0
		.amdhsa_exception_fp_ieee_div_zero 0
		.amdhsa_exception_fp_ieee_overflow 0
		.amdhsa_exception_fp_ieee_underflow 0
		.amdhsa_exception_fp_ieee_inexact 0
		.amdhsa_exception_int_div_zero 0
	.end_amdhsa_kernel
	.section	.text._ZN9rocsolver6v33100L20latrd_dot_scale_axpyILi64E19rocblas_complex_numIfEiPS3_EEvT1_T2_llPT0_llS8_l,"axG",@progbits,_ZN9rocsolver6v33100L20latrd_dot_scale_axpyILi64E19rocblas_complex_numIfEiPS3_EEvT1_T2_llPT0_llS8_l,comdat
.Lfunc_end130:
	.size	_ZN9rocsolver6v33100L20latrd_dot_scale_axpyILi64E19rocblas_complex_numIfEiPS3_EEvT1_T2_llPT0_llS8_l, .Lfunc_end130-_ZN9rocsolver6v33100L20latrd_dot_scale_axpyILi64E19rocblas_complex_numIfEiPS3_EEvT1_T2_llPT0_llS8_l
                                        ; -- End function
	.section	.AMDGPU.csdata,"",@progbits
; Kernel info:
; codeLenInByte = 1212
; NumSgprs: 38
; NumVgprs: 18
; NumAgprs: 0
; TotalNumVgprs: 18
; ScratchSize: 0
; MemoryBound: 0
; FloatMode: 240
; IeeeMode: 1
; LDSByteSize: 1032 bytes/workgroup (compile time only)
; SGPRBlocks: 4
; VGPRBlocks: 2
; NumSGPRsForWavesPerEU: 38
; NumVGPRsForWavesPerEU: 18
; AccumOffset: 20
; Occupancy: 8
; WaveLimiterHint : 0
; COMPUTE_PGM_RSRC2:SCRATCH_EN: 0
; COMPUTE_PGM_RSRC2:USER_SGPR: 6
; COMPUTE_PGM_RSRC2:TRAP_HANDLER: 0
; COMPUTE_PGM_RSRC2:TGID_X_EN: 1
; COMPUTE_PGM_RSRC2:TGID_Y_EN: 0
; COMPUTE_PGM_RSRC2:TGID_Z_EN: 1
; COMPUTE_PGM_RSRC2:TIDIG_COMP_CNT: 0
; COMPUTE_PGM_RSRC3_GFX90A:ACCUM_OFFSET: 4
; COMPUTE_PGM_RSRC3_GFX90A:TG_SPLIT: 0
	.section	.text._ZN9rocsolver6v33100L7set_tauI19rocblas_complex_numIfEEEviPT_S5_l,"axG",@progbits,_ZN9rocsolver6v33100L7set_tauI19rocblas_complex_numIfEEEviPT_S5_l,comdat
	.globl	_ZN9rocsolver6v33100L7set_tauI19rocblas_complex_numIfEEEviPT_S5_l ; -- Begin function _ZN9rocsolver6v33100L7set_tauI19rocblas_complex_numIfEEEviPT_S5_l
	.p2align	8
	.type	_ZN9rocsolver6v33100L7set_tauI19rocblas_complex_numIfEEEviPT_S5_l,@function
_ZN9rocsolver6v33100L7set_tauI19rocblas_complex_numIfEEEviPT_S5_l: ; @_ZN9rocsolver6v33100L7set_tauI19rocblas_complex_numIfEEEviPT_S5_l
; %bb.0:
	s_load_dword s0, s[4:5], 0x2c
	s_load_dword s1, s[4:5], 0x0
	s_waitcnt lgkmcnt(0)
	s_and_b32 s0, s0, 0xffff
	s_mul_i32 s6, s6, s0
	v_add_u32_e32 v0, s6, v0
	v_cmp_gt_i32_e32 vcc, s1, v0
	s_and_saveexec_b64 s[0:1], vcc
	s_cbranch_execz .LBB131_2
; %bb.1:
	s_load_dwordx4 s[0:3], s[4:5], 0x8
	s_load_dwordx2 s[6:7], s[4:5], 0x18
	v_ashrrev_i32_e32 v1, 31, v0
	v_lshlrev_b64 v[2:3], 3, v[0:1]
	s_waitcnt lgkmcnt(0)
	v_mov_b32_e32 v4, s1
	v_add_co_u32_e32 v2, vcc, s0, v2
	v_addc_co_u32_e32 v3, vcc, v4, v3, vcc
	global_load_dwordx2 v[2:3], v[2:3], off
	v_mul_lo_u32 v4, v0, s7
	v_mul_lo_u32 v5, v1, s6
	v_mad_u64_u32 v[0:1], s[0:1], v0, s6, 0
	v_add3_u32 v1, v1, v4, v5
	v_lshlrev_b64 v[0:1], 3, v[0:1]
	v_mov_b32_e32 v4, s3
	v_add_co_u32_e32 v0, vcc, s2, v0
	v_addc_co_u32_e32 v1, vcc, v4, v1, vcc
	s_waitcnt vmcnt(0)
	global_store_dwordx2 v[0:1], v[2:3], off
.LBB131_2:
	s_endpgm
	.section	.rodata,"a",@progbits
	.p2align	6, 0x0
	.amdhsa_kernel _ZN9rocsolver6v33100L7set_tauI19rocblas_complex_numIfEEEviPT_S5_l
		.amdhsa_group_segment_fixed_size 0
		.amdhsa_private_segment_fixed_size 0
		.amdhsa_kernarg_size 288
		.amdhsa_user_sgpr_count 6
		.amdhsa_user_sgpr_private_segment_buffer 1
		.amdhsa_user_sgpr_dispatch_ptr 0
		.amdhsa_user_sgpr_queue_ptr 0
		.amdhsa_user_sgpr_kernarg_segment_ptr 1
		.amdhsa_user_sgpr_dispatch_id 0
		.amdhsa_user_sgpr_flat_scratch_init 0
		.amdhsa_user_sgpr_kernarg_preload_length 0
		.amdhsa_user_sgpr_kernarg_preload_offset 0
		.amdhsa_user_sgpr_private_segment_size 0
		.amdhsa_uses_dynamic_stack 0
		.amdhsa_system_sgpr_private_segment_wavefront_offset 0
		.amdhsa_system_sgpr_workgroup_id_x 1
		.amdhsa_system_sgpr_workgroup_id_y 0
		.amdhsa_system_sgpr_workgroup_id_z 0
		.amdhsa_system_sgpr_workgroup_info 0
		.amdhsa_system_vgpr_workitem_id 0
		.amdhsa_next_free_vgpr 6
		.amdhsa_next_free_sgpr 8
		.amdhsa_accum_offset 8
		.amdhsa_reserve_vcc 1
		.amdhsa_reserve_flat_scratch 0
		.amdhsa_float_round_mode_32 0
		.amdhsa_float_round_mode_16_64 0
		.amdhsa_float_denorm_mode_32 3
		.amdhsa_float_denorm_mode_16_64 3
		.amdhsa_dx10_clamp 1
		.amdhsa_ieee_mode 1
		.amdhsa_fp16_overflow 0
		.amdhsa_tg_split 0
		.amdhsa_exception_fp_ieee_invalid_op 0
		.amdhsa_exception_fp_denorm_src 0
		.amdhsa_exception_fp_ieee_div_zero 0
		.amdhsa_exception_fp_ieee_overflow 0
		.amdhsa_exception_fp_ieee_underflow 0
		.amdhsa_exception_fp_ieee_inexact 0
		.amdhsa_exception_int_div_zero 0
	.end_amdhsa_kernel
	.section	.text._ZN9rocsolver6v33100L7set_tauI19rocblas_complex_numIfEEEviPT_S5_l,"axG",@progbits,_ZN9rocsolver6v33100L7set_tauI19rocblas_complex_numIfEEEviPT_S5_l,comdat
.Lfunc_end131:
	.size	_ZN9rocsolver6v33100L7set_tauI19rocblas_complex_numIfEEEviPT_S5_l, .Lfunc_end131-_ZN9rocsolver6v33100L7set_tauI19rocblas_complex_numIfEEEviPT_S5_l
                                        ; -- End function
	.section	.AMDGPU.csdata,"",@progbits
; Kernel info:
; codeLenInByte = 168
; NumSgprs: 12
; NumVgprs: 6
; NumAgprs: 0
; TotalNumVgprs: 6
; ScratchSize: 0
; MemoryBound: 0
; FloatMode: 240
; IeeeMode: 1
; LDSByteSize: 0 bytes/workgroup (compile time only)
; SGPRBlocks: 1
; VGPRBlocks: 0
; NumSGPRsForWavesPerEU: 12
; NumVGPRsForWavesPerEU: 6
; AccumOffset: 8
; Occupancy: 8
; WaveLimiterHint : 0
; COMPUTE_PGM_RSRC2:SCRATCH_EN: 0
; COMPUTE_PGM_RSRC2:USER_SGPR: 6
; COMPUTE_PGM_RSRC2:TRAP_HANDLER: 0
; COMPUTE_PGM_RSRC2:TGID_X_EN: 1
; COMPUTE_PGM_RSRC2:TGID_Y_EN: 0
; COMPUTE_PGM_RSRC2:TGID_Z_EN: 0
; COMPUTE_PGM_RSRC2:TIDIG_COMP_CNT: 0
; COMPUTE_PGM_RSRC3_GFX90A:ACCUM_OFFSET: 1
; COMPUTE_PGM_RSRC3_GFX90A:TG_SPLIT: 0
	.section	.text._ZN9rocsolver6v33100L24sytd2_upper_kernel_smallILi256E19rocblas_complex_numIfEifPS3_EEvT1_T3_lS5_lPT2_lS8_lPT0_l,"axG",@progbits,_ZN9rocsolver6v33100L24sytd2_upper_kernel_smallILi256E19rocblas_complex_numIfEifPS3_EEvT1_T3_lS5_lPT2_lS8_lPT0_l,comdat
	.globl	_ZN9rocsolver6v33100L24sytd2_upper_kernel_smallILi256E19rocblas_complex_numIfEifPS3_EEvT1_T3_lS5_lPT2_lS8_lPT0_l ; -- Begin function _ZN9rocsolver6v33100L24sytd2_upper_kernel_smallILi256E19rocblas_complex_numIfEifPS3_EEvT1_T3_lS5_lPT2_lS8_lPT0_l
	.p2align	8
	.type	_ZN9rocsolver6v33100L24sytd2_upper_kernel_smallILi256E19rocblas_complex_numIfEifPS3_EEvT1_T3_lS5_lPT2_lS8_lPT0_l,@function
_ZN9rocsolver6v33100L24sytd2_upper_kernel_smallILi256E19rocblas_complex_numIfEifPS3_EEvT1_T3_lS5_lPT2_lS8_lPT0_l: ; @_ZN9rocsolver6v33100L24sytd2_upper_kernel_smallILi256E19rocblas_complex_numIfEifPS3_EEvT1_T3_lS5_lPT2_lS8_lPT0_l
; %bb.0:
	s_load_dwordx2 s[8:9], s[4:5], 0x20
	s_load_dword s26, s[4:5], 0x0
	s_load_dwordx4 s[0:3], s[4:5], 0x8
	s_load_dword s29, s[4:5], 0x18
	s_ashr_i32 s6, s7, 31
	s_waitcnt lgkmcnt(0)
	s_mul_i32 s9, s7, s9
	s_mul_hi_u32 s10, s7, s8
	s_add_i32 s9, s10, s9
	s_mul_i32 s10, s6, s8
	s_add_i32 s9, s9, s10
	s_mul_i32 s8, s7, s8
	s_lshl_b64 s[8:9], s[8:9], 3
	s_add_u32 s8, s0, s8
	s_addc_u32 s9, s1, s9
	s_lshl_b64 s[0:1], s[2:3], 3
	s_add_u32 s27, s8, s0
	v_and_b32_e32 v2, 0x7f, v0
	s_addc_u32 s28, s9, s1
	v_cmp_gt_i32_e64 s[0:1], s26, v2
	v_lshrrev_b32_e32 v3, 7, v0
	v_lshlrev_b32_e32 v10, 3, v2
	s_and_saveexec_b64 s[8:9], s[0:1]
	s_cbranch_execz .LBB132_6
; %bb.1:
	v_lshrrev_b32_e32 v1, 7, v0
	v_mul_lo_u32 v4, s26, v1
	v_lshl_add_u32 v4, v4, 3, v10
	v_add3_u32 v8, v4, 0, 8
	v_mad_u64_u32 v[4:5], s[2:3], s29, v1, v[2:3]
	v_cmp_gt_u32_e32 vcc, s26, v1
	s_lshl_b32 s16, s26, 4
	s_lshl_b32 s17, s29, 1
	s_mov_b64 s[10:11], 0
	v_mov_b32_e32 v5, v2
	s_branch .LBB132_3
.LBB132_2:                              ;   in Loop: Header=BB132_3 Depth=1
	s_or_b64 exec, exec, s[12:13]
	v_add_u32_e32 v5, 0x80, v5
	v_cmp_le_i32_e64 s[2:3], s26, v5
	v_add_u32_e32 v8, 0x400, v8
	s_or_b64 s[10:11], s[2:3], s[10:11]
	v_add_u32_e32 v4, 0x80, v4
	s_andn2_b64 exec, exec, s[10:11]
	s_cbranch_execz .LBB132_6
.LBB132_3:                              ; =>This Loop Header: Depth=1
                                        ;     Child Loop BB132_5 Depth 2
	s_and_saveexec_b64 s[12:13], vcc
	s_cbranch_execz .LBB132_2
; %bb.4:                                ;   in Loop: Header=BB132_3 Depth=1
	s_mov_b64 s[14:15], 0
	v_mov_b32_e32 v6, v4
	v_mov_b32_e32 v9, v8
	;; [unrolled: 1-line block ×3, first 2 shown]
.LBB132_5:                              ;   Parent Loop BB132_3 Depth=1
                                        ; =>  This Inner Loop Header: Depth=2
	v_ashrrev_i32_e32 v7, 31, v6
	v_lshlrev_b64 v[12:13], 3, v[6:7]
	v_mov_b32_e32 v14, s28
	v_add_co_u32_e64 v12, s[2:3], s27, v12
	v_addc_co_u32_e64 v13, s[2:3], v14, v13, s[2:3]
	global_load_dwordx2 v[12:13], v[12:13], off
	v_add_u32_e32 v11, 2, v11
	v_cmp_le_i32_e64 s[2:3], s26, v11
	v_add_u32_e32 v6, s17, v6
	s_or_b64 s[14:15], s[2:3], s[14:15]
	s_waitcnt vmcnt(0)
	ds_write_b64 v9, v[12:13]
	v_add_u32_e32 v9, s16, v9
	s_andn2_b64 exec, exec, s[14:15]
	s_cbranch_execnz .LBB132_5
	s_branch .LBB132_2
.LBB132_6:
	s_or_b64 exec, exec, s[8:9]
	s_waitcnt lgkmcnt(0)
	s_barrier
	s_and_saveexec_b64 s[8:9], s[0:1]
	s_cbranch_execz .LBB132_16
; %bb.7:
	v_lshrrev_b32_e32 v1, 7, v0
	v_mul_lo_u32 v4, s26, v2
	v_lshlrev_b32_e32 v5, 3, v1
	v_lshl_add_u32 v4, v4, 3, v5
	v_mul_lo_u32 v5, s26, v1
	v_lshl_add_u32 v5, v5, 3, v10
	v_cmp_gt_u32_e32 vcc, s26, v1
	v_add3_u32 v4, v4, 0, 8
	s_lshl_b32 s18, s26, 10
	v_add3_u32 v5, v5, 0, 8
	s_lshl_b32 s19, s26, 4
	s_mov_b64 s[10:11], 0
	v_mov_b32_e32 v6, 0
	v_mov_b32_e32 v7, v2
	s_branch .LBB132_9
.LBB132_8:                              ;   in Loop: Header=BB132_9 Depth=1
	s_or_b64 exec, exec, s[12:13]
	v_add_u32_e32 v7, 0x80, v7
	v_cmp_le_i32_e64 s[2:3], s26, v7
	v_add_u32_e32 v4, s18, v4
	s_or_b64 s[10:11], s[2:3], s[10:11]
	v_add_u32_e32 v5, 0x400, v5
	s_andn2_b64 exec, exec, s[10:11]
	s_cbranch_execz .LBB132_16
.LBB132_9:                              ; =>This Loop Header: Depth=1
                                        ;     Child Loop BB132_12 Depth 2
	s_and_saveexec_b64 s[12:13], vcc
	s_cbranch_execz .LBB132_8
; %bb.10:                               ;   in Loop: Header=BB132_9 Depth=1
	v_mul_lo_u32 v9, v7, s26
	v_lshl_add_u32 v8, v7, 3, 0
	v_lshlrev_b32_e32 v9, 3, v9
	v_add3_u32 v8, v8, v9, 4
	s_mov_b64 s[14:15], 0
	v_mov_b32_e32 v9, v5
	v_mov_b32_e32 v11, v4
	;; [unrolled: 1-line block ×3, first 2 shown]
	s_branch .LBB132_12
.LBB132_11:                             ;   in Loop: Header=BB132_12 Depth=2
	s_or_b64 exec, exec, s[16:17]
	v_add_u32_e32 v12, 2, v12
	v_cmp_le_i32_e64 s[2:3], s26, v12
	v_add_u32_e32 v11, 16, v11
	s_or_b64 s[14:15], s[2:3], s[14:15]
	v_add_u32_e32 v9, s19, v9
	s_andn2_b64 exec, exec, s[14:15]
	s_cbranch_execz .LBB132_8
.LBB132_12:                             ;   Parent Loop BB132_9 Depth=1
                                        ; =>  This Inner Loop Header: Depth=2
	v_cmp_eq_u32_e64 s[2:3], v7, v12
	s_and_saveexec_b64 s[16:17], s[2:3]
	s_cbranch_execz .LBB132_14
; %bb.13:                               ;   in Loop: Header=BB132_12 Depth=2
	ds_write_b32 v8, v6 offset:8
.LBB132_14:                             ;   in Loop: Header=BB132_12 Depth=2
	s_or_b64 exec, exec, s[16:17]
	v_cmp_gt_u32_e64 s[2:3], v7, v12
	s_and_saveexec_b64 s[16:17], s[2:3]
	s_cbranch_execz .LBB132_11
; %bb.15:                               ;   in Loop: Header=BB132_12 Depth=2
	ds_read_b64 v[14:15], v11
	s_waitcnt lgkmcnt(0)
	v_xor_b32_e32 v15, 0x80000000, v15
	ds_write_b64 v9, v[14:15]
	s_branch .LBB132_11
.LBB132_16:
	s_or_b64 exec, exec, s[8:9]
	s_cmp_lt_i32 s26, 2
	s_waitcnt lgkmcnt(0)
	s_barrier
	s_cbranch_scc1 .LBB132_68
; %bb.17:
	s_load_dwordx8 s[8:15], s[4:5], 0x38
	v_mbcnt_lo_u32_b32 v1, -1, 0
	v_mbcnt_hi_u32_b32 v4, -1, v1
	v_and_b32_e32 v5, 63, v4
	v_cmp_ne_u32_e32 vcc, 63, v5
	s_waitcnt lgkmcnt(0)
	s_mul_i32 s3, s7, s11
	s_mul_hi_u32 s4, s7, s10
	s_mul_i32 s5, s6, s10
	s_add_i32 s3, s4, s3
	s_mul_i32 s2, s7, s10
	s_add_i32 s3, s3, s5
	s_lshl_b64 s[2:3], s[2:3], 2
	s_mul_i32 s10, s7, s15
	s_add_u32 s30, s8, s2
	s_mul_hi_u32 s2, s7, s14
	s_addc_u32 s31, s9, s3
	s_add_i32 s2, s2, s10
	s_mul_i32 s3, s6, s14
	v_addc_co_u32_e32 v1, vcc, 0, v4, vcc
	s_add_i32 s3, s2, s3
	s_mul_i32 s2, s7, s14
	v_cmp_gt_u32_e32 vcc, 62, v5
	s_lshl_b64 s[2:3], s[2:3], 3
	v_cndmask_b32_e64 v6, 0, 1, vcc
	s_add_u32 s33, s12, s2
	s_mul_i32 s2, s26, s26
	v_lshlrev_b32_e32 v6, 1, v6
	v_cmp_gt_u32_e32 vcc, 60, v5
	s_addc_u32 s34, s13, s3
	s_lshl_b32 s2, s2, 3
	v_add_lshl_u32 v11, v6, v4, 2
	v_cndmask_b32_e64 v6, 0, 1, vcc
	s_add_i32 s2, s2, 0
	s_lshl_b32 s36, s26, 3
	v_lshlrev_b32_e32 v6, 2, v6
	v_cmp_gt_u32_e32 vcc, 56, v5
	s_add_i32 s38, s2, s36
	v_add_lshl_u32 v12, v6, v4, 2
	v_cndmask_b32_e64 v6, 0, 1, vcc
	s_add_i32 s35, s2, 8
	s_add_i32 s37, s38, s36
	v_lshlrev_b32_e32 v6, 3, v6
	v_cmp_gt_u32_e32 vcc, 48, v5
	v_add_lshl_u32 v13, v6, v4, 2
	v_cndmask_b32_e64 v6, 0, 1, vcc
	v_cmp_gt_u32_e32 vcc, 32, v5
	s_cmp_lg_u64 s[8:9], 0
	v_cndmask_b32_e64 v5, 0, 1, vcc
	s_cselect_b64 s[14:15], -1, 0
	s_add_i32 s6, s26, -1
	v_lshlrev_b32_e32 v5, 5, v5
	s_mul_i32 s6, s26, s6
	v_add_lshl_u32 v15, v5, v4, 2
	v_lshlrev_b32_e32 v5, 3, v0
	s_lshl_b32 s6, s6, 3
	v_add_u32_e32 v16, s35, v5
	s_add_i32 s6, s6, 0
	v_add_u32_e32 v5, 8, v5
	v_lshlrev_b32_e32 v6, 4, v6
	v_add_u32_e32 v17, s6, v5
	s_add_i32 s6, s36, 8
	v_add_lshl_u32 v14, v6, v4, 2
	v_and_b32_e32 v4, 63, v0
	s_mul_i32 s6, s26, s6
	v_cmp_eq_u32_e64 s[2:3], 0, v4
	v_lshrrev_b32_e32 v4, 3, v0
	s_add_i32 s6, s6, 0
	s_mov_b32 s13, 0
	v_lshlrev_b32_e32 v1, 2, v1
	v_cmp_eq_u32_e64 s[4:5], 0, v0
	s_add_i32 s38, s38, 8
	s_sub_i32 s39, 0, s36
	v_add_u32_e32 v18, 0, v5
	v_add_u32_e32 v19, s6, v5
	;; [unrolled: 1-line block ×3, first 2 shown]
	v_mov_b32_e32 v4, 0
	v_mov_b32_e32 v21, 1.0
	s_mov_b32 s40, 0xf800000
	v_mov_b32_e32 v22, 0x260
	s_mov_b32 s41, s26
	s_branch .LBB132_19
.LBB132_18:                             ;   in Loop: Header=BB132_19 Depth=1
	s_or_b64 exec, exec, s[8:9]
	v_add_u32_e32 v17, s39, v17
	s_cmp_lt_i32 s41, 3
	s_mov_b32 s41, s42
	s_waitcnt lgkmcnt(0)
	s_barrier
	s_cbranch_scc1 .LBB132_68
.LBB132_19:                             ; =>This Loop Header: Depth=1
                                        ;     Child Loop BB132_21 Depth 2
                                        ;     Child Loop BB132_24 Depth 2
	;; [unrolled: 1-line block ×4, first 2 shown]
                                        ;       Child Loop BB132_47 Depth 3
                                        ;     Child Loop BB132_50 Depth 2
                                        ;     Child Loop BB132_53 Depth 2
	;; [unrolled: 1-line block ×4, first 2 shown]
                                        ;       Child Loop BB132_65 Depth 3
	s_add_i32 s42, s41, -1
	v_cmp_gt_i32_e64 s[6:7], s42, v0
	s_and_saveexec_b64 s[8:9], s[6:7]
	s_cbranch_execz .LBB132_22
; %bb.20:                               ;   in Loop: Header=BB132_19 Depth=1
	s_mov_b64 s[10:11], 0
	v_mov_b32_e32 v5, v17
	v_mov_b32_e32 v6, v16
	;; [unrolled: 1-line block ×3, first 2 shown]
.LBB132_21:                             ;   Parent Loop BB132_19 Depth=1
                                        ; =>  This Inner Loop Header: Depth=2
	ds_read_b64 v[8:9], v5
	v_add_u32_e32 v7, 0x100, v7
	v_cmp_le_i32_e32 vcc, s42, v7
	v_add_u32_e32 v5, 0x800, v5
	s_or_b64 s[10:11], vcc, s[10:11]
	s_waitcnt lgkmcnt(0)
	ds_write_b64 v6, v[8:9]
	v_add_u32_e32 v6, 0x800, v6
	s_andn2_b64 exec, exec, s[10:11]
	s_cbranch_execnz .LBB132_21
.LBB132_22:                             ;   in Loop: Header=BB132_19 Depth=1
	s_or_b64 exec, exec, s[8:9]
	s_add_i32 s12, s41, -2
	v_cmp_gt_i32_e64 s[8:9], s12, v0
	v_mov_b32_e32 v5, 0
	v_mov_b32_e32 v6, 0
	s_waitcnt lgkmcnt(0)
	s_barrier
	s_and_saveexec_b64 s[10:11], s[8:9]
	s_cbranch_execz .LBB132_26
; %bb.23:                               ;   in Loop: Header=BB132_19 Depth=1
	s_mov_b64 s[16:17], 0
	v_mov_b32_e32 v5, 0
	v_mov_b32_e32 v7, v16
	;; [unrolled: 1-line block ×4, first 2 shown]
.LBB132_24:                             ;   Parent Loop BB132_19 Depth=1
                                        ; =>  This Inner Loop Header: Depth=2
	ds_read_b64 v[24:25], v7
	v_add_u32_e32 v8, 0x100, v8
	v_cmp_le_i32_e32 vcc, s12, v8
	v_add_u32_e32 v7, 0x800, v7
	s_or_b64 s[16:17], vcc, s[16:17]
	s_waitcnt lgkmcnt(0)
	v_mul_f32_e32 v9, v25, v25
	v_mul_f32_e32 v23, v25, v24
	v_fmac_f32_e32 v9, v24, v24
	v_fma_f32 v23, v24, v25, -v23
	v_add_f32_e32 v6, v6, v9
	v_add_f32_e32 v5, v5, v23
	s_andn2_b64 exec, exec, s[16:17]
	s_cbranch_execnz .LBB132_24
; %bb.25:                               ;   in Loop: Header=BB132_19 Depth=1
	s_or_b64 exec, exec, s[16:17]
.LBB132_26:                             ;   in Loop: Header=BB132_19 Depth=1
	s_or_b64 exec, exec, s[10:11]
	ds_bpermute_b32 v7, v1, v6
	ds_bpermute_b32 v8, v1, v5
	s_waitcnt lgkmcnt(1)
	v_add_f32_e32 v6, v6, v7
	s_waitcnt lgkmcnt(0)
	v_add_f32_e32 v5, v5, v8
	ds_bpermute_b32 v7, v11, v6
	ds_bpermute_b32 v8, v11, v5
	s_waitcnt lgkmcnt(1)
	v_add_f32_e32 v6, v6, v7
	s_waitcnt lgkmcnt(0)
	v_add_f32_e32 v5, v5, v8
	;; [unrolled: 6-line block ×5, first 2 shown]
	ds_bpermute_b32 v5, v15, v9
	ds_bpermute_b32 v7, v15, v6
	s_waitcnt lgkmcnt(1)
	v_add_f32_e32 v5, v9, v5
	s_and_saveexec_b64 s[10:11], s[2:3]
	s_cbranch_execz .LBB132_28
; %bb.27:                               ;   in Loop: Header=BB132_19 Depth=1
	s_waitcnt lgkmcnt(0)
	v_add_f32_e32 v6, v6, v7
	ds_write2_b32 v20, v5, v6 offset0:2 offset1:3
.LBB132_28:                             ;   in Loop: Header=BB132_19 Depth=1
	s_or_b64 exec, exec, s[10:11]
	s_waitcnt lgkmcnt(0)
	s_barrier
	s_and_saveexec_b64 s[16:17], s[4:5]
	s_cbranch_execz .LBB132_41
; %bb.29:                               ;   in Loop: Header=BB132_19 Depth=1
	v_mov_b32_e32 v8, s37
	ds_read2_b32 v[6:7], v8 offset0:4 offset1:6
	s_lshl_b32 s10, s12, 3
	s_add_i32 s43, s35, s10
	v_mov_b32_e32 v9, s43
	ds_read_b32 v8, v8 offset:32
	s_waitcnt lgkmcnt(1)
	v_add_f32_e32 v5, v5, v6
	v_add_f32_e32 v6, v5, v7
	ds_read_b32 v5, v9 offset:4
	s_lshl_b64 s[10:11], s[12:13], 2
	s_waitcnt lgkmcnt(1)
	v_add_f32_e32 v7, v6, v8
	s_add_u32 s22, s30, s10
	s_addc_u32 s23, s31, s11
	s_waitcnt lgkmcnt(0)
	v_mul_f32_e32 v6, v5, v5
	v_max_f32_e32 v8, v7, v6
	v_cmp_nlt_f32_e32 vcc, 0, v8
	s_mov_b64 s[20:21], 0
                                        ; implicit-def: $sgpr47
                                        ; implicit-def: $sgpr46
                                        ; implicit-def: $sgpr44
                                        ; implicit-def: $sgpr45
                                        ; implicit-def: $sgpr18_sgpr19
	s_and_saveexec_b64 s[10:11], vcc
	s_xor_b64 s[10:11], exec, s[10:11]
	s_cbranch_execz .LBB132_33
; %bb.30:                               ;   in Loop: Header=BB132_19 Depth=1
	v_mov_b32_e32 v5, v4
	s_mov_b64 s[18:19], 0
	s_and_b64 vcc, exec, s[14:15]
	ds_write_b64 v4, v[4:5]
                                        ; implicit-def: $sgpr47
                                        ; implicit-def: $sgpr46
	s_cbranch_vccz .LBB132_32
; %bb.31:                               ;   in Loop: Header=BB132_19 Depth=1
	v_mov_b32_e32 v5, s43
	ds_read_b32 v6, v5
	s_mov_b64 s[20:21], -1
	s_mov_b32 s46, 1.0
	s_mov_b32 s47, 0
	ds_write_b32 v5, v21
	s_waitcnt lgkmcnt(1)
	global_store_dword v4, v6, s[22:23]
.LBB132_32:                             ;   in Loop: Header=BB132_19 Depth=1
	s_mov_b32 s45, 1.0
	s_mov_b32 s44, 0
	s_and_b64 s[20:21], s[20:21], exec
                                        ; implicit-def: $vgpr6
                                        ; implicit-def: $vgpr7
                                        ; implicit-def: $vgpr5
.LBB132_33:                             ;   in Loop: Header=BB132_19 Depth=1
	s_or_saveexec_b64 s[24:25], s[10:11]
	v_mov_b32_e32 v24, s47
	v_mov_b32_e32 v23, s46
	s_xor_b64 exec, exec, s[24:25]
	s_cbranch_execz .LBB132_38
; %bb.34:                               ;   in Loop: Header=BB132_19 Depth=1
	v_mov_b32_e32 v8, s43
	ds_read_b32 v8, v8
	s_waitcnt lgkmcnt(0)
	v_fma_f32 v9, v8, v8, v6
	v_add_f32_e32 v7, v7, v9
	v_mul_f32_e32 v9, 0x4f800000, v7
	v_cmp_gt_f32_e32 vcc, s40, v7
	v_cndmask_b32_e32 v7, v7, v9, vcc
	v_sqrt_f32_e32 v9, v7
	v_add_u32_e32 v23, -1, v9
	v_add_u32_e32 v24, 1, v9
	v_fma_f32 v25, -v23, v9, v7
	v_fma_f32 v26, -v24, v9, v7
	v_cmp_ge_f32_e64 s[10:11], 0, v25
	v_cndmask_b32_e64 v9, v9, v23, s[10:11]
	v_cmp_lt_f32_e64 s[10:11], 0, v26
	v_cndmask_b32_e64 v9, v9, v24, s[10:11]
	v_mul_f32_e32 v23, 0x37800000, v9
	v_cndmask_b32_e32 v9, v9, v23, vcc
	v_cmp_class_f32_e32 vcc, v7, v22
	v_cndmask_b32_e32 v7, v9, v7, vcc
	v_cmp_le_f32_e32 vcc, 0, v8
	v_cndmask_b32_e64 v7, v7, -v7, vcc
	v_sub_f32_e32 v9, v8, v7
	v_fmac_f32_e32 v6, v9, v9
	v_div_scale_f32 v23, s[10:11], v6, v6, v9
	v_rcp_f32_e32 v24, v23
	v_div_scale_f32 v25, vcc, v9, v6, v9
	v_sub_f32_e32 v8, v7, v8
	v_fma_f32 v26, -v23, v24, 1.0
	v_fmac_f32_e32 v24, v26, v24
	v_mul_f32_e32 v26, v25, v24
	v_fma_f32 v27, -v23, v26, v25
	v_fmac_f32_e32 v26, v27, v24
	v_fma_f32 v23, -v23, v26, v25
	v_div_scale_f32 v25, s[10:11], v6, v6, -v5
	v_rcp_f32_e32 v27, v25
	v_div_fmas_f32 v23, v23, v24, v26
	v_div_fixup_f32 v23, v23, v6, v9
	v_fma_f32 v9, -v25, v27, 1.0
	v_fmac_f32_e32 v27, v9, v27
	v_div_scale_f32 v9, vcc, -v5, v6, -v5
	v_mul_f32_e32 v24, v9, v27
	v_fma_f32 v26, -v25, v24, v9
	v_fmac_f32_e32 v24, v26, v27
	v_fma_f32 v9, -v25, v24, v9
	v_div_scale_f32 v25, s[10:11], v7, v7, v8
	v_rcp_f32_e32 v26, v25
	v_div_fmas_f32 v9, v9, v27, v24
	v_div_fixup_f32 v24, v9, v6, -v5
	v_fma_f32 v6, -v25, v26, 1.0
	v_fmac_f32_e32 v26, v6, v26
	v_div_scale_f32 v6, vcc, v8, v7, v8
	v_mul_f32_e32 v9, v6, v26
	v_fma_f32 v27, -v25, v9, v6
	v_fmac_f32_e32 v9, v27, v26
	v_fma_f32 v6, -v25, v9, v6
	v_div_scale_f32 v25, s[10:11], v7, v7, -v5
	v_rcp_f32_e32 v27, v25
	v_div_fmas_f32 v6, v6, v26, v9
	v_div_fixup_f32 v8, v6, v7, v8
	v_fma_f32 v6, -v25, v27, 1.0
	v_fmac_f32_e32 v27, v6, v27
	v_div_scale_f32 v6, vcc, -v5, v7, -v5
	v_mul_f32_e32 v9, v6, v27
	v_fma_f32 v26, -v25, v9, v6
	v_fmac_f32_e32 v9, v26, v27
	v_fma_f32 v6, -v25, v9, v6
	v_div_fmas_f32 v6, v6, v27, v9
	v_div_fixup_f32 v9, v6, v7, -v5
	s_and_b64 vcc, exec, s[14:15]
	ds_write_b64 v4, v[8:9]
	s_cbranch_vccz .LBB132_67
; %bb.35:                               ;   in Loop: Header=BB132_19 Depth=1
	v_mov_b32_e32 v5, s43
	global_store_dword v4, v7, s[22:23]
	ds_write_b32 v5, v21
	s_cbranch_execnz .LBB132_37
.LBB132_36:                             ;   in Loop: Header=BB132_19 Depth=1
	v_mov_b32_e32 v5, s43
	ds_write_b32 v5, v7
.LBB132_37:                             ;   in Loop: Header=BB132_19 Depth=1
	s_or_b64 s[20:21], s[20:21], exec
.LBB132_38:                             ;   in Loop: Header=BB132_19 Depth=1
	s_or_b64 exec, exec, s[24:25]
	v_pk_mov_b32 v[8:9], s[18:19], s[18:19] op_sel:[0,1]
	v_mov_b32_e32 v6, s45
	v_mov_b32_e32 v7, s44
	s_and_saveexec_b64 s[10:11], s[20:21]
	s_cbranch_execz .LBB132_40
; %bb.39:                               ;   in Loop: Header=BB132_19 Depth=1
	v_mov_b32_e32 v5, s43
	ds_write_b32 v5, v4 offset:4
	ds_read_b64 v[8:9], v4
	v_mov_b32_e32 v6, v23
	v_mov_b32_e32 v7, v24
.LBB132_40:                             ;   in Loop: Header=BB132_19 Depth=1
	s_or_b64 exec, exec, s[10:11]
	s_lshl_b64 s[10:11], s[12:13], 3
	s_add_u32 s10, s33, s10
	s_addc_u32 s11, s34, s11
	v_mov_b32_e32 v5, s37
	s_waitcnt lgkmcnt(0)
	global_store_dwordx2 v4, v[8:9], s[10:11]
	ds_write_b64 v5, v[6:7] offset:8
.LBB132_41:                             ;   in Loop: Header=BB132_19 Depth=1
	s_or_b64 exec, exec, s[16:17]
	s_waitcnt lgkmcnt(0)
	s_barrier
	s_and_saveexec_b64 s[10:11], s[8:9]
	s_cbranch_execz .LBB132_44
; %bb.42:                               ;   in Loop: Header=BB132_19 Depth=1
	s_mov_b64 s[8:9], 0
	v_mov_b32_e32 v5, v16
	v_mov_b32_e32 v6, v0
.LBB132_43:                             ;   Parent Loop BB132_19 Depth=1
                                        ; =>  This Inner Loop Header: Depth=2
	v_mov_b32_e32 v7, s37
	ds_read_b64 v[8:9], v5
	ds_read_b64 v[24:25], v7 offset:8
	v_add_u32_e32 v6, 0x100, v6
	v_cmp_le_i32_e32 vcc, s12, v6
	s_or_b64 s[8:9], vcc, s[8:9]
	s_waitcnt lgkmcnt(0)
	v_mul_f32_e32 v7, v25, v9
	v_mul_f32_e32 v27, v24, v9
	v_fma_f32 v26, v24, v8, -v7
	v_fmac_f32_e32 v27, v25, v8
	ds_write_b64 v5, v[26:27]
	v_add_u32_e32 v5, 0x800, v5
	s_andn2_b64 exec, exec, s[8:9]
	s_cbranch_execnz .LBB132_43
.LBB132_44:                             ;   in Loop: Header=BB132_19 Depth=1
	s_or_b64 exec, exec, s[10:11]
	s_waitcnt lgkmcnt(0)
	s_barrier
	s_and_saveexec_b64 s[8:9], s[6:7]
	s_cbranch_execz .LBB132_51
; %bb.45:                               ;   in Loop: Header=BB132_19 Depth=1
	s_mov_b64 s[10:11], 0
	v_mov_b32_e32 v5, v18
	v_mov_b32_e32 v6, v0
.LBB132_46:                             ;   Parent Loop BB132_19 Depth=1
                                        ; =>  This Loop Header: Depth=2
                                        ;       Child Loop BB132_47 Depth 3
	s_mov_b32 s12, 0
	v_mov_b32_e32 v7, 0
	v_mov_b32_e32 v9, v5
	s_mov_b32 s16, s35
	v_mov_b32_e32 v8, 0
.LBB132_47:                             ;   Parent Loop BB132_19 Depth=1
                                        ;     Parent Loop BB132_46 Depth=2
                                        ; =>    This Inner Loop Header: Depth=3
	v_mov_b32_e32 v23, s16
	ds_read_b64 v[24:25], v9
	ds_read_b64 v[26:27], v23
	s_add_i32 s12, s12, 1
	s_add_i32 s16, s16, 8
	v_add_u32_e32 v9, s36, v9
	s_cmp_ge_i32 s12, s42
	s_waitcnt lgkmcnt(0)
	v_mul_f32_e32 v23, v27, v25
	v_mul_f32_e32 v25, v26, v25
	v_fma_f32 v23, v26, v24, -v23
	v_fmac_f32_e32 v25, v27, v24
	v_add_f32_e32 v8, v8, v23
	v_add_f32_e32 v7, v7, v25
	s_cbranch_scc0 .LBB132_47
; %bb.48:                               ;   in Loop: Header=BB132_46 Depth=2
	ds_read_b64 v[24:25], v4
	v_lshl_add_u32 v23, v6, 3, s38
	v_add_u32_e32 v6, 0x100, v6
	v_cmp_le_i32_e32 vcc, s42, v6
	s_or_b64 s[10:11], vcc, s[10:11]
	s_waitcnt lgkmcnt(0)
	v_mul_f32_e32 v26, v7, v25
	v_mul_f32_e32 v9, v8, v25
	v_fma_f32 v8, v8, v24, -v26
	v_fmac_f32_e32 v9, v7, v24
	v_add_u32_e32 v5, 0x800, v5
	ds_write_b64 v23, v[8:9]
	s_andn2_b64 exec, exec, s[10:11]
	s_cbranch_execnz .LBB132_46
; %bb.49:                               ;   in Loop: Header=BB132_19 Depth=1
	s_or_b64 exec, exec, s[10:11]
	s_mov_b32 s12, 0
	s_mov_b64 s[10:11], 0
	v_mov_b32_e32 v5, v0
.LBB132_50:                             ;   Parent Loop BB132_19 Depth=1
                                        ; =>  This Inner Loop Header: Depth=2
	v_add_u32_e32 v6, s12, v16
	ds_read_b64 v[6:7], v6
	v_add_u32_e32 v5, 0x100, v5
	v_add_u32_e32 v8, s12, v17
	s_addk_i32 s12, 0x800
	v_cmp_le_i32_e32 vcc, s42, v5
	s_or_b64 s[10:11], vcc, s[10:11]
	s_waitcnt lgkmcnt(0)
	ds_write_b64 v8, v[6:7]
	s_andn2_b64 exec, exec, s[10:11]
	s_cbranch_execnz .LBB132_50
.LBB132_51:                             ;   in Loop: Header=BB132_19 Depth=1
	s_or_b64 exec, exec, s[8:9]
	v_mov_b32_e32 v7, 0
	v_mov_b32_e32 v6, 0
	s_waitcnt lgkmcnt(0)
	s_barrier
	s_and_saveexec_b64 s[8:9], s[6:7]
	s_cbranch_execz .LBB132_55
; %bb.52:                               ;   in Loop: Header=BB132_19 Depth=1
	v_mov_b32_e32 v7, 0
	s_mov_b64 s[10:11], 0
	v_mov_b32_e32 v5, v16
	v_mov_b32_e32 v8, v19
	;; [unrolled: 1-line block ×4, first 2 shown]
.LBB132_53:                             ;   Parent Loop BB132_19 Depth=1
                                        ; =>  This Inner Loop Header: Depth=2
	ds_read_b64 v[24:25], v8
	ds_read_b64 v[26:27], v5
	v_add_u32_e32 v9, 0x100, v9
	v_cmp_le_i32_e32 vcc, s42, v9
	v_add_u32_e32 v8, 0x800, v8
	v_add_u32_e32 v5, 0x800, v5
	s_waitcnt lgkmcnt(0)
	v_mul_f32_e32 v23, v25, v27
	v_mul_f32_e32 v25, v25, v26
	v_fmac_f32_e32 v23, v24, v26
	v_fma_f32 v24, v24, v27, -v25
	s_or_b64 s[10:11], vcc, s[10:11]
	v_add_f32_e32 v6, v6, v23
	v_add_f32_e32 v7, v7, v24
	s_andn2_b64 exec, exec, s[10:11]
	s_cbranch_execnz .LBB132_53
; %bb.54:                               ;   in Loop: Header=BB132_19 Depth=1
	s_or_b64 exec, exec, s[10:11]
.LBB132_55:                             ;   in Loop: Header=BB132_19 Depth=1
	s_or_b64 exec, exec, s[8:9]
	ds_bpermute_b32 v8, v1, v6
	ds_bpermute_b32 v9, v1, v7
	s_waitcnt lgkmcnt(0)
	v_pk_add_f32 v[6:7], v[6:7], v[8:9]
	ds_bpermute_b32 v8, v11, v6
	ds_bpermute_b32 v9, v11, v7
	s_waitcnt lgkmcnt(0)
	v_pk_add_f32 v[6:7], v[6:7], v[8:9]
	;; [unrolled: 4-line block ×6, first 2 shown]
	s_and_saveexec_b64 s[8:9], s[2:3]
	s_cbranch_execz .LBB132_57
; %bb.56:                               ;   in Loop: Header=BB132_19 Depth=1
	ds_write2_b32 v20, v6, v7 offset0:2 offset1:3
.LBB132_57:                             ;   in Loop: Header=BB132_19 Depth=1
	s_or_b64 exec, exec, s[8:9]
	s_waitcnt lgkmcnt(0)
	s_barrier
	s_and_saveexec_b64 s[8:9], s[4:5]
	s_cbranch_execz .LBB132_59
; %bb.58:                               ;   in Loop: Header=BB132_19 Depth=1
	v_mov_b32_e32 v5, s37
	ds_read_b64 v[8:9], v4
	ds_read2_b64 v[24:27], v5 offset0:2 offset1:3
	ds_read_b64 v[28:29], v5 offset:32
	s_waitcnt lgkmcnt(1)
	v_pk_add_f32 v[6:7], v[6:7], v[24:25]
	v_pk_add_f32 v[6:7], v[6:7], v[26:27]
	v_mul_f32_e32 v30, -0.5, v9
	s_waitcnt lgkmcnt(0)
	v_pk_add_f32 v[6:7], v[6:7], v[28:29]
	v_mul_f32_e32 v8, -0.5, v8
	v_pk_mul_f32 v[24:25], v[6:7], v[30:31] op_sel_hi:[1,0]
	v_pk_fma_f32 v[26:27], v[6:7], v[8:9], v[24:25] op_sel:[0,0,1] op_sel_hi:[1,1,0] neg_lo:[0,0,1] neg_hi:[0,0,1]
	v_pk_fma_f32 v[6:7], v[6:7], v[8:9], v[24:25] op_sel:[0,0,1] op_sel_hi:[1,0,0]
	v_mov_b32_e32 v27, v7
	ds_write_b64 v5, v[26:27] offset:8
.LBB132_59:                             ;   in Loop: Header=BB132_19 Depth=1
	s_or_b64 exec, exec, s[8:9]
	s_waitcnt lgkmcnt(0)
	s_barrier
	s_and_saveexec_b64 s[8:9], s[6:7]
	s_cbranch_execz .LBB132_62
; %bb.60:                               ;   in Loop: Header=BB132_19 Depth=1
	s_mov_b64 s[10:11], 0
	v_mov_b32_e32 v5, v16
	v_mov_b32_e32 v6, v19
	;; [unrolled: 1-line block ×3, first 2 shown]
.LBB132_61:                             ;   Parent Loop BB132_19 Depth=1
                                        ; =>  This Inner Loop Header: Depth=2
	v_mov_b32_e32 v23, s37
	ds_read_b64 v[8:9], v5
	ds_read_b64 v[24:25], v6
	ds_read_b64 v[26:27], v23 offset:8
	v_add_u32_e32 v7, 0x100, v7
	v_cmp_le_i32_e32 vcc, s42, v7
	v_add_u32_e32 v5, 0x800, v5
	s_or_b64 s[10:11], vcc, s[10:11]
	s_waitcnt lgkmcnt(0)
	v_pk_mul_f32 v[28:29], v[8:9], v[26:27] op_sel:[0,1]
	v_pk_fma_f32 v[30:31], v[8:9], v[26:27], v[28:29] op_sel:[0,0,1] op_sel_hi:[1,1,0] neg_lo:[0,0,1] neg_hi:[0,0,1]
	v_pk_fma_f32 v[8:9], v[8:9], v[26:27], v[28:29] op_sel:[0,0,1] op_sel_hi:[1,0,0]
	v_mov_b32_e32 v31, v9
	v_pk_add_f32 v[8:9], v[24:25], v[30:31]
	ds_write_b64 v6, v[8:9]
	v_add_u32_e32 v6, 0x800, v6
	s_andn2_b64 exec, exec, s[10:11]
	s_cbranch_execnz .LBB132_61
.LBB132_62:                             ;   in Loop: Header=BB132_19 Depth=1
	s_or_b64 exec, exec, s[8:9]
	s_waitcnt lgkmcnt(0)
	s_barrier
	s_and_saveexec_b64 s[8:9], s[6:7]
	s_cbranch_execz .LBB132_18
; %bb.63:                               ;   in Loop: Header=BB132_19 Depth=1
	s_mov_b64 s[6:7], 0
	v_mov_b32_e32 v5, v18
	v_mov_b32_e32 v6, v0
.LBB132_64:                             ;   Parent Loop BB132_19 Depth=1
                                        ; =>  This Loop Header: Depth=2
                                        ;       Child Loop BB132_65 Depth 3
	v_lshlrev_b32_e32 v8, 3, v6
	v_add_u32_e32 v7, s35, v8
	v_add_u32_e32 v8, s38, v8
	s_mov_b32 s10, 0
	v_mov_b32_e32 v9, v5
	s_mov_b32 s11, s38
	s_mov_b32 s12, s35
.LBB132_65:                             ;   Parent Loop BB132_19 Depth=1
                                        ;     Parent Loop BB132_64 Depth=2
                                        ; =>    This Inner Loop Header: Depth=3
	v_mov_b32_e32 v23, s11
	v_mov_b32_e32 v32, s12
	ds_read_b64 v[24:25], v9
	ds_read_b64 v[26:27], v7
	;; [unrolled: 1-line block ×5, first 2 shown]
	s_add_i32 s10, s10, 1
	s_add_i32 s12, s12, 8
	;; [unrolled: 1-line block ×3, first 2 shown]
	s_waitcnt lgkmcnt(1)
	v_pk_mul_f32 v[34:35], v[30:31], v[26:27] op_sel:[0,1]
	s_waitcnt lgkmcnt(0)
	v_pk_mul_f32 v[36:37], v[32:33], v[28:29] op_sel:[0,1]
	v_pk_fma_f32 v[38:39], v[30:31], v[26:27], v[34:35] op_sel:[0,0,1] op_sel_hi:[1,1,0]
	v_pk_fma_f32 v[26:27], v[30:31], v[26:27], v[34:35] op_sel:[0,0,1] op_sel_hi:[1,0,0] neg_lo:[1,0,0] neg_hi:[1,0,0]
	v_pk_fma_f32 v[30:31], v[32:33], v[28:29], v[36:37] op_sel:[0,0,1] op_sel_hi:[1,1,0]
	v_pk_fma_f32 v[28:29], v[32:33], v[28:29], v[36:37] op_sel:[0,0,1] op_sel_hi:[1,0,0] neg_lo:[1,0,0] neg_hi:[1,0,0]
	v_mov_b32_e32 v39, v27
	v_mov_b32_e32 v31, v29
	v_pk_add_f32 v[24:25], v[24:25], v[38:39] neg_lo:[0,1] neg_hi:[0,1]
	v_pk_add_f32 v[24:25], v[24:25], v[30:31] neg_lo:[0,1] neg_hi:[0,1]
	s_cmp_ge_i32 s10, s42
	ds_write_b64 v9, v[24:25]
	v_add_u32_e32 v9, s36, v9
	s_cbranch_scc0 .LBB132_65
; %bb.66:                               ;   in Loop: Header=BB132_64 Depth=2
	v_add_u32_e32 v6, 0x100, v6
	v_cmp_le_i32_e32 vcc, s42, v6
	s_or_b64 s[6:7], vcc, s[6:7]
	v_add_u32_e32 v5, 0x800, v5
	s_andn2_b64 exec, exec, s[6:7]
	s_cbranch_execnz .LBB132_64
	s_branch .LBB132_18
.LBB132_67:                             ;   in Loop: Header=BB132_19 Depth=1
	s_branch .LBB132_36
.LBB132_68:
	s_and_saveexec_b64 s[2:3], s[0:1]
	s_cbranch_execz .LBB132_76
; %bb.69:
	v_mad_u64_u32 v[0:1], s[0:1], s29, v3, v[2:3]
	v_mul_lo_u32 v1, s26, v3
	v_lshl_add_u32 v1, v1, 3, v10
	v_cmp_gt_u32_e32 vcc, s26, v3
	s_lshl_b32 s10, s29, 1
	v_add3_u32 v1, v1, 0, 8
	s_lshl_b32 s11, s26, 4
	s_mov_b64 s[2:3], 0
	s_branch .LBB132_71
.LBB132_70:                             ;   in Loop: Header=BB132_71 Depth=1
	s_or_b64 exec, exec, s[4:5]
	v_add_u32_e32 v2, 0x80, v2
	v_cmp_le_i32_e64 s[0:1], s26, v2
	v_add_u32_e32 v0, 0x80, v0
	s_or_b64 s[2:3], s[0:1], s[2:3]
	v_add_u32_e32 v1, 0x400, v1
	s_andn2_b64 exec, exec, s[2:3]
	s_cbranch_execz .LBB132_76
.LBB132_71:                             ; =>This Loop Header: Depth=1
                                        ;     Child Loop BB132_74 Depth 2
	s_and_saveexec_b64 s[4:5], vcc
	s_cbranch_execz .LBB132_70
; %bb.72:                               ;   in Loop: Header=BB132_71 Depth=1
	s_mov_b64 s[6:7], 0
	v_mov_b32_e32 v6, v1
	v_mov_b32_e32 v4, v0
	v_mov_b32_e32 v7, v3
	s_branch .LBB132_74
.LBB132_73:                             ;   in Loop: Header=BB132_74 Depth=2
	s_or_b64 exec, exec, s[8:9]
	v_add_u32_e32 v7, 2, v7
	v_cmp_le_i32_e64 s[0:1], s26, v7
	v_add_u32_e32 v4, s10, v4
	s_or_b64 s[6:7], s[0:1], s[6:7]
	v_add_u32_e32 v6, s11, v6
	s_andn2_b64 exec, exec, s[6:7]
	s_cbranch_execz .LBB132_70
.LBB132_74:                             ;   Parent Loop BB132_71 Depth=1
                                        ; =>  This Inner Loop Header: Depth=2
	v_cmp_le_u32_e64 s[0:1], v2, v7
	s_and_saveexec_b64 s[8:9], s[0:1]
	s_cbranch_execz .LBB132_73
; %bb.75:                               ;   in Loop: Header=BB132_74 Depth=2
	ds_read_b64 v[10:11], v6
	v_ashrrev_i32_e32 v5, 31, v4
	v_lshlrev_b64 v[8:9], 3, v[4:5]
	v_mov_b32_e32 v5, s28
	v_add_co_u32_e64 v8, s[0:1], s27, v8
	v_addc_co_u32_e64 v9, s[0:1], v5, v9, s[0:1]
	s_waitcnt lgkmcnt(0)
	global_store_dwordx2 v[8:9], v[10:11], off
	s_branch .LBB132_73
.LBB132_76:
	s_endpgm
	.section	.rodata,"a",@progbits
	.p2align	6, 0x0
	.amdhsa_kernel _ZN9rocsolver6v33100L24sytd2_upper_kernel_smallILi256E19rocblas_complex_numIfEifPS3_EEvT1_T3_lS5_lPT2_lS8_lPT0_l
		.amdhsa_group_segment_fixed_size 0
		.amdhsa_private_segment_fixed_size 0
		.amdhsa_kernarg_size 88
		.amdhsa_user_sgpr_count 6
		.amdhsa_user_sgpr_private_segment_buffer 1
		.amdhsa_user_sgpr_dispatch_ptr 0
		.amdhsa_user_sgpr_queue_ptr 0
		.amdhsa_user_sgpr_kernarg_segment_ptr 1
		.amdhsa_user_sgpr_dispatch_id 0
		.amdhsa_user_sgpr_flat_scratch_init 0
		.amdhsa_user_sgpr_kernarg_preload_length 0
		.amdhsa_user_sgpr_kernarg_preload_offset 0
		.amdhsa_user_sgpr_private_segment_size 0
		.amdhsa_uses_dynamic_stack 0
		.amdhsa_system_sgpr_private_segment_wavefront_offset 0
		.amdhsa_system_sgpr_workgroup_id_x 1
		.amdhsa_system_sgpr_workgroup_id_y 0
		.amdhsa_system_sgpr_workgroup_id_z 1
		.amdhsa_system_sgpr_workgroup_info 0
		.amdhsa_system_vgpr_workitem_id 0
		.amdhsa_next_free_vgpr 40
		.amdhsa_next_free_sgpr 48
		.amdhsa_accum_offset 40
		.amdhsa_reserve_vcc 1
		.amdhsa_reserve_flat_scratch 0
		.amdhsa_float_round_mode_32 0
		.amdhsa_float_round_mode_16_64 0
		.amdhsa_float_denorm_mode_32 3
		.amdhsa_float_denorm_mode_16_64 3
		.amdhsa_dx10_clamp 1
		.amdhsa_ieee_mode 1
		.amdhsa_fp16_overflow 0
		.amdhsa_tg_split 0
		.amdhsa_exception_fp_ieee_invalid_op 0
		.amdhsa_exception_fp_denorm_src 0
		.amdhsa_exception_fp_ieee_div_zero 0
		.amdhsa_exception_fp_ieee_overflow 0
		.amdhsa_exception_fp_ieee_underflow 0
		.amdhsa_exception_fp_ieee_inexact 0
		.amdhsa_exception_int_div_zero 0
	.end_amdhsa_kernel
	.section	.text._ZN9rocsolver6v33100L24sytd2_upper_kernel_smallILi256E19rocblas_complex_numIfEifPS3_EEvT1_T3_lS5_lPT2_lS8_lPT0_l,"axG",@progbits,_ZN9rocsolver6v33100L24sytd2_upper_kernel_smallILi256E19rocblas_complex_numIfEifPS3_EEvT1_T3_lS5_lPT2_lS8_lPT0_l,comdat
.Lfunc_end132:
	.size	_ZN9rocsolver6v33100L24sytd2_upper_kernel_smallILi256E19rocblas_complex_numIfEifPS3_EEvT1_T3_lS5_lPT2_lS8_lPT0_l, .Lfunc_end132-_ZN9rocsolver6v33100L24sytd2_upper_kernel_smallILi256E19rocblas_complex_numIfEifPS3_EEvT1_T3_lS5_lPT2_lS8_lPT0_l
                                        ; -- End function
	.section	.AMDGPU.csdata,"",@progbits
; Kernel info:
; codeLenInByte = 3864
; NumSgprs: 52
; NumVgprs: 40
; NumAgprs: 0
; TotalNumVgprs: 40
; ScratchSize: 0
; MemoryBound: 0
; FloatMode: 240
; IeeeMode: 1
; LDSByteSize: 0 bytes/workgroup (compile time only)
; SGPRBlocks: 6
; VGPRBlocks: 4
; NumSGPRsForWavesPerEU: 52
; NumVGPRsForWavesPerEU: 40
; AccumOffset: 40
; Occupancy: 8
; WaveLimiterHint : 0
; COMPUTE_PGM_RSRC2:SCRATCH_EN: 0
; COMPUTE_PGM_RSRC2:USER_SGPR: 6
; COMPUTE_PGM_RSRC2:TRAP_HANDLER: 0
; COMPUTE_PGM_RSRC2:TGID_X_EN: 1
; COMPUTE_PGM_RSRC2:TGID_Y_EN: 0
; COMPUTE_PGM_RSRC2:TGID_Z_EN: 1
; COMPUTE_PGM_RSRC2:TIDIG_COMP_CNT: 0
; COMPUTE_PGM_RSRC3_GFX90A:ACCUM_OFFSET: 9
; COMPUTE_PGM_RSRC3_GFX90A:TG_SPLIT: 0
	.section	.text._ZN9rocsolver6v33100L8copy_matI19rocblas_complex_numIfEPS3_NS0_7no_maskEEEvNS0_17copymat_directionEiiT0_iilPT_T1_13rocblas_fill_17rocblas_diagonal_,"axG",@progbits,_ZN9rocsolver6v33100L8copy_matI19rocblas_complex_numIfEPS3_NS0_7no_maskEEEvNS0_17copymat_directionEiiT0_iilPT_T1_13rocblas_fill_17rocblas_diagonal_,comdat
	.globl	_ZN9rocsolver6v33100L8copy_matI19rocblas_complex_numIfEPS3_NS0_7no_maskEEEvNS0_17copymat_directionEiiT0_iilPT_T1_13rocblas_fill_17rocblas_diagonal_ ; -- Begin function _ZN9rocsolver6v33100L8copy_matI19rocblas_complex_numIfEPS3_NS0_7no_maskEEEvNS0_17copymat_directionEiiT0_iilPT_T1_13rocblas_fill_17rocblas_diagonal_
	.p2align	8
	.type	_ZN9rocsolver6v33100L8copy_matI19rocblas_complex_numIfEPS3_NS0_7no_maskEEEvNS0_17copymat_directionEiiT0_iilPT_T1_13rocblas_fill_17rocblas_diagonal_,@function
_ZN9rocsolver6v33100L8copy_matI19rocblas_complex_numIfEPS3_NS0_7no_maskEEEvNS0_17copymat_directionEiiT0_iilPT_T1_13rocblas_fill_17rocblas_diagonal_: ; @_ZN9rocsolver6v33100L8copy_matI19rocblas_complex_numIfEPS3_NS0_7no_maskEEEvNS0_17copymat_directionEiiT0_iilPT_T1_13rocblas_fill_17rocblas_diagonal_
; %bb.0:
	s_load_dword s0, s[4:5], 0x4c
	s_load_dwordx4 s[12:15], s[4:5], 0x0
	v_bfe_u32 v1, v0, 10, 10
	v_and_b32_e32 v0, 0x3ff, v0
	s_waitcnt lgkmcnt(0)
	s_lshr_b32 s1, s0, 16
	s_and_b32 s0, s0, 0xffff
	s_mul_i32 s7, s7, s1
	s_mul_i32 s6, s6, s0
	v_add_u32_e32 v1, s7, v1
	v_add_u32_e32 v0, s6, v0
	v_cmp_gt_u32_e32 vcc, s13, v0
	v_cmp_gt_u32_e64 s[0:1], s14, v1
	s_and_b64 s[0:1], s[0:1], vcc
	s_and_saveexec_b64 s[2:3], s[0:1]
	s_cbranch_execz .LBB133_14
; %bb.1:
	s_load_dwordx2 s[2:3], s[4:5], 0x34
	s_waitcnt lgkmcnt(0)
	s_cmpk_lt_i32 s2, 0x7a
	s_cbranch_scc1 .LBB133_4
; %bb.2:
	s_cmpk_gt_i32 s2, 0x7a
	s_cbranch_scc0 .LBB133_5
; %bb.3:
	s_cmpk_lg_i32 s2, 0x7b
	s_mov_b64 s[6:7], -1
	s_cselect_b64 s[10:11], -1, 0
	s_cbranch_execz .LBB133_6
	s_branch .LBB133_7
.LBB133_4:
	s_mov_b64 s[10:11], 0
	s_mov_b64 s[6:7], 0
	s_cbranch_execnz .LBB133_8
	s_branch .LBB133_10
.LBB133_5:
	s_mov_b64 s[6:7], 0
	s_mov_b64 s[10:11], 0
.LBB133_6:
	v_cmp_gt_u32_e32 vcc, v0, v1
	v_cmp_le_u32_e64 s[0:1], v0, v1
	s_andn2_b64 s[6:7], s[6:7], exec
	s_and_b64 s[16:17], vcc, exec
	s_andn2_b64 s[10:11], s[10:11], exec
	s_and_b64 s[0:1], s[0:1], exec
	s_or_b64 s[6:7], s[6:7], s[16:17]
	s_or_b64 s[10:11], s[10:11], s[0:1]
.LBB133_7:
	s_branch .LBB133_10
.LBB133_8:
	s_cmpk_eq_i32 s2, 0x79
	s_mov_b64 s[10:11], -1
	s_cbranch_scc0 .LBB133_10
; %bb.9:
	v_cmp_gt_u32_e32 vcc, v1, v0
	v_cmp_le_u32_e64 s[0:1], v1, v0
	s_andn2_b64 s[6:7], s[6:7], exec
	s_and_b64 s[10:11], vcc, exec
	s_or_b64 s[6:7], s[6:7], s[10:11]
	s_orn2_b64 s[10:11], s[0:1], exec
.LBB133_10:
	s_and_saveexec_b64 s[0:1], s[10:11]
; %bb.11:
	s_cmpk_eq_i32 s3, 0x83
	s_cselect_b64 s[2:3], -1, 0
	v_cmp_eq_u32_e32 vcc, v0, v1
	s_and_b64 s[2:3], s[2:3], vcc
	s_andn2_b64 s[6:7], s[6:7], exec
	s_and_b64 s[2:3], s[2:3], exec
	s_or_b64 s[6:7], s[6:7], s[2:3]
; %bb.12:
	s_or_b64 exec, exec, s[0:1]
	s_and_b64 exec, exec, s[6:7]
	s_cbranch_execz .LBB133_14
; %bb.13:
	s_load_dwordx8 s[0:7], s[4:5], 0x10
	s_ashr_i32 s9, s13, 31
	s_ashr_i32 s15, s14, 31
	s_mul_i32 s9, s9, s8
	s_waitcnt lgkmcnt(0)
	s_ashr_i32 s11, s2, 31
	s_mov_b32 s10, s2
	s_mul_i32 s2, s8, s5
	s_mul_hi_u32 s5, s8, s4
	s_add_i32 s5, s5, s2
	s_mul_i32 s4, s8, s4
	s_lshl_b64 s[4:5], s[4:5], 3
	s_add_u32 s2, s0, s4
	s_addc_u32 s4, s1, s5
	s_lshl_b64 s[0:1], s[10:11], 3
	s_add_u32 s2, s2, s0
	s_mul_hi_u32 s0, s13, s8
	s_mul_i32 s5, s13, s8
	s_addc_u32 s4, s4, s1
	s_add_i32 s0, s0, s9
	s_mul_i32 s1, s5, s15
	s_mul_hi_u32 s8, s5, s14
	s_add_i32 s1, s8, s1
	s_mul_i32 s0, s0, s14
	s_add_i32 s1, s1, s0
	s_mul_i32 s0, s5, s14
	s_lshl_b64 s[0:1], s[0:1], 3
	s_add_u32 s5, s6, s0
	s_addc_u32 s6, s7, s1
	s_cmp_eq_u32 s12, 0
	s_cselect_b32 s0, s3, s13
	v_mad_u64_u32 v[2:3], s[0:1], v1, s0, v[0:1]
	v_mov_b32_e32 v3, 0
	s_cselect_b32 s7, s4, s6
	s_cselect_b32 s8, s2, s5
	v_lshlrev_b64 v[4:5], 3, v[2:3]
	v_mov_b32_e32 v2, s7
	v_add_co_u32_e32 v4, vcc, s8, v4
	v_addc_co_u32_e32 v5, vcc, v2, v5, vcc
	global_load_dwordx2 v[4:5], v[4:5], off
	s_cselect_b32 s0, s13, s3
	v_mad_u64_u32 v[0:1], s[0:1], v1, s0, v[0:1]
	v_mov_b32_e32 v1, v3
	s_cselect_b32 s3, s6, s4
	s_cselect_b32 s2, s5, s2
	v_lshlrev_b64 v[0:1], 3, v[0:1]
	v_mov_b32_e32 v2, s3
	v_add_co_u32_e32 v0, vcc, s2, v0
	v_addc_co_u32_e32 v1, vcc, v2, v1, vcc
	s_waitcnt vmcnt(0)
	global_store_dwordx2 v[0:1], v[4:5], off
.LBB133_14:
	s_endpgm
	.section	.rodata,"a",@progbits
	.p2align	6, 0x0
	.amdhsa_kernel _ZN9rocsolver6v33100L8copy_matI19rocblas_complex_numIfEPS3_NS0_7no_maskEEEvNS0_17copymat_directionEiiT0_iilPT_T1_13rocblas_fill_17rocblas_diagonal_
		.amdhsa_group_segment_fixed_size 0
		.amdhsa_private_segment_fixed_size 0
		.amdhsa_kernarg_size 320
		.amdhsa_user_sgpr_count 6
		.amdhsa_user_sgpr_private_segment_buffer 1
		.amdhsa_user_sgpr_dispatch_ptr 0
		.amdhsa_user_sgpr_queue_ptr 0
		.amdhsa_user_sgpr_kernarg_segment_ptr 1
		.amdhsa_user_sgpr_dispatch_id 0
		.amdhsa_user_sgpr_flat_scratch_init 0
		.amdhsa_user_sgpr_kernarg_preload_length 0
		.amdhsa_user_sgpr_kernarg_preload_offset 0
		.amdhsa_user_sgpr_private_segment_size 0
		.amdhsa_uses_dynamic_stack 0
		.amdhsa_system_sgpr_private_segment_wavefront_offset 0
		.amdhsa_system_sgpr_workgroup_id_x 1
		.amdhsa_system_sgpr_workgroup_id_y 1
		.amdhsa_system_sgpr_workgroup_id_z 1
		.amdhsa_system_sgpr_workgroup_info 0
		.amdhsa_system_vgpr_workitem_id 1
		.amdhsa_next_free_vgpr 6
		.amdhsa_next_free_sgpr 18
		.amdhsa_accum_offset 8
		.amdhsa_reserve_vcc 1
		.amdhsa_reserve_flat_scratch 0
		.amdhsa_float_round_mode_32 0
		.amdhsa_float_round_mode_16_64 0
		.amdhsa_float_denorm_mode_32 3
		.amdhsa_float_denorm_mode_16_64 3
		.amdhsa_dx10_clamp 1
		.amdhsa_ieee_mode 1
		.amdhsa_fp16_overflow 0
		.amdhsa_tg_split 0
		.amdhsa_exception_fp_ieee_invalid_op 0
		.amdhsa_exception_fp_denorm_src 0
		.amdhsa_exception_fp_ieee_div_zero 0
		.amdhsa_exception_fp_ieee_overflow 0
		.amdhsa_exception_fp_ieee_underflow 0
		.amdhsa_exception_fp_ieee_inexact 0
		.amdhsa_exception_int_div_zero 0
	.end_amdhsa_kernel
	.section	.text._ZN9rocsolver6v33100L8copy_matI19rocblas_complex_numIfEPS3_NS0_7no_maskEEEvNS0_17copymat_directionEiiT0_iilPT_T1_13rocblas_fill_17rocblas_diagonal_,"axG",@progbits,_ZN9rocsolver6v33100L8copy_matI19rocblas_complex_numIfEPS3_NS0_7no_maskEEEvNS0_17copymat_directionEiiT0_iilPT_T1_13rocblas_fill_17rocblas_diagonal_,comdat
.Lfunc_end133:
	.size	_ZN9rocsolver6v33100L8copy_matI19rocblas_complex_numIfEPS3_NS0_7no_maskEEEvNS0_17copymat_directionEiiT0_iilPT_T1_13rocblas_fill_17rocblas_diagonal_, .Lfunc_end133-_ZN9rocsolver6v33100L8copy_matI19rocblas_complex_numIfEPS3_NS0_7no_maskEEEvNS0_17copymat_directionEiiT0_iilPT_T1_13rocblas_fill_17rocblas_diagonal_
                                        ; -- End function
	.section	.AMDGPU.csdata,"",@progbits
; Kernel info:
; codeLenInByte = 520
; NumSgprs: 22
; NumVgprs: 6
; NumAgprs: 0
; TotalNumVgprs: 6
; ScratchSize: 0
; MemoryBound: 0
; FloatMode: 240
; IeeeMode: 1
; LDSByteSize: 0 bytes/workgroup (compile time only)
; SGPRBlocks: 2
; VGPRBlocks: 0
; NumSGPRsForWavesPerEU: 22
; NumVGPRsForWavesPerEU: 6
; AccumOffset: 8
; Occupancy: 8
; WaveLimiterHint : 0
; COMPUTE_PGM_RSRC2:SCRATCH_EN: 0
; COMPUTE_PGM_RSRC2:USER_SGPR: 6
; COMPUTE_PGM_RSRC2:TRAP_HANDLER: 0
; COMPUTE_PGM_RSRC2:TGID_X_EN: 1
; COMPUTE_PGM_RSRC2:TGID_Y_EN: 1
; COMPUTE_PGM_RSRC2:TGID_Z_EN: 1
; COMPUTE_PGM_RSRC2:TIDIG_COMP_CNT: 1
; COMPUTE_PGM_RSRC3_GFX90A:ACCUM_OFFSET: 1
; COMPUTE_PGM_RSRC3_GFX90A:TG_SPLIT: 0
	.section	.text._ZN9rocsolver6v33100L26latrd_lower_updateA_kernelI19rocblas_complex_numIfEPS3_EEviiT0_iilPT_iil,"axG",@progbits,_ZN9rocsolver6v33100L26latrd_lower_updateA_kernelI19rocblas_complex_numIfEPS3_EEviiT0_iilPT_iil,comdat
	.globl	_ZN9rocsolver6v33100L26latrd_lower_updateA_kernelI19rocblas_complex_numIfEPS3_EEviiT0_iilPT_iil ; -- Begin function _ZN9rocsolver6v33100L26latrd_lower_updateA_kernelI19rocblas_complex_numIfEPS3_EEviiT0_iilPT_iil
	.p2align	8
	.type	_ZN9rocsolver6v33100L26latrd_lower_updateA_kernelI19rocblas_complex_numIfEPS3_EEviiT0_iilPT_iil,@function
_ZN9rocsolver6v33100L26latrd_lower_updateA_kernelI19rocblas_complex_numIfEPS3_EEviiT0_iilPT_iil: ; @_ZN9rocsolver6v33100L26latrd_lower_updateA_kernelI19rocblas_complex_numIfEPS3_EEviiT0_iilPT_iil
; %bb.0:
	s_load_dword s0, s[4:5], 0x44
	s_load_dwordx2 s[24:25], s[4:5], 0x38
	s_load_dwordx2 s[10:11], s[4:5], 0x0
	s_mov_b32 s26, 0
	s_waitcnt lgkmcnt(0)
	s_and_b32 s28, s0, 0xffff
	v_cvt_f32_u32_e32 v1, s28
	s_sub_i32 s2, 0, s28
	s_sub_i32 s10, s10, s11
	s_add_i32 s1, s10, -1
	v_rcp_iflag_f32_e32 v1, v1
	s_ashr_i32 s3, s1, 31
	s_abs_i32 s1, s1
	v_mul_f32_e32 v1, 0x4f7ffffe, v1
	v_cvt_u32_f32_e32 v1, v1
	v_readfirstlane_b32 s9, v1
	s_mul_i32 s2, s2, s9
	s_mul_hi_u32 s2, s9, s2
	s_add_i32 s9, s9, s2
	s_mul_hi_u32 s2, s1, s9
	s_mul_i32 s9, s2, s28
	s_sub_i32 s1, s1, s9
	s_add_i32 s12, s2, 1
	s_sub_i32 s9, s1, s28
	s_cmp_ge_u32 s1, s28
	s_cselect_b32 s2, s12, s2
	s_cselect_b32 s1, s9, s1
	s_add_i32 s9, s2, 1
	s_cmp_ge_u32 s1, s28
	s_cselect_b32 s1, s9, s2
	s_abs_i32 s2, s24
	v_cvt_f32_u32_e32 v1, s2
	s_sub_i32 s9, 0, s2
	s_xor_b32 s1, s1, s3
	s_sub_i32 s1, s1, s3
	v_rcp_iflag_f32_e32 v1, v1
	s_xor_b32 s3, s1, s24
	s_abs_i32 s1, s1
	s_ashr_i32 s3, s3, 31
	v_mul_f32_e32 v1, 0x4f7ffffe, v1
	v_cvt_u32_f32_e32 v1, v1
	v_readfirstlane_b32 s12, v1
	s_mul_i32 s9, s9, s12
	s_mul_hi_u32 s9, s12, s9
	s_add_i32 s12, s12, s9
	s_mul_hi_u32 s9, s1, s12
	s_mul_i32 s12, s9, s2
	s_sub_i32 s1, s1, s12
	s_add_i32 s13, s9, 1
	s_sub_i32 s12, s1, s2
	s_cmp_ge_u32 s1, s2
	s_cselect_b32 s9, s13, s9
	s_cselect_b32 s1, s12, s1
	s_add_i32 s12, s9, 1
	s_cmp_ge_u32 s1, s2
	s_cselect_b32 s1, s12, s9
	s_xor_b32 s1, s1, s3
	s_sub_i32 s29, s1, s3
	s_cmp_lt_i32 s29, 0
	s_cbranch_scc1 .LBB134_20
; %bb.1:
	s_load_dwordx8 s[12:19], s[4:5], 0x8
	s_load_dwordx4 s[20:23], s[4:5], 0x28
	s_ashr_i32 s4, s8, 31
	s_lshr_b32 s30, s0, 16
	v_and_b32_e32 v12, 0x3ff, v0
	s_waitcnt lgkmcnt(0)
	s_mul_i32 s2, s8, s17
	s_mul_hi_u32 s3, s8, s16
	s_add_i32 s2, s3, s2
	s_mul_i32 s3, s4, s16
	s_add_i32 s3, s2, s3
	s_mul_i32 s2, s8, s16
	s_ashr_i32 s1, s14, 31
	s_lshl_b64 s[2:3], s[2:3], 3
	s_mov_b32 s0, s14
	s_add_u32 s2, s12, s2
	s_addc_u32 s3, s13, s3
	s_lshl_b64 s[0:1], s[0:1], 3
	s_add_u32 s5, s2, s0
	s_addc_u32 s9, s3, s1
	s_mul_i32 s2, s8, s23
	s_mul_hi_u32 s3, s8, s22
	s_add_i32 s2, s3, s2
	s_mul_i32 s4, s4, s22
	s_add_i32 s3, s2, s4
	s_mul_i32 s2, s8, s22
	s_ashr_i32 s1, s20, 31
	s_lshl_b64 s[2:3], s[2:3], 3
	s_mov_b32 s0, s20
	s_add_u32 s2, s18, s2
	v_bfe_u32 v13, v0, 10, 10
	s_addc_u32 s3, s19, s3
	s_lshl_b64 s[0:1], s[0:1], 3
	v_cvt_f32_u32_e32 v0, s30
	s_add_u32 s4, s2, s0
	s_addc_u32 s8, s3, s1
	s_ashr_i32 s1, s11, 31
	s_ashr_i32 s2, s15, 31
	s_add_u32 s12, s15, 1
	s_addc_u32 s2, s2, 0
	s_mul_i32 s3, s12, s1
	s_mul_hi_u32 s13, s12, s11
	v_rcp_iflag_f32_e32 v0, v0
	s_add_i32 s3, s13, s3
	s_mul_i32 s2, s2, s11
	s_add_i32 s3, s3, s2
	s_mul_i32 s2, s12, s11
	s_lshl_b64 s[2:3], s[2:3], 3
	s_mov_b32 s0, s11
	s_add_u32 s18, s5, s2
	v_mul_f32_e32 v0, 0x4f7ffffe, v0
	s_addc_u32 s19, s9, s3
	s_lshl_b64 s[0:1], s[0:1], 3
	v_cvt_u32_f32_e32 v0, v0
	s_add_u32 s20, s5, s0
	s_addc_u32 s22, s9, s1
	s_add_u32 s23, s4, s0
	s_addc_u32 s31, s8, s1
	s_sub_i32 s2, 0, s30
	v_readfirstlane_b32 s3, v0
	s_mul_i32 s2, s2, s3
	s_add_i32 s0, s11, -1
	s_mul_hi_u32 s2, s3, s2
	s_ashr_i32 s1, s0, 31
	s_abs_i32 s0, s0
	s_add_i32 s3, s3, s2
	s_mul_hi_u32 s2, s0, s3
	s_mul_i32 s3, s2, s30
	s_sub_i32 s0, s0, s3
	s_add_i32 s3, s2, 1
	s_sub_i32 s4, s0, s30
	s_cmp_ge_u32 s0, s30
	s_cselect_b32 s2, s3, s2
	s_cselect_b32 s0, s4, s0
	s_add_i32 s3, s2, 1
	s_cmp_ge_u32 s0, s30
	s_cselect_b32 s0, s3, s2
	s_abs_i32 s2, s25
	v_cvt_f32_u32_e32 v0, s2
	s_sub_i32 s3, 0, s2
	s_xor_b32 s0, s0, s1
	s_sub_i32 s0, s0, s1
	v_rcp_iflag_f32_e32 v0, v0
	s_xor_b32 s1, s0, s25
	s_abs_i32 s0, s0
	s_ashr_i32 s1, s1, 31
	v_mul_f32_e32 v0, 0x4f7ffffe, v0
	v_cvt_u32_f32_e32 v0, v0
	s_mul_i32 s7, s7, s30
	v_add_u32_e32 v14, s7, v13
	s_mul_i32 s33, s25, s30
	v_readfirstlane_b32 s4, v0
	s_mul_i32 s3, s3, s4
	s_mul_hi_u32 s3, s4, s3
	s_add_i32 s4, s4, s3
	s_mul_hi_u32 s3, s0, s4
	s_mul_i32 s4, s3, s2
	s_sub_i32 s0, s0, s4
	s_add_i32 s4, s3, 1
	s_sub_i32 s5, s0, s2
	s_cmp_ge_u32 s0, s2
	s_cselect_b32 s3, s4, s3
	s_cselect_b32 s0, s5, s0
	s_add_i32 s4, s3, 1
	s_cmp_ge_u32 s0, s2
	s_cselect_b32 s0, s4, s3
	s_xor_b32 s0, s0, s1
	s_sub_i32 s7, s0, s1
	s_cmp_gt_i32 s7, -1
	v_mul_u32_u24_e32 v0, s28, v13
	v_lshl_add_u32 v15, v12, 3, 0
	s_mul_i32 s4, s6, s28
	v_cmp_eq_u32_e64 s[0:1], 0, v14
	v_lshl_add_u32 v16, v0, 3, v15
	v_cmp_gt_u16_e64 s[12:13], s30, 1
	v_cmp_eq_u32_e64 s[2:3], 0, v13
	s_cselect_b64 s[16:17], -1, 0
	s_add_i32 s7, s7, 1
	v_add_u32_e32 v17, s4, v12
	s_mul_i32 s25, s24, s28
	v_mul_lo_u32 v18, s15, v14
	s_mul_i32 s34, s33, s15
	v_mul_lo_u32 v19, s21, v14
	s_mul_i32 s21, s33, s21
	s_mov_b32 s35, 0
	s_branch .LBB134_3
.LBB134_2:                              ;   in Loop: Header=BB134_3 Depth=1
	s_or_b64 exec, exec, s[4:5]
	s_add_i32 s4, s35, 1
	v_add_u32_e32 v17, s25, v17
	s_cmp_eq_u32 s35, s29
	s_mov_b32 s35, s4
	s_cbranch_scc1 .LBB134_20
.LBB134_3:                              ; =>This Loop Header: Depth=1
                                        ;     Child Loop BB134_12 Depth 2
                                        ;     Child Loop BB134_9 Depth 2
	s_mul_i32 s4, s35, s24
	s_add_i32 s4, s4, s6
	s_mul_i32 s4, s4, s28
	v_add_u32_e32 v0, s4, v12
	v_cmp_gt_i32_e64 s[4:5], s10, v0
	s_mov_b32 s27, s26
	s_and_b64 s[14:15], s[0:1], s[4:5]
	v_pk_mov_b32 v[2:3], s[26:27], s[26:27] op_sel:[0,1]
	v_ashrrev_i32_e32 v1, 31, v0
	s_and_saveexec_b64 s[8:9], s[14:15]
	s_cbranch_execz .LBB134_5
; %bb.4:                                ;   in Loop: Header=BB134_3 Depth=1
	v_lshlrev_b64 v[2:3], 3, v[0:1]
	v_mov_b32_e32 v4, s19
	v_add_co_u32_e32 v2, vcc, s18, v2
	v_addc_co_u32_e32 v3, vcc, v4, v3, vcc
	global_load_dwordx2 v[2:3], v[2:3], off
.LBB134_5:                              ;   in Loop: Header=BB134_3 Depth=1
	s_or_b64 exec, exec, s[8:9]
	s_andn2_b64 vcc, exec, s[16:17]
	v_mov_b32_e32 v20, v14
	v_mov_b32_e32 v4, v19
	;; [unrolled: 1-line block ×3, first 2 shown]
	s_mov_b32 s27, s7
	s_cbranch_vccz .LBB134_12
.LBB134_6:                              ;   in Loop: Header=BB134_3 Depth=1
	s_andn2_b64 vcc, exec, s[12:13]
	s_mov_b32 s14, s30
	s_waitcnt vmcnt(0)
	ds_write_b64 v16, v[2:3]
	s_waitcnt lgkmcnt(0)
	s_barrier
	s_cbranch_vccnz .LBB134_18
; %bb.7:                                ;   in Loop: Header=BB134_3 Depth=1
	s_lshr_b32 s15, s14, 1
	v_cmp_gt_u32_e32 vcc, s15, v13
	s_and_saveexec_b64 s[8:9], vcc
	s_cbranch_execz .LBB134_9
.LBB134_8:                              ;   in Loop: Header=BB134_3 Depth=1
	v_add_u32_e32 v4, s15, v13
	v_mul_u32_u24_e32 v4, s28, v4
	v_lshl_add_u32 v4, v4, 3, v15
	ds_read_b64 v[4:5], v4
	s_waitcnt lgkmcnt(0)
	v_pk_add_f32 v[2:3], v[2:3], v[4:5]
	ds_write_b64 v16, v[2:3]
.LBB134_9:                              ;   Parent Loop BB134_3 Depth=1
                                        ; =>  This Inner Loop Header: Depth=2
	s_or_b64 exec, exec, s[8:9]
	s_cmp_lt_u32 s14, 4
	s_waitcnt lgkmcnt(0)
	s_barrier
	s_cbranch_scc1 .LBB134_18
; %bb.10:                               ;   in Loop: Header=BB134_9 Depth=2
	s_mov_b32 s14, s15
	s_lshr_b32 s15, s14, 1
	v_cmp_gt_u32_e32 vcc, s15, v13
	s_and_saveexec_b64 s[8:9], vcc
	s_cbranch_execnz .LBB134_8
	s_branch .LBB134_9
.LBB134_11:                             ;   in Loop: Header=BB134_12 Depth=2
	s_or_b64 exec, exec, s[8:9]
	s_add_i32 s27, s27, -1
	v_add_u32_e32 v6, s34, v6
	v_add_u32_e32 v4, s21, v4
	s_cmp_eq_u32 s27, 0
	v_add_u32_e32 v20, s33, v20
	s_cbranch_scc1 .LBB134_6
.LBB134_12:                             ;   Parent Loop BB134_3 Depth=1
                                        ; =>  This Inner Loop Header: Depth=2
	v_cmp_gt_i32_e32 vcc, s11, v20
	v_mov_b32_e32 v8, 0
	v_mov_b32_e32 v10, 0
	v_mov_b32_e32 v11, 0
	s_and_saveexec_b64 s[14:15], vcc
	s_cbranch_execnz .LBB134_15
; %bb.13:                               ;   in Loop: Header=BB134_12 Depth=2
	s_or_b64 exec, exec, s[14:15]
	v_mov_b32_e32 v9, 0
	s_and_saveexec_b64 s[14:15], vcc
	s_cbranch_execnz .LBB134_16
.LBB134_14:                             ;   in Loop: Header=BB134_12 Depth=2
	s_or_b64 exec, exec, s[14:15]
	s_and_b64 s[14:15], s[4:5], vcc
	s_and_saveexec_b64 s[8:9], s[14:15]
	s_cbranch_execz .LBB134_11
	s_branch .LBB134_17
.LBB134_15:                             ;   in Loop: Header=BB134_12 Depth=2
	v_ashrrev_i32_e32 v5, 31, v4
	v_lshlrev_b64 v[10:11], 3, v[4:5]
	v_mov_b32_e32 v5, s31
	v_add_co_u32_e64 v10, s[8:9], s23, v10
	v_addc_co_u32_e64 v11, s[8:9], v5, v11, s[8:9]
	global_load_dwordx2 v[10:11], v[10:11], off
	s_waitcnt vmcnt(0)
	v_xor_b32_e32 v11, 0x80000000, v11
	s_or_b64 exec, exec, s[14:15]
	v_mov_b32_e32 v9, 0
	s_and_saveexec_b64 s[14:15], vcc
	s_cbranch_execz .LBB134_14
.LBB134_16:                             ;   in Loop: Header=BB134_12 Depth=2
	v_ashrrev_i32_e32 v7, 31, v6
	v_lshlrev_b64 v[8:9], 3, v[6:7]
	v_mov_b32_e32 v5, s22
	v_add_co_u32_e64 v8, s[8:9], s20, v8
	v_addc_co_u32_e64 v9, s[8:9], v5, v9, s[8:9]
	global_load_dwordx2 v[8:9], v[8:9], off
	s_waitcnt vmcnt(0)
	v_xor_b32_e32 v9, 0x80000000, v9
	s_or_b64 exec, exec, s[14:15]
	s_and_b64 s[14:15], s[4:5], vcc
	s_and_saveexec_b64 s[8:9], s[14:15]
	s_cbranch_execz .LBB134_11
.LBB134_17:                             ;   in Loop: Header=BB134_12 Depth=2
	v_add_u32_e32 v22, v17, v6
	v_ashrrev_i32_e32 v23, 31, v22
	v_lshlrev_b64 v[22:23], 3, v[22:23]
	v_add_u32_e32 v24, v17, v4
	v_mov_b32_e32 v5, s22
	v_add_co_u32_e32 v22, vcc, s20, v22
	v_ashrrev_i32_e32 v25, 31, v24
	v_addc_co_u32_e32 v23, vcc, v5, v23, vcc
	v_lshlrev_b64 v[24:25], 3, v[24:25]
	v_mov_b32_e32 v5, s31
	v_add_co_u32_e32 v24, vcc, s23, v24
	v_addc_co_u32_e32 v25, vcc, v5, v25, vcc
	global_load_dwordx2 v[22:23], v[22:23], off
	s_waitcnt vmcnt(0)
	v_pk_mul_f32 v[26:27], v[10:11], v[22:23] op_sel:[0,1]
	global_load_dwordx2 v[24:25], v[24:25], off
	v_pk_fma_f32 v[30:31], v[10:11], v[22:23], v[26:27] op_sel:[0,0,1] op_sel_hi:[1,1,0] neg_lo:[0,0,1] neg_hi:[0,0,1]
	v_pk_fma_f32 v[10:11], v[10:11], v[22:23], v[26:27] op_sel:[0,0,1] op_sel_hi:[1,0,0]
	v_mov_b32_e32 v31, v11
	s_waitcnt vmcnt(0)
	v_pk_mul_f32 v[28:29], v[8:9], v[24:25] op_sel:[0,1]
	v_pk_fma_f32 v[22:23], v[8:9], v[24:25], v[28:29] op_sel:[0,0,1] op_sel_hi:[1,1,0] neg_lo:[0,0,1] neg_hi:[0,0,1]
	v_pk_fma_f32 v[8:9], v[8:9], v[24:25], v[28:29] op_sel:[0,0,1] op_sel_hi:[1,0,0]
	v_mov_b32_e32 v23, v9
	v_pk_add_f32 v[8:9], v[30:31], v[22:23]
	v_pk_add_f32 v[2:3], v[2:3], v[8:9] neg_lo:[0,1] neg_hi:[0,1]
	s_branch .LBB134_11
.LBB134_18:                             ;   in Loop: Header=BB134_3 Depth=1
	s_and_b64 s[8:9], s[2:3], s[4:5]
	s_and_saveexec_b64 s[4:5], s[8:9]
	s_cbranch_execz .LBB134_2
; %bb.19:                               ;   in Loop: Header=BB134_3 Depth=1
	v_lshlrev_b64 v[0:1], 3, v[0:1]
	v_mov_b32_e32 v4, s19
	v_add_co_u32_e32 v0, vcc, s18, v0
	v_addc_co_u32_e32 v1, vcc, v4, v1, vcc
	global_store_dwordx2 v[0:1], v[2:3], off
	s_branch .LBB134_2
.LBB134_20:
	s_endpgm
	.section	.rodata,"a",@progbits
	.p2align	6, 0x0
	.amdhsa_kernel _ZN9rocsolver6v33100L26latrd_lower_updateA_kernelI19rocblas_complex_numIfEPS3_EEviiT0_iilPT_iil
		.amdhsa_group_segment_fixed_size 0
		.amdhsa_private_segment_fixed_size 0
		.amdhsa_kernarg_size 312
		.amdhsa_user_sgpr_count 6
		.amdhsa_user_sgpr_private_segment_buffer 1
		.amdhsa_user_sgpr_dispatch_ptr 0
		.amdhsa_user_sgpr_queue_ptr 0
		.amdhsa_user_sgpr_kernarg_segment_ptr 1
		.amdhsa_user_sgpr_dispatch_id 0
		.amdhsa_user_sgpr_flat_scratch_init 0
		.amdhsa_user_sgpr_kernarg_preload_length 0
		.amdhsa_user_sgpr_kernarg_preload_offset 0
		.amdhsa_user_sgpr_private_segment_size 0
		.amdhsa_uses_dynamic_stack 0
		.amdhsa_system_sgpr_private_segment_wavefront_offset 0
		.amdhsa_system_sgpr_workgroup_id_x 1
		.amdhsa_system_sgpr_workgroup_id_y 1
		.amdhsa_system_sgpr_workgroup_id_z 1
		.amdhsa_system_sgpr_workgroup_info 0
		.amdhsa_system_vgpr_workitem_id 1
		.amdhsa_next_free_vgpr 32
		.amdhsa_next_free_sgpr 36
		.amdhsa_accum_offset 32
		.amdhsa_reserve_vcc 1
		.amdhsa_reserve_flat_scratch 0
		.amdhsa_float_round_mode_32 0
		.amdhsa_float_round_mode_16_64 0
		.amdhsa_float_denorm_mode_32 3
		.amdhsa_float_denorm_mode_16_64 3
		.amdhsa_dx10_clamp 1
		.amdhsa_ieee_mode 1
		.amdhsa_fp16_overflow 0
		.amdhsa_tg_split 0
		.amdhsa_exception_fp_ieee_invalid_op 0
		.amdhsa_exception_fp_denorm_src 0
		.amdhsa_exception_fp_ieee_div_zero 0
		.amdhsa_exception_fp_ieee_overflow 0
		.amdhsa_exception_fp_ieee_underflow 0
		.amdhsa_exception_fp_ieee_inexact 0
		.amdhsa_exception_int_div_zero 0
	.end_amdhsa_kernel
	.section	.text._ZN9rocsolver6v33100L26latrd_lower_updateA_kernelI19rocblas_complex_numIfEPS3_EEviiT0_iilPT_iil,"axG",@progbits,_ZN9rocsolver6v33100L26latrd_lower_updateA_kernelI19rocblas_complex_numIfEPS3_EEviiT0_iilPT_iil,comdat
.Lfunc_end134:
	.size	_ZN9rocsolver6v33100L26latrd_lower_updateA_kernelI19rocblas_complex_numIfEPS3_EEviiT0_iilPT_iil, .Lfunc_end134-_ZN9rocsolver6v33100L26latrd_lower_updateA_kernelI19rocblas_complex_numIfEPS3_EEviiT0_iilPT_iil
                                        ; -- End function
	.section	.AMDGPU.csdata,"",@progbits
; Kernel info:
; codeLenInByte = 1516
; NumSgprs: 40
; NumVgprs: 32
; NumAgprs: 0
; TotalNumVgprs: 32
; ScratchSize: 0
; MemoryBound: 0
; FloatMode: 240
; IeeeMode: 1
; LDSByteSize: 0 bytes/workgroup (compile time only)
; SGPRBlocks: 4
; VGPRBlocks: 3
; NumSGPRsForWavesPerEU: 40
; NumVGPRsForWavesPerEU: 32
; AccumOffset: 32
; Occupancy: 8
; WaveLimiterHint : 0
; COMPUTE_PGM_RSRC2:SCRATCH_EN: 0
; COMPUTE_PGM_RSRC2:USER_SGPR: 6
; COMPUTE_PGM_RSRC2:TRAP_HANDLER: 0
; COMPUTE_PGM_RSRC2:TGID_X_EN: 1
; COMPUTE_PGM_RSRC2:TGID_Y_EN: 1
; COMPUTE_PGM_RSRC2:TGID_Z_EN: 1
; COMPUTE_PGM_RSRC2:TIDIG_COMP_CNT: 1
; COMPUTE_PGM_RSRC3_GFX90A:ACCUM_OFFSET: 7
; COMPUTE_PGM_RSRC3_GFX90A:TG_SPLIT: 0
	.section	.text._ZN9rocsolver6v33100L33latrd_lower_computeW_gemvt_kernelILi256E19rocblas_complex_numIfEPS3_EEviiT1_iilPT0_iilS7_iilS7_l,"axG",@progbits,_ZN9rocsolver6v33100L33latrd_lower_computeW_gemvt_kernelILi256E19rocblas_complex_numIfEPS3_EEviiT1_iilPT0_iilS7_iilS7_l,comdat
	.globl	_ZN9rocsolver6v33100L33latrd_lower_computeW_gemvt_kernelILi256E19rocblas_complex_numIfEPS3_EEviiT1_iilPT0_iilS7_iilS7_l ; -- Begin function _ZN9rocsolver6v33100L33latrd_lower_computeW_gemvt_kernelILi256E19rocblas_complex_numIfEPS3_EEviiT1_iilPT0_iilS7_iilS7_l
	.p2align	8
	.type	_ZN9rocsolver6v33100L33latrd_lower_computeW_gemvt_kernelILi256E19rocblas_complex_numIfEPS3_EEviiT1_iilPT0_iilS7_iilS7_l,@function
_ZN9rocsolver6v33100L33latrd_lower_computeW_gemvt_kernelILi256E19rocblas_complex_numIfEPS3_EEviiT1_iilPT0_iilS7_iilS7_l: ; @_ZN9rocsolver6v33100L33latrd_lower_computeW_gemvt_kernelILi256E19rocblas_complex_numIfEPS3_EEviiT1_iilPT0_iilS7_iilS7_l
; %bb.0:
	s_load_dwordx2 s[20:21], s[4:5], 0x0
	s_load_dwordx4 s[0:3], s[4:5], 0x30
	s_ashr_i32 s26, s7, 31
	v_mov_b32_e32 v3, 0
	v_mov_b32_e32 v2, 0
	s_waitcnt lgkmcnt(0)
	s_cmp_lt_i32 s6, s21
	s_cselect_b64 s[18:19], -1, 0
	s_and_b64 s[8:9], s[18:19], exec
	s_cselect_b32 s8, 0, s21
	s_sub_i32 s16, s6, s8
	s_ashr_i32 s17, s16, 31
	s_mov_b64 s[8:9], -1
	s_cmp_eq_u32 s16, s21
	s_cbranch_scc1 .LBB135_11
; %bb.1:
	s_load_dwordx8 s[8:15], s[4:5], 0x8
	s_load_dwordx2 s[28:29], s[4:5], 0x28
	s_mul_i32 s1, s7, s1
	s_waitcnt lgkmcnt(0)
	s_ashr_i32 s25, s10, 31
	s_mov_b32 s24, s10
	s_mul_i32 s6, s7, s13
	s_mul_hi_u32 s10, s7, s12
	s_add_i32 s6, s10, s6
	s_mul_i32 s10, s26, s12
	s_add_i32 s13, s6, s10
	s_mul_i32 s12, s7, s12
	s_lshl_b64 s[22:23], s[12:13], 3
	s_add_u32 s6, s8, s22
	s_addc_u32 s10, s9, s23
	s_lshl_b64 s[24:25], s[24:25], 3
	s_add_u32 s6, s6, s24
	s_addc_u32 s27, s10, s25
	s_mul_hi_u32 s10, s7, s0
	s_add_i32 s1, s10, s1
	s_mul_i32 s10, s26, s0
	s_add_i32 s1, s1, s10
	s_mul_i32 s0, s7, s0
	s_ashr_i32 s13, s28, 31
	s_lshl_b64 s[0:1], s[0:1], 3
	s_mov_b32 s12, s28
	s_add_u32 s10, s14, s0
	s_addc_u32 s14, s15, s1
	s_lshl_b64 s[0:1], s[12:13], 3
	s_add_u32 s10, s10, s0
	s_addc_u32 s30, s14, s1
	s_not_b32 s28, s21
	s_add_i32 s28, s28, s20
	s_ashr_i32 s1, s11, 31
	s_ashr_i32 s15, s21, 31
	s_mov_b32 s14, s21
	s_and_b64 s[12:13], s[18:19], exec
	s_cselect_b32 s20, s30, s27
	s_cselect_b32 s10, s10, s6
	s_lshl_b64 s[12:13], s[14:15], 3
	s_add_u32 s30, s10, s12
	s_addc_u32 s31, s20, s13
	s_and_b64 s[20:21], s[18:19], exec
	s_cselect_b32 s10, s29, s11
	s_mov_b32 s0, s11
	v_cmp_gt_i32_e32 vcc, s28, v0
	s_mul_hi_i32 s11, s10, s16
	s_mul_i32 s10, s10, s16
	v_cndmask_b32_e32 v1, 0, v0, vcc
	s_lshl_b64 s[10:11], s[10:11], 3
	v_lshlrev_b32_e32 v1, 3, v1
	s_add_u32 s10, s10, s30
	s_addc_u32 s11, s11, s31
	v_add_co_u32_e32 v1, vcc, s10, v1
	s_ashr_i32 s10, s28, 31
	s_lshr_b32 s10, s10, 24
	s_mov_b32 s20, 0
	s_add_i32 s10, s28, s10
	v_mov_b32_e32 v2, s11
	s_and_b32 s10, s10, 0xffffff00
	s_mov_b32 s21, s20
	v_addc_co_u32_e32 v8, vcc, 0, v2, vcc
	s_cmpk_lt_i32 s28, 0x100
	v_pk_mov_b32 v[2:3], s[20:21], s[20:21] op_sel:[0,1]
	s_cbranch_scc1 .LBB135_4
; %bb.2:
	s_lshl_b64 s[30:31], s[0:1], 3
	s_add_u32 s1, s30, 8
	s_addc_u32 s11, s31, 0
	s_mul_i32 s15, s1, s15
	s_mul_hi_u32 s21, s1, s14
	s_add_i32 s15, s21, s15
	s_mul_i32 s11, s11, s14
	s_add_i32 s15, s15, s11
	s_mul_i32 s1, s1, s14
	s_add_u32 s1, s22, s1
	s_addc_u32 s11, s23, s15
	s_add_u32 s1, s1, s24
	s_addc_u32 s11, s11, s25
	v_add_co_u32_e32 v4, vcc, 8, v1
	s_add_u32 s1, s8, s1
	v_addc_co_u32_e32 v5, vcc, 0, v8, vcc
	v_lshlrev_b32_e32 v2, 3, v0
	s_addc_u32 s8, s9, s11
	v_mov_b32_e32 v3, s8
	v_add_co_u32_e32 v2, vcc, s1, v2
	v_addc_co_u32_e32 v3, vcc, 0, v3, vcc
	v_add_co_u32_e32 v6, vcc, 8, v2
	v_mov_b32_e32 v2, 0
	v_addc_co_u32_e32 v7, vcc, 0, v3, vcc
	v_mov_b32_e32 v3, v2
.LBB135_3:                              ; =>This Inner Loop Header: Depth=1
	global_load_dwordx2 v[10:11], v[4:5], off
	global_load_dwordx2 v[12:13], v[6:7], off
	v_add_co_u32_e32 v6, vcc, 0x800, v6
	v_addc_co_u32_e32 v7, vcc, 0, v7, vcc
	s_addk_i32 s20, 0x100
	v_add_co_u32_e32 v4, vcc, 0x800, v4
	s_cmp_ge_i32 s20, s10
	v_addc_co_u32_e32 v5, vcc, 0, v5, vcc
	s_waitcnt vmcnt(0)
	v_pk_mul_f32 v[14:15], v[10:11], v[12:13] op_sel:[1,0]
	v_pk_fma_f32 v[16:17], v[10:11], v[12:13], v[14:15] op_sel:[0,0,1] op_sel_hi:[1,1,0]
	v_pk_fma_f32 v[10:11], v[10:11], v[12:13], v[14:15] op_sel:[0,0,1] op_sel_hi:[0,1,0] neg_lo:[0,0,1] neg_hi:[0,0,1]
	v_mov_b32_e32 v17, v11
	v_pk_add_f32 v[2:3], v[2:3], v[16:17]
	s_cbranch_scc0 .LBB135_3
.LBB135_4:
	v_add_u32_e32 v4, s10, v0
	v_cmp_gt_i32_e32 vcc, s28, v4
	s_and_saveexec_b64 s[8:9], vcc
	s_cbranch_execz .LBB135_6
; %bb.5:
	s_mul_hi_i32 s1, s0, s14
	s_mul_i32 s0, s0, s14
	s_lshl_b64 s[0:1], s[0:1], 3
	s_add_u32 s0, s6, s0
	s_addc_u32 s1, s27, s1
	s_add_u32 s6, s0, s12
	s_addc_u32 s12, s1, s13
	s_ashr_i32 s11, s10, 31
	s_lshl_b64 s[0:1], s[10:11], 3
	v_mov_b32_e32 v5, s1
	v_add_co_u32_e32 v6, vcc, s0, v1
	v_addc_co_u32_e32 v7, vcc, v8, v5, vcc
	v_ashrrev_i32_e32 v5, 31, v4
	v_lshlrev_b64 v[4:5], 3, v[4:5]
	v_mov_b32_e32 v1, s12
	v_add_co_u32_e32 v4, vcc, s6, v4
	v_addc_co_u32_e32 v5, vcc, v1, v5, vcc
	global_load_dwordx2 v[8:9], v[6:7], off offset:8
	global_load_dwordx2 v[10:11], v[4:5], off offset:8
	s_waitcnt vmcnt(1)
	v_mov_b32_e32 v4, v9
	s_waitcnt vmcnt(0)
	v_pk_mul_f32 v[6:7], v[8:9], v[10:11] op_sel:[0,1] op_sel_hi:[1,0]
	v_pk_mul_f32 v[4:5], v[4:5], v[10:11] op_sel:[0,1] op_sel_hi:[1,0]
	v_mov_b32_e32 v1, v6
	v_pk_fma_f32 v[4:5], v[8:9], v[10:11], v[4:5]
	v_pk_fma_f32 v[6:7], v[8:9], v[10:11], v[0:1] op_sel:[0,1,0] op_sel_hi:[1,0,1] neg_lo:[1,0,0] neg_hi:[1,0,0]
	v_mov_b32_e32 v5, v7
	v_pk_add_f32 v[2:3], v[2:3], v[4:5]
.LBB135_6:
	s_or_b64 exec, exec, s[8:9]
	v_mbcnt_lo_u32_b32 v1, -1, 0
	v_mbcnt_hi_u32_b32 v1, -1, v1
	v_and_b32_e32 v6, 63, v1
	v_cmp_ne_u32_e32 vcc, 63, v6
	v_addc_co_u32_e32 v4, vcc, 0, v1, vcc
	v_lshlrev_b32_e32 v5, 2, v4
	ds_bpermute_b32 v4, v5, v2
	ds_bpermute_b32 v5, v5, v3
	v_cmp_gt_u32_e32 vcc, 62, v6
	v_cndmask_b32_e64 v7, 0, 1, vcc
	v_lshlrev_b32_e32 v7, 1, v7
	v_add_lshl_u32 v7, v7, v1, 2
	s_waitcnt lgkmcnt(0)
	v_pk_add_f32 v[2:3], v[2:3], v[4:5]
	ds_bpermute_b32 v4, v7, v2
	ds_bpermute_b32 v5, v7, v3
	v_cmp_gt_u32_e32 vcc, 60, v6
	v_cndmask_b32_e64 v7, 0, 1, vcc
	v_lshlrev_b32_e32 v7, 2, v7
	v_add_lshl_u32 v7, v7, v1, 2
	s_waitcnt lgkmcnt(0)
	v_pk_add_f32 v[2:3], v[2:3], v[4:5]
	;; [unrolled: 8-line block ×5, first 2 shown]
	ds_bpermute_b32 v4, v1, v2
	ds_bpermute_b32 v5, v1, v3
	v_and_b32_e32 v1, 63, v0
	v_cmp_eq_u32_e32 vcc, 0, v1
	s_waitcnt lgkmcnt(0)
	v_pk_add_f32 v[4:5], v[2:3], v[4:5]
	s_and_saveexec_b64 s[0:1], vcc
	s_cbranch_execz .LBB135_8
; %bb.7:
	v_lshrrev_b32_e32 v1, 3, v0
	ds_write_b64 v1, v[4:5]
.LBB135_8:
	s_or_b64 exec, exec, s[0:1]
	v_cmp_eq_u32_e32 vcc, 0, v0
	s_mov_b64 s[8:9], 0
	v_mov_b32_e32 v3, 0
	v_mov_b32_e32 v2, 0
	s_waitcnt lgkmcnt(0)
	s_barrier
	s_and_saveexec_b64 s[0:1], vcc
	s_cbranch_execz .LBB135_10
; %bb.9:
	v_mov_b32_e32 v1, 0
	ds_read2_b64 v[6:9], v1 offset0:1 offset1:2
	ds_read_b64 v[2:3], v1 offset:24
	s_mov_b64 s[8:9], exec
	s_waitcnt lgkmcnt(1)
	v_pk_add_f32 v[4:5], v[4:5], v[6:7]
	v_pk_add_f32 v[4:5], v[4:5], v[8:9]
	s_waitcnt lgkmcnt(0)
	v_pk_add_f32 v[2:3], v[4:5], v[2:3]
.LBB135_10:
	s_or_b64 exec, exec, s[0:1]
.LBB135_11:
	s_and_saveexec_b64 s[0:1], s[8:9]
	s_cbranch_execz .LBB135_14
; %bb.12:
	v_cmp_eq_u32_e32 vcc, 0, v0
	s_and_b64 exec, exec, vcc
	s_cbranch_execz .LBB135_14
; %bb.13:
	s_load_dword s0, s[4:5], 0x40
	s_load_dwordx2 s[12:13], s[4:5], 0x58
	s_load_dwordx4 s[8:11], s[4:5], 0x48
	v_mov_b32_e32 v0, 0
	s_waitcnt lgkmcnt(0)
	s_ashr_i32 s1, s0, 31
	s_mul_i32 s4, s7, s13
	s_mul_hi_u32 s5, s7, s12
	s_add_i32 s4, s5, s4
	s_mul_i32 s5, s26, s12
	s_add_i32 s5, s4, s5
	s_mul_i32 s4, s7, s12
	s_lshl_b64 s[4:5], s[4:5], 3
	s_add_u32 s6, s10, s4
	s_addc_u32 s10, s11, s5
	s_mul_i32 s4, s7, s9
	s_mul_hi_u32 s5, s7, s8
	s_add_i32 s4, s5, s4
	s_mul_i32 s5, s26, s8
	s_add_i32 s5, s4, s5
	s_mul_i32 s4, s7, s8
	s_lshl_b64 s[4:5], s[4:5], 3
	s_add_u32 s2, s2, s4
	s_addc_u32 s3, s3, s5
	s_lshl_b64 s[0:1], s[0:1], 3
	s_add_u32 s2, s2, s0
	s_addc_u32 s3, s3, s1
	s_and_b64 s[0:1], s[18:19], exec
	s_cselect_b32 s3, s10, s3
	s_cselect_b32 s2, s6, s2
	s_lshl_b64 s[0:1], s[16:17], 3
	s_add_u32 s0, s2, s0
	s_addc_u32 s1, s3, s1
	global_store_dwordx2 v0, v[2:3], s[0:1]
.LBB135_14:
	s_endpgm
	.section	.rodata,"a",@progbits
	.p2align	6, 0x0
	.amdhsa_kernel _ZN9rocsolver6v33100L33latrd_lower_computeW_gemvt_kernelILi256E19rocblas_complex_numIfEPS3_EEviiT1_iilPT0_iilS7_iilS7_l
		.amdhsa_group_segment_fixed_size 2048
		.amdhsa_private_segment_fixed_size 0
		.amdhsa_kernarg_size 96
		.amdhsa_user_sgpr_count 6
		.amdhsa_user_sgpr_private_segment_buffer 1
		.amdhsa_user_sgpr_dispatch_ptr 0
		.amdhsa_user_sgpr_queue_ptr 0
		.amdhsa_user_sgpr_kernarg_segment_ptr 1
		.amdhsa_user_sgpr_dispatch_id 0
		.amdhsa_user_sgpr_flat_scratch_init 0
		.amdhsa_user_sgpr_kernarg_preload_length 0
		.amdhsa_user_sgpr_kernarg_preload_offset 0
		.amdhsa_user_sgpr_private_segment_size 0
		.amdhsa_uses_dynamic_stack 0
		.amdhsa_system_sgpr_private_segment_wavefront_offset 0
		.amdhsa_system_sgpr_workgroup_id_x 1
		.amdhsa_system_sgpr_workgroup_id_y 0
		.amdhsa_system_sgpr_workgroup_id_z 1
		.amdhsa_system_sgpr_workgroup_info 0
		.amdhsa_system_vgpr_workitem_id 0
		.amdhsa_next_free_vgpr 18
		.amdhsa_next_free_sgpr 32
		.amdhsa_accum_offset 20
		.amdhsa_reserve_vcc 1
		.amdhsa_reserve_flat_scratch 0
		.amdhsa_float_round_mode_32 0
		.amdhsa_float_round_mode_16_64 0
		.amdhsa_float_denorm_mode_32 3
		.amdhsa_float_denorm_mode_16_64 3
		.amdhsa_dx10_clamp 1
		.amdhsa_ieee_mode 1
		.amdhsa_fp16_overflow 0
		.amdhsa_tg_split 0
		.amdhsa_exception_fp_ieee_invalid_op 0
		.amdhsa_exception_fp_denorm_src 0
		.amdhsa_exception_fp_ieee_div_zero 0
		.amdhsa_exception_fp_ieee_overflow 0
		.amdhsa_exception_fp_ieee_underflow 0
		.amdhsa_exception_fp_ieee_inexact 0
		.amdhsa_exception_int_div_zero 0
	.end_amdhsa_kernel
	.section	.text._ZN9rocsolver6v33100L33latrd_lower_computeW_gemvt_kernelILi256E19rocblas_complex_numIfEPS3_EEviiT1_iilPT0_iilS7_iilS7_l,"axG",@progbits,_ZN9rocsolver6v33100L33latrd_lower_computeW_gemvt_kernelILi256E19rocblas_complex_numIfEPS3_EEviiT1_iilPT0_iilS7_iilS7_l,comdat
.Lfunc_end135:
	.size	_ZN9rocsolver6v33100L33latrd_lower_computeW_gemvt_kernelILi256E19rocblas_complex_numIfEPS3_EEviiT1_iilPT0_iilS7_iilS7_l, .Lfunc_end135-_ZN9rocsolver6v33100L33latrd_lower_computeW_gemvt_kernelILi256E19rocblas_complex_numIfEPS3_EEviiT1_iilPT0_iilS7_iilS7_l
                                        ; -- End function
	.section	.AMDGPU.csdata,"",@progbits
; Kernel info:
; codeLenInByte = 1324
; NumSgprs: 36
; NumVgprs: 18
; NumAgprs: 0
; TotalNumVgprs: 18
; ScratchSize: 0
; MemoryBound: 0
; FloatMode: 240
; IeeeMode: 1
; LDSByteSize: 2048 bytes/workgroup (compile time only)
; SGPRBlocks: 4
; VGPRBlocks: 2
; NumSGPRsForWavesPerEU: 36
; NumVGPRsForWavesPerEU: 18
; AccumOffset: 20
; Occupancy: 8
; WaveLimiterHint : 0
; COMPUTE_PGM_RSRC2:SCRATCH_EN: 0
; COMPUTE_PGM_RSRC2:USER_SGPR: 6
; COMPUTE_PGM_RSRC2:TRAP_HANDLER: 0
; COMPUTE_PGM_RSRC2:TGID_X_EN: 1
; COMPUTE_PGM_RSRC2:TGID_Y_EN: 0
; COMPUTE_PGM_RSRC2:TGID_Z_EN: 1
; COMPUTE_PGM_RSRC2:TIDIG_COMP_CNT: 0
; COMPUTE_PGM_RSRC3_GFX90A:ACCUM_OFFSET: 4
; COMPUTE_PGM_RSRC3_GFX90A:TG_SPLIT: 0
	.section	.text._ZN9rocsolver6v33100L26latrd_lower_updateW_kernelI19rocblas_complex_numIfEPS3_EEviiT0_iilPT_iilS7_lS7_l,"axG",@progbits,_ZN9rocsolver6v33100L26latrd_lower_updateW_kernelI19rocblas_complex_numIfEPS3_EEviiT0_iilPT_iilS7_lS7_l,comdat
	.globl	_ZN9rocsolver6v33100L26latrd_lower_updateW_kernelI19rocblas_complex_numIfEPS3_EEviiT0_iilPT_iilS7_lS7_l ; -- Begin function _ZN9rocsolver6v33100L26latrd_lower_updateW_kernelI19rocblas_complex_numIfEPS3_EEviiT0_iilPT_iilS7_lS7_l
	.p2align	8
	.type	_ZN9rocsolver6v33100L26latrd_lower_updateW_kernelI19rocblas_complex_numIfEPS3_EEviiT0_iilPT_iilS7_lS7_l,@function
_ZN9rocsolver6v33100L26latrd_lower_updateW_kernelI19rocblas_complex_numIfEPS3_EEviiT0_iilPT_iilS7_lS7_l: ; @_ZN9rocsolver6v33100L26latrd_lower_updateW_kernelI19rocblas_complex_numIfEPS3_EEviiT0_iilPT_iilS7_lS7_l
; %bb.0:
	s_load_dword s0, s[4:5], 0x64
	s_load_dwordx2 s[10:11], s[4:5], 0x0
	s_load_dwordx2 s[28:29], s[4:5], 0x58
	s_mov_b32 s30, 0
	s_waitcnt lgkmcnt(0)
	s_not_b32 s1, s11
	s_and_b32 s33, s0, 0xffff
	v_cvt_f32_u32_e32 v1, s33
	s_add_i32 s10, s1, s10
	s_sub_i32 s1, 0, s33
	s_add_i32 s2, s10, -1
	v_rcp_iflag_f32_e32 v1, v1
	s_ashr_i32 s3, s2, 31
	s_abs_i32 s2, s2
	v_mul_f32_e32 v1, 0x4f7ffffe, v1
	v_cvt_u32_f32_e32 v1, v1
	v_readfirstlane_b32 s9, v1
	s_mul_i32 s1, s1, s9
	s_mul_hi_u32 s1, s9, s1
	s_add_i32 s9, s9, s1
	s_mul_hi_u32 s1, s2, s9
	s_mul_i32 s9, s1, s33
	s_sub_i32 s2, s2, s9
	s_add_i32 s12, s1, 1
	s_sub_i32 s9, s2, s33
	s_cmp_ge_u32 s2, s33
	s_cselect_b32 s1, s12, s1
	s_cselect_b32 s2, s9, s2
	s_add_i32 s9, s1, 1
	s_cmp_ge_u32 s2, s33
	s_cselect_b32 s1, s9, s1
	s_abs_i32 s2, s28
	v_cvt_f32_u32_e32 v1, s2
	s_sub_i32 s9, 0, s2
	s_xor_b32 s1, s1, s3
	s_sub_i32 s1, s1, s3
	v_rcp_iflag_f32_e32 v1, v1
	s_xor_b32 s3, s1, s28
	s_abs_i32 s1, s1
	s_ashr_i32 s3, s3, 31
	v_mul_f32_e32 v1, 0x4f7ffffe, v1
	v_cvt_u32_f32_e32 v1, v1
	v_readfirstlane_b32 s12, v1
	s_mul_i32 s9, s9, s12
	s_mul_hi_u32 s9, s12, s9
	s_add_i32 s12, s12, s9
	s_mul_hi_u32 s9, s1, s12
	s_mul_i32 s12, s9, s2
	s_sub_i32 s1, s1, s12
	s_add_i32 s13, s9, 1
	s_sub_i32 s12, s1, s2
	s_cmp_ge_u32 s1, s2
	s_cselect_b32 s9, s13, s9
	s_cselect_b32 s1, s12, s1
	s_add_i32 s12, s9, 1
	s_cmp_ge_u32 s1, s2
	s_cselect_b32 s1, s12, s9
	s_xor_b32 s1, s1, s3
	s_sub_i32 s36, s1, s3
	s_cmp_lt_i32 s36, 0
	s_cbranch_scc1 .LBB136_20
; %bb.1:
	s_load_dwordx8 s[12:19], s[4:5], 0x8
	s_load_dwordx2 s[34:35], s[4:5], 0x28
	s_load_dwordx8 s[20:27], s[4:5], 0x30
	s_load_dwordx2 s[2:3], s[4:5], 0x50
	s_ashr_i32 s9, s8, 31
	s_waitcnt lgkmcnt(0)
	s_mul_i32 s4, s8, s17
	s_mul_hi_u32 s5, s8, s16
	s_add_i32 s4, s5, s4
	s_mul_i32 s5, s9, s16
	s_add_i32 s5, s4, s5
	s_mul_i32 s4, s8, s16
	s_lshr_b32 s37, s0, 16
	s_ashr_i32 s1, s14, 31
	s_lshl_b64 s[4:5], s[4:5], 3
	s_mov_b32 s0, s14
	s_add_u32 s4, s12, s4
	s_addc_u32 s5, s13, s5
	s_lshl_b64 s[0:1], s[0:1], 3
	s_add_u32 s12, s4, s0
	s_addc_u32 s13, s5, s1
	s_mul_i32 s4, s8, s21
	s_mul_hi_u32 s5, s8, s20
	s_add_i32 s4, s5, s4
	s_mul_i32 s5, s9, s20
	s_add_i32 s5, s4, s5
	s_mul_i32 s4, s8, s20
	s_ashr_i32 s1, s34, 31
	s_lshl_b64 s[4:5], s[4:5], 3
	s_mov_b32 s0, s34
	s_add_u32 s4, s18, s4
	s_addc_u32 s5, s19, s5
	s_lshl_b64 s[0:1], s[0:1], 3
	s_add_u32 s4, s4, s0
	s_addc_u32 s5, s5, s1
	s_mul_i32 s0, s8, s25
	s_mul_hi_u32 s1, s8, s24
	s_add_i32 s0, s1, s0
	s_mul_i32 s1, s9, s24
	s_add_i32 s1, s0, s1
	s_mul_i32 s0, s8, s24
	s_lshl_b64 s[0:1], s[0:1], 3
	s_add_u32 s20, s22, s0
	s_addc_u32 s21, s23, s1
	s_mul_i32 s0, s8, s3
	s_mul_hi_u32 s1, s8, s2
	s_add_i32 s0, s1, s0
	s_mul_i32 s9, s9, s2
	v_and_b32_e32 v14, 0x3ff, v0
	v_bfe_u32 v15, v0, 10, 10
	s_add_i32 s1, s0, s9
	s_mul_i32 s0, s8, s2
	v_cvt_f32_u32_e32 v0, s37
	s_lshl_b64 s[0:1], s[0:1], 3
	s_add_u32 s8, s26, s0
	s_mul_hi_i32 s3, s35, s11
	s_mul_i32 s2, s35, s11
	s_addc_u32 s9, s27, s1
	s_ashr_i32 s1, s11, 31
	s_lshl_b64 s[2:3], s[2:3], 3
	s_mov_b32 s0, s11
	s_add_u32 s22, s4, s2
	v_rcp_iflag_f32_e32 v0, v0
	s_addc_u32 s23, s5, s3
	s_lshl_b64 s[0:1], s[0:1], 3
	s_add_u32 s14, s22, s0
	s_addc_u32 s25, s23, s1
	s_add_u32 s26, s12, s0
	v_mul_f32_e32 v0, 0x4f7ffffe, v0
	s_addc_u32 s27, s13, s1
	v_cvt_u32_f32_e32 v0, v0
	s_add_u32 s4, s4, s0
	s_addc_u32 s5, s5, s1
	s_add_u32 s12, s8, s0
	s_addc_u32 s13, s9, s1
	s_sub_i32 s2, 0, s37
	v_readfirstlane_b32 s3, v0
	s_mul_i32 s2, s2, s3
	s_add_i32 s0, s11, -1
	s_mul_hi_u32 s2, s3, s2
	s_ashr_i32 s1, s0, 31
	s_abs_i32 s0, s0
	s_add_i32 s3, s3, s2
	s_mul_hi_u32 s2, s0, s3
	s_mul_i32 s3, s2, s37
	s_sub_i32 s0, s0, s3
	s_add_i32 s3, s2, 1
	s_sub_i32 s8, s0, s37
	s_cmp_ge_u32 s0, s37
	s_cselect_b32 s2, s3, s2
	s_cselect_b32 s0, s8, s0
	s_add_i32 s3, s2, 1
	s_cmp_ge_u32 s0, s37
	s_cselect_b32 s0, s3, s2
	s_abs_i32 s2, s29
	v_cvt_f32_u32_e32 v0, s2
	s_mul_i32 s7, s7, s37
	v_add_u32_e32 v16, s7, v15
	s_sub_i32 s3, 0, s2
	v_rcp_iflag_f32_e32 v0, v0
	s_xor_b32 s0, s0, s1
	s_sub_i32 s0, s0, s1
	s_xor_b32 s1, s0, s29
	v_mul_f32_e32 v0, 0x4f7ffffe, v0
	v_cvt_u32_f32_e32 v0, v0
	s_abs_i32 s0, s0
	s_ashr_i32 s1, s1, 31
	v_lshl_add_u32 v17, v14, 3, 0
	v_readfirstlane_b32 s7, v0
	s_mul_i32 s3, s3, s7
	s_mul_hi_u32 s3, s7, s3
	s_add_i32 s7, s7, s3
	s_mul_hi_u32 s3, s0, s7
	s_mul_i32 s7, s3, s2
	s_sub_i32 s0, s0, s7
	s_add_i32 s7, s3, 1
	s_sub_i32 s8, s0, s2
	s_cmp_ge_u32 s0, s2
	s_cselect_b32 s3, s7, s3
	s_cselect_b32 s0, s8, s0
	s_add_i32 s7, s3, 1
	s_cmp_ge_u32 s0, s2
	s_cselect_b32 s0, s7, s3
	s_xor_b32 s0, s0, s1
	s_sub_i32 s38, s0, s1
	s_cmp_gt_i32 s38, -1
	s_cselect_b64 s[18:19], -1, 0
	s_add_u32 s7, s14, 8
	s_addc_u32 s25, s25, 0
	s_add_u32 s26, s26, 8
	v_mul_u32_u24_e32 v0, s33, v15
	s_addc_u32 s27, s27, 0
	s_mul_i32 s24, s29, s37
	v_lshl_add_u32 v18, v0, 3, v17
	s_add_u32 s29, s4, 8
	v_mul_lo_u32 v0, s15, v16
	s_mul_i32 s4, s6, s33
	v_add3_u32 v19, v14, v0, s4
	v_mul_lo_u32 v0, s35, v16
	v_cmp_eq_u32_e64 s[0:1], 0, v16
	v_cmp_gt_u16_e64 s[16:17], s37, 1
	v_cmp_eq_u32_e64 s[2:3], 0, v15
	s_addc_u32 s34, s5, 0
	s_add_i32 s38, s38, 1
	s_mul_i32 s39, s28, s33
	s_mul_i32 s40, s24, s15
	v_add3_u32 v20, v14, v0, s4
	s_mul_i32 s35, s24, s35
	v_mov_b32_e32 v21, 0
	s_mov_b32 s41, 0
	s_branch .LBB136_3
.LBB136_2:                              ;   in Loop: Header=BB136_3 Depth=1
	s_or_b64 exec, exec, s[4:5]
	s_add_i32 s4, s41, 1
	v_add_u32_e32 v19, s39, v19
	v_add_u32_e32 v20, s39, v20
	s_cmp_eq_u32 s41, s36
	s_mov_b32 s41, s4
	s_cbranch_scc1 .LBB136_20
.LBB136_3:                              ; =>This Loop Header: Depth=1
                                        ;     Child Loop BB136_12 Depth 2
                                        ;     Child Loop BB136_9 Depth 2
	s_mul_i32 s4, s41, s28
	s_add_i32 s4, s4, s6
	s_mul_i32 s4, s4, s33
	v_add_u32_e32 v0, s4, v14
	v_cmp_gt_i32_e64 s[4:5], s10, v0
	s_mov_b32 s31, s30
	s_and_b64 s[14:15], s[0:1], s[4:5]
	v_pk_mov_b32 v[2:3], s[30:31], s[30:31] op_sel:[0,1]
	v_ashrrev_i32_e32 v1, 31, v0
	s_and_saveexec_b64 s[8:9], s[14:15]
	s_cbranch_execz .LBB136_5
; %bb.4:                                ;   in Loop: Header=BB136_3 Depth=1
	v_lshlrev_b64 v[2:3], 3, v[0:1]
	v_mov_b32_e32 v4, s25
	v_add_co_u32_e32 v2, vcc, s7, v2
	v_addc_co_u32_e32 v3, vcc, v4, v3, vcc
	global_load_dwordx2 v[2:3], v[2:3], off
.LBB136_5:                              ;   in Loop: Header=BB136_3 Depth=1
	s_or_b64 exec, exec, s[8:9]
	s_andn2_b64 vcc, exec, s[18:19]
	v_mov_b32_e32 v4, v16
	v_mov_b32_e32 v6, v20
	;; [unrolled: 1-line block ×3, first 2 shown]
	s_mov_b32 s31, s38
	s_cbranch_vccz .LBB136_12
.LBB136_6:                              ;   in Loop: Header=BB136_3 Depth=1
	s_andn2_b64 vcc, exec, s[16:17]
	s_waitcnt vmcnt(0)
	ds_write_b64 v18, v[2:3]
	s_waitcnt lgkmcnt(0)
	s_barrier
	s_cbranch_vccnz .LBB136_18
; %bb.7:                                ;   in Loop: Header=BB136_3 Depth=1
	s_mov_b32 s14, s37
	s_lshr_b32 s15, s14, 1
	v_cmp_gt_u32_e32 vcc, s15, v15
	s_and_saveexec_b64 s[8:9], vcc
	s_cbranch_execz .LBB136_9
.LBB136_8:                              ;   in Loop: Header=BB136_3 Depth=1
	v_add_u32_e32 v4, s15, v15
	v_mul_u32_u24_e32 v4, s33, v4
	v_lshl_add_u32 v4, v4, 3, v17
	ds_read_b64 v[4:5], v4
	s_waitcnt lgkmcnt(0)
	v_pk_add_f32 v[2:3], v[2:3], v[4:5]
	ds_write_b64 v18, v[2:3]
.LBB136_9:                              ;   Parent Loop BB136_3 Depth=1
                                        ; =>  This Inner Loop Header: Depth=2
	s_or_b64 exec, exec, s[8:9]
	s_cmp_lt_u32 s14, 4
	s_waitcnt lgkmcnt(0)
	s_barrier
	s_cbranch_scc1 .LBB136_18
; %bb.10:                               ;   in Loop: Header=BB136_9 Depth=2
	s_mov_b32 s14, s15
	s_lshr_b32 s15, s14, 1
	v_cmp_gt_u32_e32 vcc, s15, v15
	s_and_saveexec_b64 s[8:9], vcc
	s_cbranch_execnz .LBB136_8
	s_branch .LBB136_9
.LBB136_11:                             ;   in Loop: Header=BB136_12 Depth=2
	s_or_b64 exec, exec, s[8:9]
	s_add_i32 s31, s31, -1
	v_add_u32_e32 v8, s40, v8
	v_add_u32_e32 v6, s35, v6
	s_cmp_eq_u32 s31, 0
	v_add_u32_e32 v4, s24, v4
	s_cbranch_scc1 .LBB136_6
.LBB136_12:                             ;   Parent Loop BB136_3 Depth=1
                                        ; =>  This Inner Loop Header: Depth=2
	v_cmp_gt_i32_e32 vcc, s11, v4
	s_waitcnt vmcnt(0)
	v_mov_b32_e32 v10, 0
	v_ashrrev_i32_e32 v5, 31, v4
	v_mov_b32_e32 v12, 0
	v_mov_b32_e32 v13, 0
	s_and_saveexec_b64 s[14:15], vcc
	s_cbranch_execnz .LBB136_15
; %bb.13:                               ;   in Loop: Header=BB136_12 Depth=2
	s_or_b64 exec, exec, s[14:15]
	v_mov_b32_e32 v11, 0
	s_and_saveexec_b64 s[14:15], vcc
	s_cbranch_execnz .LBB136_16
.LBB136_14:                             ;   in Loop: Header=BB136_12 Depth=2
	s_or_b64 exec, exec, s[14:15]
	s_and_b64 s[14:15], s[4:5], vcc
	s_and_saveexec_b64 s[8:9], s[14:15]
	s_cbranch_execz .LBB136_11
	s_branch .LBB136_17
.LBB136_15:                             ;   in Loop: Header=BB136_12 Depth=2
	v_lshlrev_b64 v[12:13], 3, v[4:5]
	v_mov_b32_e32 v7, s21
	v_add_co_u32_e64 v12, s[8:9], s20, v12
	v_addc_co_u32_e64 v13, s[8:9], v7, v13, s[8:9]
	global_load_dwordx2 v[12:13], v[12:13], off
	s_or_b64 exec, exec, s[14:15]
	v_mov_b32_e32 v11, 0
	s_and_saveexec_b64 s[14:15], vcc
	s_cbranch_execz .LBB136_14
.LBB136_16:                             ;   in Loop: Header=BB136_12 Depth=2
	v_lshlrev_b64 v[10:11], 3, v[4:5]
	v_mov_b32_e32 v5, s23
	v_add_co_u32_e64 v10, s[8:9], s22, v10
	v_addc_co_u32_e64 v11, s[8:9], v5, v11, s[8:9]
	global_load_dwordx2 v[10:11], v[10:11], off
	s_or_b64 exec, exec, s[14:15]
	s_and_b64 s[14:15], s[4:5], vcc
	s_and_saveexec_b64 s[8:9], s[14:15]
	s_cbranch_execz .LBB136_11
.LBB136_17:                             ;   in Loop: Header=BB136_12 Depth=2
	v_ashrrev_i32_e32 v9, 31, v8
	v_lshlrev_b64 v[22:23], 3, v[8:9]
	v_mov_b32_e32 v5, s27
	v_add_co_u32_e32 v22, vcc, s26, v22
	v_ashrrev_i32_e32 v7, 31, v6
	v_addc_co_u32_e32 v23, vcc, v5, v23, vcc
	v_lshlrev_b64 v[24:25], 3, v[6:7]
	v_mov_b32_e32 v5, s34
	v_add_co_u32_e32 v24, vcc, s29, v24
	v_addc_co_u32_e32 v25, vcc, v5, v25, vcc
	global_load_dwordx2 v[22:23], v[22:23], off
	s_waitcnt vmcnt(0)
	v_pk_mul_f32 v[26:27], v[12:13], v[22:23] op_sel:[0,1]
	global_load_dwordx2 v[24:25], v[24:25], off
	v_pk_fma_f32 v[30:31], v[12:13], v[22:23], v[26:27] op_sel:[0,0,1] op_sel_hi:[1,1,0] neg_lo:[0,0,1] neg_hi:[0,0,1]
	v_pk_fma_f32 v[12:13], v[12:13], v[22:23], v[26:27] op_sel:[0,0,1] op_sel_hi:[1,0,0]
	v_mov_b32_e32 v31, v13
	s_waitcnt vmcnt(0)
	v_pk_mul_f32 v[28:29], v[10:11], v[24:25] op_sel:[0,1]
	v_pk_fma_f32 v[22:23], v[10:11], v[24:25], v[28:29] op_sel:[0,0,1] op_sel_hi:[1,1,0] neg_lo:[0,0,1] neg_hi:[0,0,1]
	v_pk_fma_f32 v[10:11], v[10:11], v[24:25], v[28:29] op_sel:[0,0,1] op_sel_hi:[1,0,0]
	v_mov_b32_e32 v23, v11
	v_pk_add_f32 v[10:11], v[30:31], v[22:23]
	v_pk_add_f32 v[2:3], v[2:3], v[10:11] neg_lo:[0,1] neg_hi:[0,1]
	s_branch .LBB136_11
.LBB136_18:                             ;   in Loop: Header=BB136_3 Depth=1
	s_and_b64 s[8:9], s[2:3], s[4:5]
	s_and_saveexec_b64 s[4:5], s[8:9]
	s_cbranch_execz .LBB136_2
; %bb.19:                               ;   in Loop: Header=BB136_3 Depth=1
	global_load_dwordx2 v[4:5], v21, s[12:13]
	v_lshlrev_b64 v[0:1], 3, v[0:1]
	v_mov_b32_e32 v8, s25
	v_add_co_u32_e32 v0, vcc, s7, v0
	v_addc_co_u32_e32 v1, vcc, v8, v1, vcc
	s_waitcnt vmcnt(0)
	v_mul_f32_e32 v6, v3, v5
	v_mul_f32_e32 v7, v2, v5
	v_fma_f32 v6, v2, v4, -v6
	v_fmac_f32_e32 v7, v3, v4
	global_store_dwordx2 v[0:1], v[6:7], off
	s_branch .LBB136_2
.LBB136_20:
	s_endpgm
	.section	.rodata,"a",@progbits
	.p2align	6, 0x0
	.amdhsa_kernel _ZN9rocsolver6v33100L26latrd_lower_updateW_kernelI19rocblas_complex_numIfEPS3_EEviiT0_iilPT_iilS7_lS7_l
		.amdhsa_group_segment_fixed_size 0
		.amdhsa_private_segment_fixed_size 0
		.amdhsa_kernarg_size 344
		.amdhsa_user_sgpr_count 6
		.amdhsa_user_sgpr_private_segment_buffer 1
		.amdhsa_user_sgpr_dispatch_ptr 0
		.amdhsa_user_sgpr_queue_ptr 0
		.amdhsa_user_sgpr_kernarg_segment_ptr 1
		.amdhsa_user_sgpr_dispatch_id 0
		.amdhsa_user_sgpr_flat_scratch_init 0
		.amdhsa_user_sgpr_kernarg_preload_length 0
		.amdhsa_user_sgpr_kernarg_preload_offset 0
		.amdhsa_user_sgpr_private_segment_size 0
		.amdhsa_uses_dynamic_stack 0
		.amdhsa_system_sgpr_private_segment_wavefront_offset 0
		.amdhsa_system_sgpr_workgroup_id_x 1
		.amdhsa_system_sgpr_workgroup_id_y 1
		.amdhsa_system_sgpr_workgroup_id_z 1
		.amdhsa_system_sgpr_workgroup_info 0
		.amdhsa_system_vgpr_workitem_id 1
		.amdhsa_next_free_vgpr 32
		.amdhsa_next_free_sgpr 42
		.amdhsa_accum_offset 32
		.amdhsa_reserve_vcc 1
		.amdhsa_reserve_flat_scratch 0
		.amdhsa_float_round_mode_32 0
		.amdhsa_float_round_mode_16_64 0
		.amdhsa_float_denorm_mode_32 3
		.amdhsa_float_denorm_mode_16_64 3
		.amdhsa_dx10_clamp 1
		.amdhsa_ieee_mode 1
		.amdhsa_fp16_overflow 0
		.amdhsa_tg_split 0
		.amdhsa_exception_fp_ieee_invalid_op 0
		.amdhsa_exception_fp_denorm_src 0
		.amdhsa_exception_fp_ieee_div_zero 0
		.amdhsa_exception_fp_ieee_overflow 0
		.amdhsa_exception_fp_ieee_underflow 0
		.amdhsa_exception_fp_ieee_inexact 0
		.amdhsa_exception_int_div_zero 0
	.end_amdhsa_kernel
	.section	.text._ZN9rocsolver6v33100L26latrd_lower_updateW_kernelI19rocblas_complex_numIfEPS3_EEviiT0_iilPT_iilS7_lS7_l,"axG",@progbits,_ZN9rocsolver6v33100L26latrd_lower_updateW_kernelI19rocblas_complex_numIfEPS3_EEviiT0_iilPT_iilS7_lS7_l,comdat
.Lfunc_end136:
	.size	_ZN9rocsolver6v33100L26latrd_lower_updateW_kernelI19rocblas_complex_numIfEPS3_EEviiT0_iilPT_iilS7_lS7_l, .Lfunc_end136-_ZN9rocsolver6v33100L26latrd_lower_updateW_kernelI19rocblas_complex_numIfEPS3_EEviiT0_iilPT_iilS7_lS7_l
                                        ; -- End function
	.section	.AMDGPU.csdata,"",@progbits
; Kernel info:
; codeLenInByte = 1640
; NumSgprs: 46
; NumVgprs: 32
; NumAgprs: 0
; TotalNumVgprs: 32
; ScratchSize: 0
; MemoryBound: 0
; FloatMode: 240
; IeeeMode: 1
; LDSByteSize: 0 bytes/workgroup (compile time only)
; SGPRBlocks: 5
; VGPRBlocks: 3
; NumSGPRsForWavesPerEU: 46
; NumVGPRsForWavesPerEU: 32
; AccumOffset: 32
; Occupancy: 8
; WaveLimiterHint : 0
; COMPUTE_PGM_RSRC2:SCRATCH_EN: 0
; COMPUTE_PGM_RSRC2:USER_SGPR: 6
; COMPUTE_PGM_RSRC2:TRAP_HANDLER: 0
; COMPUTE_PGM_RSRC2:TGID_X_EN: 1
; COMPUTE_PGM_RSRC2:TGID_Y_EN: 1
; COMPUTE_PGM_RSRC2:TGID_Z_EN: 1
; COMPUTE_PGM_RSRC2:TIDIG_COMP_CNT: 1
; COMPUTE_PGM_RSRC3_GFX90A:ACCUM_OFFSET: 7
; COMPUTE_PGM_RSRC3_GFX90A:TG_SPLIT: 0
	.section	.text._ZN9rocsolver6v33100L20latrd_dot_scale_axpyILi1024E19rocblas_complex_numIfEiPS3_EEvT1_T2_llPT0_llS8_l,"axG",@progbits,_ZN9rocsolver6v33100L20latrd_dot_scale_axpyILi1024E19rocblas_complex_numIfEiPS3_EEvT1_T2_llPT0_llS8_l,comdat
	.globl	_ZN9rocsolver6v33100L20latrd_dot_scale_axpyILi1024E19rocblas_complex_numIfEiPS3_EEvT1_T2_llPT0_llS8_l ; -- Begin function _ZN9rocsolver6v33100L20latrd_dot_scale_axpyILi1024E19rocblas_complex_numIfEiPS3_EEvT1_T2_llPT0_llS8_l
	.p2align	8
	.type	_ZN9rocsolver6v33100L20latrd_dot_scale_axpyILi1024E19rocblas_complex_numIfEiPS3_EEvT1_T2_llPT0_llS8_l,@function
_ZN9rocsolver6v33100L20latrd_dot_scale_axpyILi1024E19rocblas_complex_numIfEiPS3_EEvT1_T2_llPT0_llS8_l: ; @_ZN9rocsolver6v33100L20latrd_dot_scale_axpyILi1024E19rocblas_complex_numIfEiPS3_EEvT1_T2_llPT0_llS8_l
; %bb.0:
	s_load_dwordx16 s[8:23], s[4:5], 0x8
	s_load_dword s6, s[4:5], 0x0
	s_ashr_i32 s30, s7, 31
	v_mov_b32_e32 v2, 0
	v_lshlrev_b32_e32 v8, 3, v0
	s_waitcnt lgkmcnt(0)
	s_mul_i32 s0, s7, s13
	s_mul_hi_u32 s1, s7, s12
	s_add_i32 s0, s1, s0
	s_mul_i32 s1, s30, s12
	s_add_i32 s25, s0, s1
	s_mul_i32 s0, s7, s19
	s_mul_hi_u32 s1, s7, s18
	s_add_i32 s0, s1, s0
	s_mul_i32 s1, s30, s18
	s_add_i32 s1, s0, s1
	s_mul_i32 s0, s7, s18
	s_lshl_b64 s[4:5], s[0:1], 3
	s_add_u32 s0, s14, s4
	s_mul_i32 s24, s7, s12
	s_addc_u32 s1, s15, s5
	s_lshl_b64 s[12:13], s[16:17], 3
	s_add_u32 s16, s0, s12
	s_addc_u32 s17, s1, s13
	v_cmp_gt_i32_e64 s[0:1], s6, v0
	v_mov_b32_e32 v3, v2
	s_and_saveexec_b64 s[18:19], s[0:1]
	s_cbranch_execz .LBB137_6
; %bb.1:
	s_lshl_b64 s[2:3], s[24:25], 3
	s_add_u32 s26, s8, s2
	s_addc_u32 s27, s9, s3
	s_lshl_b64 s[28:29], s[10:11], 3
	s_add_u32 s26, s26, s28
	s_addc_u32 s27, s27, s29
	global_load_dwordx2 v[2:3], v8, s[26:27]
	global_load_dwordx2 v[4:5], v8, s[16:17]
	v_or_b32_e32 v1, 0x400, v0
	v_cmp_gt_u32_e32 vcc, s6, v1
	s_waitcnt vmcnt(0)
	v_pk_mul_f32 v[6:7], v[4:5], v[2:3] op_sel:[1,0]
	ds_write2st64_b64 v8, v[2:3], v[4:5] offset1:16
	v_pk_fma_f32 v[10:11], v[4:5], v[2:3], v[6:7] op_sel:[0,0,1] op_sel_hi:[1,1,0]
	v_pk_fma_f32 v[2:3], v[4:5], v[2:3], v[6:7] op_sel:[0,0,1] op_sel_hi:[0,1,0] neg_lo:[0,0,1] neg_hi:[0,0,1]
	v_mov_b32_e32 v11, v3
	v_pk_add_f32 v[2:3], v[10:11], 0 op_sel_hi:[1,0]
	s_and_saveexec_b64 s[26:27], vcc
	s_cbranch_execz .LBB137_5
; %bb.2:
	s_add_u32 s2, s2, s28
	s_addc_u32 s3, s3, s29
	s_add_u32 s2, s8, s2
	s_addc_u32 s3, s9, s3
	v_mov_b32_e32 v4, s3
	v_add_co_u32_e32 v5, vcc, s2, v8
	s_add_u32 s2, s4, s12
	v_addc_co_u32_e32 v6, vcc, 0, v4, vcc
	s_addc_u32 s3, s5, s13
	v_add_co_u32_e32 v4, vcc, 0x2000, v5
	s_add_u32 s2, s14, s2
	v_addc_co_u32_e32 v5, vcc, 0, v6, vcc
	s_addc_u32 s3, s15, s3
	v_mov_b32_e32 v6, s3
	v_add_co_u32_e32 v7, vcc, s2, v8
	v_addc_co_u32_e32 v9, vcc, 0, v6, vcc
	v_add_co_u32_e32 v6, vcc, 0x2000, v7
	v_addc_co_u32_e32 v7, vcc, 0, v9, vcc
	s_mov_b64 s[28:29], 0
.LBB137_3:                              ; =>This Inner Loop Header: Depth=1
	global_load_dwordx2 v[10:11], v[4:5], off
	global_load_dwordx2 v[12:13], v[6:7], off
	v_add_co_u32_e32 v4, vcc, 0x2000, v4
	v_add_u32_e32 v1, 0x400, v1
	v_addc_co_u32_e32 v5, vcc, 0, v5, vcc
	v_add_co_u32_e32 v6, vcc, 0x2000, v6
	v_cmp_le_i32_e64 s[2:3], s6, v1
	v_addc_co_u32_e32 v7, vcc, 0, v7, vcc
	s_or_b64 s[28:29], s[2:3], s[28:29]
	s_waitcnt vmcnt(0)
	v_pk_mul_f32 v[14:15], v[12:13], v[10:11] op_sel:[0,1]
	v_pk_fma_f32 v[16:17], v[12:13], v[10:11], v[14:15] op_sel:[0,0,1] op_sel_hi:[1,1,0]
	v_pk_fma_f32 v[10:11], v[12:13], v[10:11], v[14:15] op_sel:[0,0,1] op_sel_hi:[1,0,0] neg_lo:[1,0,0] neg_hi:[1,0,0]
	v_mov_b32_e32 v17, v11
	v_pk_add_f32 v[2:3], v[2:3], v[16:17]
	s_andn2_b64 exec, exec, s[28:29]
	s_cbranch_execnz .LBB137_3
; %bb.4:
	s_or_b64 exec, exec, s[28:29]
.LBB137_5:
	s_or_b64 exec, exec, s[26:27]
.LBB137_6:
	s_or_b64 exec, exec, s[18:19]
	v_mbcnt_lo_u32_b32 v1, -1, 0
	v_mbcnt_hi_u32_b32 v1, -1, v1
	v_and_b32_e32 v6, 63, v1
	v_cmp_ne_u32_e32 vcc, 63, v6
	v_addc_co_u32_e32 v4, vcc, 0, v1, vcc
	v_lshlrev_b32_e32 v5, 2, v4
	ds_bpermute_b32 v4, v5, v2
	ds_bpermute_b32 v5, v5, v3
	v_cmp_gt_u32_e32 vcc, 62, v6
	s_waitcnt lgkmcnt(0)
	v_pk_add_f32 v[2:3], v[2:3], v[4:5]
	v_cndmask_b32_e64 v4, 0, 1, vcc
	v_lshlrev_b32_e32 v4, 1, v4
	v_add_lshl_u32 v5, v4, v1, 2
	ds_bpermute_b32 v4, v5, v2
	ds_bpermute_b32 v5, v5, v3
	v_cmp_gt_u32_e32 vcc, 60, v6
	v_cndmask_b32_e64 v7, 0, 1, vcc
	v_lshlrev_b32_e32 v7, 2, v7
	v_add_lshl_u32 v7, v7, v1, 2
	s_waitcnt lgkmcnt(0)
	v_pk_add_f32 v[2:3], v[2:3], v[4:5]
	ds_bpermute_b32 v4, v7, v2
	ds_bpermute_b32 v5, v7, v3
	v_cmp_gt_u32_e32 vcc, 56, v6
	v_cndmask_b32_e64 v7, 0, 1, vcc
	v_lshlrev_b32_e32 v7, 3, v7
	v_add_lshl_u32 v7, v7, v1, 2
	s_waitcnt lgkmcnt(0)
	v_pk_add_f32 v[2:3], v[2:3], v[4:5]
	;; [unrolled: 8-line block ×4, first 2 shown]
	ds_bpermute_b32 v4, v1, v2
	ds_bpermute_b32 v5, v1, v3
	v_and_b32_e32 v1, 63, v0
	v_cmp_eq_u32_e32 vcc, 0, v1
	s_waitcnt lgkmcnt(0)
	v_pk_add_f32 v[2:3], v[2:3], v[4:5]
	s_and_saveexec_b64 s[2:3], vcc
	s_cbranch_execz .LBB137_8
; %bb.7:
	v_lshrrev_b32_e32 v1, 3, v0
	ds_write_b64 v1, v[2:3] offset:16384
.LBB137_8:
	s_or_b64 exec, exec, s[2:3]
	v_cmp_eq_u32_e32 vcc, 0, v0
	s_waitcnt lgkmcnt(0)
	s_barrier
	s_and_saveexec_b64 s[2:3], vcc
	s_cbranch_execz .LBB137_10
; %bb.9:
	v_mov_b32_e32 v1, 0x4008
	ds_read2_b64 v[4:7], v1 offset1:1
	v_mov_b32_e32 v1, 0x4018
	ds_read2_b64 v[10:13], v1 offset1:1
	v_mov_b32_e32 v1, 0x4028
	s_mul_i32 s18, s7, s23
	s_waitcnt lgkmcnt(1)
	v_pk_add_f32 v[2:3], v[2:3], v[4:5]
	v_pk_add_f32 v[2:3], v[2:3], v[6:7]
	s_waitcnt lgkmcnt(0)
	v_pk_add_f32 v[6:7], v[2:3], v[10:11]
	ds_read2_b64 v[2:5], v1 offset1:1
	v_mov_b32_e32 v1, 0x4038
	v_pk_add_f32 v[6:7], v[6:7], v[12:13]
	ds_read2_b64 v[10:13], v1 offset1:1
	v_mov_b32_e32 v1, 0x4048
	s_waitcnt lgkmcnt(1)
	v_pk_add_f32 v[2:3], v[6:7], v[2:3]
	v_pk_add_f32 v[6:7], v[2:3], v[4:5]
	ds_read2_b64 v[2:5], v1 offset1:1
	s_mul_hi_u32 s19, s7, s22
	s_add_i32 s18, s19, s18
	s_mul_i32 s19, s30, s22
	s_waitcnt lgkmcnt(1)
	v_pk_add_f32 v[6:7], v[6:7], v[10:11]
	v_mov_b32_e32 v1, 0x4058
	s_add_i32 s19, s18, s19
	s_mul_i32 s18, s7, s22
	v_pk_add_f32 v[6:7], v[6:7], v[12:13]
	ds_read2_b64 v[10:13], v1 offset1:1
	s_lshl_b64 s[18:19], s[18:19], 3
	s_waitcnt lgkmcnt(1)
	v_pk_add_f32 v[2:3], v[6:7], v[2:3]
	v_mov_b32_e32 v1, 0x4068
	s_add_u32 s18, s20, s18
	v_pk_add_f32 v[6:7], v[2:3], v[4:5]
	ds_read2_b64 v[2:5], v1 offset1:1
	s_addc_u32 s19, s21, s19
	v_mov_b32_e32 v1, 0
	s_load_dwordx2 s[18:19], s[18:19], 0x0
	ds_read_b64 v[18:19], v1 offset:16504
	s_waitcnt lgkmcnt(0)
	v_pk_add_f32 v[6:7], v[6:7], v[10:11]
	v_pk_add_f32 v[6:7], v[6:7], v[12:13]
	;; [unrolled: 1-line block ×4, first 2 shown]
	v_mul_f32_e64 v16, s19, -0.5
	v_pk_add_f32 v[2:3], v[2:3], v[18:19]
	v_mul_f32_e64 v14, s18, -0.5
	v_pk_mul_f32 v[4:5], v[2:3], v[16:17] op_sel_hi:[1,0]
	v_pk_fma_f32 v[6:7], v[2:3], v[14:15], v[4:5] op_sel:[0,0,1] op_sel_hi:[1,1,0] neg_lo:[0,0,1] neg_hi:[0,0,1]
	v_pk_fma_f32 v[2:3], v[2:3], v[14:15], v[4:5] op_sel:[0,0,1] op_sel_hi:[1,0,0]
	v_mov_b32_e32 v7, v3
	ds_write_b64 v1, v[6:7] offset:16384
.LBB137_10:
	s_or_b64 exec, exec, s[2:3]
	s_waitcnt lgkmcnt(0)
	s_barrier
	s_and_saveexec_b64 s[2:3], s[0:1]
	s_cbranch_execz .LBB137_14
; %bb.11:
	v_mov_b32_e32 v1, 0
	ds_read2st64_b64 v[4:7], v8 offset1:16
	ds_read_b64 v[2:3], v1 offset:16384
	v_or_b32_e32 v9, 0x400, v0
	v_cmp_gt_i32_e32 vcc, s6, v9
	s_waitcnt lgkmcnt(0)
	v_pk_mul_f32 v[0:1], v[4:5], v[2:3] op_sel:[0,1]
	v_pk_fma_f32 v[10:11], v[4:5], v[2:3], v[0:1] op_sel:[0,0,1] op_sel_hi:[1,1,0] neg_lo:[0,0,1] neg_hi:[0,0,1]
	v_pk_fma_f32 v[0:1], v[4:5], v[2:3], v[0:1] op_sel:[0,0,1] op_sel_hi:[1,0,0]
	v_mov_b32_e32 v11, v1
	v_pk_add_f32 v[0:1], v[10:11], v[6:7]
	global_store_dwordx2 v8, v[0:1], s[16:17]
	s_and_b64 exec, exec, vcc
	s_cbranch_execz .LBB137_14
; %bb.12:
	s_lshl_b64 s[0:1], s[24:25], 3
	s_lshl_b64 s[2:3], s[10:11], 3
	s_add_u32 s0, s0, s2
	s_addc_u32 s1, s1, s3
	s_add_u32 s0, s8, s0
	s_addc_u32 s1, s9, s1
	v_mov_b32_e32 v4, s1
	v_add_co_u32_e32 v5, vcc, s0, v8
	s_add_u32 s0, s4, s12
	v_addc_co_u32_e32 v6, vcc, 0, v4, vcc
	s_addc_u32 s1, s5, s13
	v_add_co_u32_e32 v4, vcc, 0x2000, v5
	s_add_u32 s0, s14, s0
	v_addc_co_u32_e32 v5, vcc, 0, v6, vcc
	s_addc_u32 s1, s15, s1
	v_mov_b32_e32 v6, s1
	v_add_co_u32_e32 v7, vcc, s0, v8
	v_addc_co_u32_e32 v8, vcc, 0, v6, vcc
	v_add_co_u32_e32 v6, vcc, 0x2000, v7
	v_mov_b32_e32 v0, v3
	v_mov_b32_e32 v1, v3
	;; [unrolled: 1-line block ×3, first 2 shown]
	v_addc_co_u32_e32 v7, vcc, 0, v8, vcc
	s_mov_b64 s[0:1], 0
.LBB137_13:                             ; =>This Inner Loop Header: Depth=1
	global_load_dwordx2 v[10:11], v[4:5], off
	global_load_dwordx2 v[12:13], v[6:7], off
	v_add_co_u32_e32 v4, vcc, 0x2000, v4
	v_add_u32_e32 v9, 0x400, v9
	v_addc_co_u32_e32 v5, vcc, 0, v5, vcc
	v_cmp_le_i32_e32 vcc, s6, v9
	s_or_b64 s[0:1], vcc, s[0:1]
	s_waitcnt vmcnt(1)
	v_pk_mul_f32 v[14:15], v[10:11], v[0:1]
	v_pk_fma_f32 v[16:17], v[10:11], v[2:3], v[14:15] op_sel:[0,0,1] op_sel_hi:[1,1,0] neg_lo:[0,0,1] neg_hi:[0,0,1]
	v_pk_fma_f32 v[10:11], v[10:11], v[2:3], v[14:15] op_sel:[0,0,1] op_sel_hi:[1,1,0]
	v_mov_b32_e32 v17, v11
	s_waitcnt vmcnt(0)
	v_pk_add_f32 v[10:11], v[16:17], v[12:13]
	global_store_dwordx2 v[6:7], v[10:11], off
	v_add_co_u32_e32 v6, vcc, 0x2000, v6
	v_addc_co_u32_e32 v7, vcc, 0, v7, vcc
	s_andn2_b64 exec, exec, s[0:1]
	s_cbranch_execnz .LBB137_13
.LBB137_14:
	s_endpgm
	.section	.rodata,"a",@progbits
	.p2align	6, 0x0
	.amdhsa_kernel _ZN9rocsolver6v33100L20latrd_dot_scale_axpyILi1024E19rocblas_complex_numIfEiPS3_EEvT1_T2_llPT0_llS8_l
		.amdhsa_group_segment_fixed_size 16512
		.amdhsa_private_segment_fixed_size 0
		.amdhsa_kernarg_size 72
		.amdhsa_user_sgpr_count 6
		.amdhsa_user_sgpr_private_segment_buffer 1
		.amdhsa_user_sgpr_dispatch_ptr 0
		.amdhsa_user_sgpr_queue_ptr 0
		.amdhsa_user_sgpr_kernarg_segment_ptr 1
		.amdhsa_user_sgpr_dispatch_id 0
		.amdhsa_user_sgpr_flat_scratch_init 0
		.amdhsa_user_sgpr_kernarg_preload_length 0
		.amdhsa_user_sgpr_kernarg_preload_offset 0
		.amdhsa_user_sgpr_private_segment_size 0
		.amdhsa_uses_dynamic_stack 0
		.amdhsa_system_sgpr_private_segment_wavefront_offset 0
		.amdhsa_system_sgpr_workgroup_id_x 1
		.amdhsa_system_sgpr_workgroup_id_y 0
		.amdhsa_system_sgpr_workgroup_id_z 1
		.amdhsa_system_sgpr_workgroup_info 0
		.amdhsa_system_vgpr_workitem_id 0
		.amdhsa_next_free_vgpr 20
		.amdhsa_next_free_sgpr 31
		.amdhsa_accum_offset 20
		.amdhsa_reserve_vcc 1
		.amdhsa_reserve_flat_scratch 0
		.amdhsa_float_round_mode_32 0
		.amdhsa_float_round_mode_16_64 0
		.amdhsa_float_denorm_mode_32 3
		.amdhsa_float_denorm_mode_16_64 3
		.amdhsa_dx10_clamp 1
		.amdhsa_ieee_mode 1
		.amdhsa_fp16_overflow 0
		.amdhsa_tg_split 0
		.amdhsa_exception_fp_ieee_invalid_op 0
		.amdhsa_exception_fp_denorm_src 0
		.amdhsa_exception_fp_ieee_div_zero 0
		.amdhsa_exception_fp_ieee_overflow 0
		.amdhsa_exception_fp_ieee_underflow 0
		.amdhsa_exception_fp_ieee_inexact 0
		.amdhsa_exception_int_div_zero 0
	.end_amdhsa_kernel
	.section	.text._ZN9rocsolver6v33100L20latrd_dot_scale_axpyILi1024E19rocblas_complex_numIfEiPS3_EEvT1_T2_llPT0_llS8_l,"axG",@progbits,_ZN9rocsolver6v33100L20latrd_dot_scale_axpyILi1024E19rocblas_complex_numIfEiPS3_EEvT1_T2_llPT0_llS8_l,comdat
.Lfunc_end137:
	.size	_ZN9rocsolver6v33100L20latrd_dot_scale_axpyILi1024E19rocblas_complex_numIfEiPS3_EEvT1_T2_llPT0_llS8_l, .Lfunc_end137-_ZN9rocsolver6v33100L20latrd_dot_scale_axpyILi1024E19rocblas_complex_numIfEiPS3_EEvT1_T2_llPT0_llS8_l
                                        ; -- End function
	.section	.AMDGPU.csdata,"",@progbits
; Kernel info:
; codeLenInByte = 1504
; NumSgprs: 35
; NumVgprs: 20
; NumAgprs: 0
; TotalNumVgprs: 20
; ScratchSize: 0
; MemoryBound: 0
; FloatMode: 240
; IeeeMode: 1
; LDSByteSize: 16512 bytes/workgroup (compile time only)
; SGPRBlocks: 4
; VGPRBlocks: 2
; NumSGPRsForWavesPerEU: 35
; NumVGPRsForWavesPerEU: 20
; AccumOffset: 20
; Occupancy: 8
; WaveLimiterHint : 0
; COMPUTE_PGM_RSRC2:SCRATCH_EN: 0
; COMPUTE_PGM_RSRC2:USER_SGPR: 6
; COMPUTE_PGM_RSRC2:TRAP_HANDLER: 0
; COMPUTE_PGM_RSRC2:TGID_X_EN: 1
; COMPUTE_PGM_RSRC2:TGID_Y_EN: 0
; COMPUTE_PGM_RSRC2:TGID_Z_EN: 1
; COMPUTE_PGM_RSRC2:TIDIG_COMP_CNT: 0
; COMPUTE_PGM_RSRC3_GFX90A:ACCUM_OFFSET: 4
; COMPUTE_PGM_RSRC3_GFX90A:TG_SPLIT: 0
	.section	.text._ZN9rocsolver6v33100L26latrd_upper_updateA_kernelI19rocblas_complex_numIfEPS3_EEviiiT0_iilPT_iil,"axG",@progbits,_ZN9rocsolver6v33100L26latrd_upper_updateA_kernelI19rocblas_complex_numIfEPS3_EEviiiT0_iilPT_iil,comdat
	.globl	_ZN9rocsolver6v33100L26latrd_upper_updateA_kernelI19rocblas_complex_numIfEPS3_EEviiiT0_iilPT_iil ; -- Begin function _ZN9rocsolver6v33100L26latrd_upper_updateA_kernelI19rocblas_complex_numIfEPS3_EEviiiT0_iilPT_iil
	.p2align	8
	.type	_ZN9rocsolver6v33100L26latrd_upper_updateA_kernelI19rocblas_complex_numIfEPS3_EEviiiT0_iilPT_iil,@function
_ZN9rocsolver6v33100L26latrd_upper_updateA_kernelI19rocblas_complex_numIfEPS3_EEviiiT0_iilPT_iil: ; @_ZN9rocsolver6v33100L26latrd_upper_updateA_kernelI19rocblas_complex_numIfEPS3_EEviiiT0_iilPT_iil
; %bb.0:
	s_load_dword s0, s[4:5], 0x4c
	s_load_dwordx4 s[20:23], s[4:5], 0x0
	s_load_dwordx2 s[28:29], s[4:5], 0x40
	s_mov_b32 s30, 0
	s_waitcnt lgkmcnt(0)
	s_abs_i32 s1, s22
	s_and_b32 s33, s0, 0xffff
	v_cvt_f32_u32_e32 v1, s33
	s_sub_i32 s2, 0, s33
	s_ashr_i32 s23, s22, 31
	v_rcp_iflag_f32_e32 v1, v1
	v_mul_f32_e32 v1, 0x4f7ffffe, v1
	v_cvt_u32_f32_e32 v1, v1
	v_readfirstlane_b32 s3, v1
	s_mul_i32 s2, s2, s3
	s_mul_hi_u32 s2, s3, s2
	s_add_i32 s3, s3, s2
	s_mul_hi_u32 s2, s1, s3
	s_mul_i32 s3, s2, s33
	s_sub_i32 s1, s1, s3
	s_add_i32 s9, s2, 1
	s_sub_i32 s3, s1, s33
	s_cmp_ge_u32 s1, s33
	s_cselect_b32 s2, s9, s2
	s_cselect_b32 s1, s3, s1
	s_add_i32 s3, s2, 1
	s_cmp_ge_u32 s1, s33
	s_cselect_b32 s1, s3, s2
	s_abs_i32 s2, s28
	v_cvt_f32_u32_e32 v1, s2
	s_sub_i32 s3, 0, s2
	s_xor_b32 s1, s1, s23
	s_sub_i32 s1, s1, s23
	v_rcp_iflag_f32_e32 v1, v1
	s_xor_b32 s9, s1, s28
	s_abs_i32 s1, s1
	s_ashr_i32 s9, s9, 31
	v_mul_f32_e32 v1, 0x4f7ffffe, v1
	v_cvt_u32_f32_e32 v1, v1
	v_readfirstlane_b32 s10, v1
	s_mul_i32 s3, s3, s10
	s_mul_hi_u32 s3, s10, s3
	s_add_i32 s10, s10, s3
	s_mul_hi_u32 s3, s1, s10
	s_mul_i32 s10, s3, s2
	s_sub_i32 s1, s1, s10
	s_add_i32 s11, s3, 1
	s_sub_i32 s10, s1, s2
	s_cmp_ge_u32 s1, s2
	s_cselect_b32 s3, s11, s3
	s_cselect_b32 s1, s10, s1
	s_add_i32 s10, s3, 1
	s_cmp_ge_u32 s1, s2
	s_cselect_b32 s1, s10, s3
	s_xor_b32 s1, s1, s9
	s_sub_i32 s34, s1, s9
	s_cmp_lt_i32 s34, 0
	s_cbranch_scc1 .LBB138_20
; %bb.1:
	s_load_dwordx8 s[12:19], s[4:5], 0x10
	s_load_dwordx4 s[24:27], s[4:5], 0x30
	s_ashr_i32 s4, s8, 31
	s_lshr_b32 s35, s0, 16
	v_and_b32_e32 v12, 0x3ff, v0
	s_waitcnt lgkmcnt(0)
	s_mul_i32 s2, s8, s17
	s_mul_hi_u32 s3, s8, s16
	s_add_i32 s2, s3, s2
	s_mul_i32 s3, s4, s16
	s_add_i32 s3, s2, s3
	s_mul_i32 s2, s8, s16
	s_ashr_i32 s1, s14, 31
	s_lshl_b64 s[2:3], s[2:3], 3
	s_mov_b32 s0, s14
	s_add_u32 s2, s12, s2
	s_addc_u32 s3, s13, s3
	s_lshl_b64 s[0:1], s[0:1], 3
	s_add_u32 s5, s2, s0
	s_addc_u32 s9, s3, s1
	s_mul_i32 s2, s8, s27
	s_mul_hi_u32 s3, s8, s26
	s_add_i32 s2, s3, s2
	s_mul_i32 s4, s4, s26
	s_add_i32 s3, s2, s4
	s_mul_i32 s2, s8, s26
	s_ashr_i32 s1, s24, 31
	s_lshl_b64 s[2:3], s[2:3], 3
	s_mov_b32 s0, s24
	s_add_u32 s2, s18, s2
	s_addc_u32 s3, s19, s3
	s_lshl_b64 s[0:1], s[0:1], 3
	s_add_u32 s2, s2, s0
	s_addc_u32 s3, s3, s1
	s_not_b32 s18, s22
	s_mul_hi_i32 s1, s15, s22
	s_mul_i32 s0, s15, s22
	s_add_i32 s18, s18, s20
	s_add_i32 s4, s22, 1
	s_lshl_b64 s[0:1], s[0:1], 3
	v_bfe_u32 v13, v0, 10, 10
	s_add_u32 s19, s5, s0
	v_cvt_f32_u32_e32 v0, s35
	s_addc_u32 s24, s9, s1
	s_mul_hi_i32 s1, s15, s4
	s_mul_i32 s0, s15, s4
	s_lshl_b64 s[0:1], s[0:1], 3
	s_add_u32 s26, s5, s0
	s_addc_u32 s27, s9, s1
	s_sub_i32 s0, s21, s20
	v_rcp_iflag_f32_e32 v0, v0
	s_add_i32 s4, s4, s0
	s_mul_hi_i32 s1, s25, s4
	s_mul_i32 s0, s25, s4
	s_lshl_b64 s[0:1], s[0:1], 3
	s_add_u32 s20, s2, s0
	v_mul_f32_e32 v0, 0x4f7ffffe, v0
	s_addc_u32 s21, s3, s1
	s_lshl_b64 s[0:1], s[22:23], 3
	v_cvt_u32_f32_e32 v0, v0
	s_add_u32 s23, s20, s0
	s_addc_u32 s36, s21, s1
	s_add_u32 s37, s26, s0
	s_addc_u32 s38, s27, s1
	s_sub_i32 s2, 0, s35
	v_readfirstlane_b32 s3, v0
	s_mul_i32 s2, s2, s3
	s_add_i32 s0, s18, -1
	s_mul_hi_u32 s2, s3, s2
	s_ashr_i32 s1, s0, 31
	s_abs_i32 s0, s0
	s_add_i32 s3, s3, s2
	s_mul_hi_u32 s2, s0, s3
	s_mul_i32 s3, s2, s35
	s_sub_i32 s0, s0, s3
	s_add_i32 s3, s2, 1
	s_sub_i32 s4, s0, s35
	s_cmp_ge_u32 s0, s35
	s_cselect_b32 s2, s3, s2
	s_cselect_b32 s0, s4, s0
	s_add_i32 s3, s2, 1
	s_cmp_ge_u32 s0, s35
	s_cselect_b32 s0, s3, s2
	s_abs_i32 s2, s29
	v_cvt_f32_u32_e32 v0, s2
	s_sub_i32 s3, 0, s2
	s_xor_b32 s0, s0, s1
	s_sub_i32 s0, s0, s1
	v_rcp_iflag_f32_e32 v0, v0
	s_xor_b32 s1, s0, s29
	s_abs_i32 s0, s0
	s_ashr_i32 s1, s1, 31
	v_mul_f32_e32 v0, 0x4f7ffffe, v0
	v_cvt_u32_f32_e32 v0, v0
	s_mul_i32 s7, s7, s35
	v_add_u32_e32 v14, s7, v13
	s_mul_i32 s39, s29, s35
	v_readfirstlane_b32 s4, v0
	s_mul_i32 s3, s3, s4
	s_mul_hi_u32 s3, s4, s3
	s_add_i32 s4, s4, s3
	s_mul_hi_u32 s3, s0, s4
	s_mul_i32 s4, s3, s2
	s_sub_i32 s0, s0, s4
	s_add_i32 s4, s3, 1
	s_sub_i32 s5, s0, s2
	s_cmp_ge_u32 s0, s2
	s_cselect_b32 s3, s4, s3
	s_cselect_b32 s0, s5, s0
	s_add_i32 s4, s3, 1
	s_cmp_ge_u32 s0, s2
	s_cselect_b32 s0, s4, s3
	s_xor_b32 s0, s0, s1
	s_sub_i32 s7, s0, s1
	s_cmp_gt_i32 s7, -1
	v_mul_u32_u24_e32 v0, s33, v13
	v_lshl_add_u32 v15, v12, 3, 0
	s_mul_i32 s4, s6, s33
	v_cmp_ne_u32_e64 s[0:1], 0, v14
	v_lshl_add_u32 v16, v0, 3, v15
	v_cmp_gt_u16_e64 s[12:13], s35, 1
	v_cmp_ne_u32_e64 s[2:3], 0, v13
	s_cselect_b64 s[16:17], -1, 0
	s_add_i32 s7, s7, 1
	v_add_u32_e32 v17, s4, v12
	s_mul_i32 s29, s28, s33
	v_mul_lo_u32 v18, s15, v14
	s_mul_i32 s40, s39, s15
	v_mul_lo_u32 v19, s25, v14
	s_mul_i32 s25, s39, s25
	s_mov_b32 s41, 0
	s_branch .LBB138_3
.LBB138_2:                              ;   in Loop: Header=BB138_3 Depth=1
	s_or_b64 exec, exec, s[4:5]
	s_add_i32 s4, s41, 1
	v_add_u32_e32 v17, s29, v17
	s_cmp_eq_u32 s41, s34
	s_mov_b32 s41, s4
	s_cbranch_scc1 .LBB138_20
.LBB138_3:                              ; =>This Loop Header: Depth=1
                                        ;     Child Loop BB138_12 Depth 2
                                        ;     Child Loop BB138_9 Depth 2
	s_mul_i32 s4, s41, s28
	s_add_i32 s4, s4, s6
	s_mul_i32 s4, s4, s33
	v_add_u32_e32 v0, s4, v12
	v_cmp_lt_i32_e64 s[4:5], s22, v0
	s_or_b64 s[8:9], s[0:1], s[4:5]
	s_mov_b32 s31, s30
	s_xor_b64 s[10:11], s[8:9], -1
	v_pk_mov_b32 v[2:3], s[30:31], s[30:31] op_sel:[0,1]
	v_ashrrev_i32_e32 v1, 31, v0
	s_and_saveexec_b64 s[8:9], s[10:11]
	s_cbranch_execz .LBB138_5
; %bb.4:                                ;   in Loop: Header=BB138_3 Depth=1
	v_lshlrev_b64 v[2:3], 3, v[0:1]
	v_mov_b32_e32 v4, s24
	v_add_co_u32_e32 v2, vcc, s19, v2
	v_addc_co_u32_e32 v3, vcc, v4, v3, vcc
	global_load_dwordx2 v[2:3], v[2:3], off
.LBB138_5:                              ;   in Loop: Header=BB138_3 Depth=1
	s_or_b64 exec, exec, s[8:9]
	s_andn2_b64 vcc, exec, s[16:17]
	v_mov_b32_e32 v20, v14
	v_mov_b32_e32 v4, v19
	;; [unrolled: 1-line block ×3, first 2 shown]
	s_mov_b32 s31, s7
	s_cbranch_vccz .LBB138_12
.LBB138_6:                              ;   in Loop: Header=BB138_3 Depth=1
	s_andn2_b64 vcc, exec, s[12:13]
	s_mov_b32 s10, s35
	s_waitcnt vmcnt(0)
	ds_write_b64 v16, v[2:3]
	s_waitcnt lgkmcnt(0)
	s_barrier
	s_cbranch_vccnz .LBB138_18
; %bb.7:                                ;   in Loop: Header=BB138_3 Depth=1
	s_lshr_b32 s11, s10, 1
	v_cmp_gt_u32_e32 vcc, s11, v13
	s_and_saveexec_b64 s[8:9], vcc
	s_cbranch_execz .LBB138_9
.LBB138_8:                              ;   in Loop: Header=BB138_3 Depth=1
	v_add_u32_e32 v4, s11, v13
	v_mul_u32_u24_e32 v4, s33, v4
	v_lshl_add_u32 v4, v4, 3, v15
	ds_read_b64 v[4:5], v4
	s_waitcnt lgkmcnt(0)
	v_pk_add_f32 v[2:3], v[2:3], v[4:5]
	ds_write_b64 v16, v[2:3]
.LBB138_9:                              ;   Parent Loop BB138_3 Depth=1
                                        ; =>  This Inner Loop Header: Depth=2
	s_or_b64 exec, exec, s[8:9]
	s_cmp_lt_u32 s10, 4
	s_waitcnt lgkmcnt(0)
	s_barrier
	s_cbranch_scc1 .LBB138_18
; %bb.10:                               ;   in Loop: Header=BB138_9 Depth=2
	s_mov_b32 s10, s11
	s_lshr_b32 s11, s10, 1
	v_cmp_gt_u32_e32 vcc, s11, v13
	s_and_saveexec_b64 s[8:9], vcc
	s_cbranch_execnz .LBB138_8
	s_branch .LBB138_9
.LBB138_11:                             ;   in Loop: Header=BB138_12 Depth=2
	s_or_b64 exec, exec, s[8:9]
	s_add_i32 s31, s31, -1
	v_add_u32_e32 v6, s40, v6
	v_add_u32_e32 v4, s25, v4
	s_cmp_eq_u32 s31, 0
	v_add_u32_e32 v20, s39, v20
	s_cbranch_scc1 .LBB138_6
.LBB138_12:                             ;   Parent Loop BB138_3 Depth=1
                                        ; =>  This Inner Loop Header: Depth=2
	v_cmp_le_i32_e32 vcc, s18, v20
	v_cmp_gt_i32_e64 s[8:9], s18, v20
	v_mov_b32_e32 v8, 0
	v_mov_b32_e32 v10, 0
	;; [unrolled: 1-line block ×3, first 2 shown]
	s_and_saveexec_b64 s[14:15], s[8:9]
	s_cbranch_execz .LBB138_14
; %bb.13:                               ;   in Loop: Header=BB138_12 Depth=2
	v_ashrrev_i32_e32 v5, 31, v4
	v_lshlrev_b64 v[10:11], 3, v[4:5]
	v_mov_b32_e32 v5, s36
	v_add_co_u32_e64 v10, s[10:11], s23, v10
	v_addc_co_u32_e64 v11, s[10:11], v5, v11, s[10:11]
	global_load_dwordx2 v[10:11], v[10:11], off
	s_waitcnt vmcnt(0)
	v_xor_b32_e32 v11, 0x80000000, v11
.LBB138_14:                             ;   in Loop: Header=BB138_12 Depth=2
	s_or_b64 exec, exec, s[14:15]
	v_mov_b32_e32 v9, 0
	s_and_saveexec_b64 s[10:11], s[8:9]
	s_cbranch_execz .LBB138_16
; %bb.15:                               ;   in Loop: Header=BB138_12 Depth=2
	v_ashrrev_i32_e32 v7, 31, v6
	v_lshlrev_b64 v[8:9], 3, v[6:7]
	v_mov_b32_e32 v5, s38
	v_add_co_u32_e64 v8, s[8:9], s37, v8
	v_addc_co_u32_e64 v9, s[8:9], v5, v9, s[8:9]
	global_load_dwordx2 v[8:9], v[8:9], off
	s_waitcnt vmcnt(0)
	v_xor_b32_e32 v9, 0x80000000, v9
.LBB138_16:                             ;   in Loop: Header=BB138_12 Depth=2
	s_or_b64 exec, exec, s[10:11]
	s_or_b64 s[8:9], s[4:5], vcc
	s_xor_b64 s[10:11], s[8:9], -1
	s_and_saveexec_b64 s[8:9], s[10:11]
	s_cbranch_execz .LBB138_11
; %bb.17:                               ;   in Loop: Header=BB138_12 Depth=2
	v_add_u32_e32 v22, v17, v6
	v_ashrrev_i32_e32 v23, 31, v22
	v_lshlrev_b64 v[22:23], 3, v[22:23]
	v_add_u32_e32 v24, v17, v4
	v_mov_b32_e32 v5, s27
	v_add_co_u32_e32 v22, vcc, s26, v22
	v_ashrrev_i32_e32 v25, 31, v24
	v_addc_co_u32_e32 v23, vcc, v5, v23, vcc
	v_lshlrev_b64 v[24:25], 3, v[24:25]
	v_mov_b32_e32 v5, s21
	v_add_co_u32_e32 v24, vcc, s20, v24
	v_addc_co_u32_e32 v25, vcc, v5, v25, vcc
	global_load_dwordx2 v[22:23], v[22:23], off
	s_waitcnt vmcnt(0)
	v_pk_mul_f32 v[26:27], v[10:11], v[22:23] op_sel:[0,1]
	global_load_dwordx2 v[24:25], v[24:25], off
	v_pk_fma_f32 v[30:31], v[10:11], v[22:23], v[26:27] op_sel:[0,0,1] op_sel_hi:[1,1,0] neg_lo:[0,0,1] neg_hi:[0,0,1]
	v_pk_fma_f32 v[10:11], v[10:11], v[22:23], v[26:27] op_sel:[0,0,1] op_sel_hi:[1,0,0]
	v_mov_b32_e32 v31, v11
	s_waitcnt vmcnt(0)
	v_pk_mul_f32 v[28:29], v[8:9], v[24:25] op_sel:[0,1]
	v_pk_fma_f32 v[22:23], v[8:9], v[24:25], v[28:29] op_sel:[0,0,1] op_sel_hi:[1,1,0] neg_lo:[0,0,1] neg_hi:[0,0,1]
	v_pk_fma_f32 v[8:9], v[8:9], v[24:25], v[28:29] op_sel:[0,0,1] op_sel_hi:[1,0,0]
	v_mov_b32_e32 v23, v9
	v_pk_add_f32 v[8:9], v[30:31], v[22:23]
	v_pk_add_f32 v[2:3], v[2:3], v[8:9] neg_lo:[0,1] neg_hi:[0,1]
	s_branch .LBB138_11
.LBB138_18:                             ;   in Loop: Header=BB138_3 Depth=1
	s_or_b64 s[4:5], s[2:3], s[4:5]
	s_xor_b64 s[8:9], s[4:5], -1
	s_and_saveexec_b64 s[4:5], s[8:9]
	s_cbranch_execz .LBB138_2
; %bb.19:                               ;   in Loop: Header=BB138_3 Depth=1
	v_lshlrev_b64 v[0:1], 3, v[0:1]
	v_mov_b32_e32 v4, s24
	v_add_co_u32_e32 v0, vcc, s19, v0
	v_addc_co_u32_e32 v1, vcc, v4, v1, vcc
	global_store_dwordx2 v[0:1], v[2:3], off
	s_branch .LBB138_2
.LBB138_20:
	s_endpgm
	.section	.rodata,"a",@progbits
	.p2align	6, 0x0
	.amdhsa_kernel _ZN9rocsolver6v33100L26latrd_upper_updateA_kernelI19rocblas_complex_numIfEPS3_EEviiiT0_iilPT_iil
		.amdhsa_group_segment_fixed_size 0
		.amdhsa_private_segment_fixed_size 0
		.amdhsa_kernarg_size 320
		.amdhsa_user_sgpr_count 6
		.amdhsa_user_sgpr_private_segment_buffer 1
		.amdhsa_user_sgpr_dispatch_ptr 0
		.amdhsa_user_sgpr_queue_ptr 0
		.amdhsa_user_sgpr_kernarg_segment_ptr 1
		.amdhsa_user_sgpr_dispatch_id 0
		.amdhsa_user_sgpr_flat_scratch_init 0
		.amdhsa_user_sgpr_kernarg_preload_length 0
		.amdhsa_user_sgpr_kernarg_preload_offset 0
		.amdhsa_user_sgpr_private_segment_size 0
		.amdhsa_uses_dynamic_stack 0
		.amdhsa_system_sgpr_private_segment_wavefront_offset 0
		.amdhsa_system_sgpr_workgroup_id_x 1
		.amdhsa_system_sgpr_workgroup_id_y 1
		.amdhsa_system_sgpr_workgroup_id_z 1
		.amdhsa_system_sgpr_workgroup_info 0
		.amdhsa_system_vgpr_workitem_id 1
		.amdhsa_next_free_vgpr 32
		.amdhsa_next_free_sgpr 42
		.amdhsa_accum_offset 32
		.amdhsa_reserve_vcc 1
		.amdhsa_reserve_flat_scratch 0
		.amdhsa_float_round_mode_32 0
		.amdhsa_float_round_mode_16_64 0
		.amdhsa_float_denorm_mode_32 3
		.amdhsa_float_denorm_mode_16_64 3
		.amdhsa_dx10_clamp 1
		.amdhsa_ieee_mode 1
		.amdhsa_fp16_overflow 0
		.amdhsa_tg_split 0
		.amdhsa_exception_fp_ieee_invalid_op 0
		.amdhsa_exception_fp_denorm_src 0
		.amdhsa_exception_fp_ieee_div_zero 0
		.amdhsa_exception_fp_ieee_overflow 0
		.amdhsa_exception_fp_ieee_underflow 0
		.amdhsa_exception_fp_ieee_inexact 0
		.amdhsa_exception_int_div_zero 0
	.end_amdhsa_kernel
	.section	.text._ZN9rocsolver6v33100L26latrd_upper_updateA_kernelI19rocblas_complex_numIfEPS3_EEviiiT0_iilPT_iil,"axG",@progbits,_ZN9rocsolver6v33100L26latrd_upper_updateA_kernelI19rocblas_complex_numIfEPS3_EEviiiT0_iilPT_iil,comdat
.Lfunc_end138:
	.size	_ZN9rocsolver6v33100L26latrd_upper_updateA_kernelI19rocblas_complex_numIfEPS3_EEviiiT0_iilPT_iil, .Lfunc_end138-_ZN9rocsolver6v33100L26latrd_upper_updateA_kernelI19rocblas_complex_numIfEPS3_EEviiiT0_iilPT_iil
                                        ; -- End function
	.section	.AMDGPU.csdata,"",@progbits
; Kernel info:
; codeLenInByte = 1516
; NumSgprs: 46
; NumVgprs: 32
; NumAgprs: 0
; TotalNumVgprs: 32
; ScratchSize: 0
; MemoryBound: 0
; FloatMode: 240
; IeeeMode: 1
; LDSByteSize: 0 bytes/workgroup (compile time only)
; SGPRBlocks: 5
; VGPRBlocks: 3
; NumSGPRsForWavesPerEU: 46
; NumVGPRsForWavesPerEU: 32
; AccumOffset: 32
; Occupancy: 8
; WaveLimiterHint : 0
; COMPUTE_PGM_RSRC2:SCRATCH_EN: 0
; COMPUTE_PGM_RSRC2:USER_SGPR: 6
; COMPUTE_PGM_RSRC2:TRAP_HANDLER: 0
; COMPUTE_PGM_RSRC2:TGID_X_EN: 1
; COMPUTE_PGM_RSRC2:TGID_Y_EN: 1
; COMPUTE_PGM_RSRC2:TGID_Z_EN: 1
; COMPUTE_PGM_RSRC2:TIDIG_COMP_CNT: 1
; COMPUTE_PGM_RSRC3_GFX90A:ACCUM_OFFSET: 7
; COMPUTE_PGM_RSRC3_GFX90A:TG_SPLIT: 0
	.section	.text._ZN9rocsolver6v33100L33latrd_upper_computeW_gemvt_kernelILi256E19rocblas_complex_numIfEPS3_EEviiiT1_iilPT0_iilS7_iilS7_l,"axG",@progbits,_ZN9rocsolver6v33100L33latrd_upper_computeW_gemvt_kernelILi256E19rocblas_complex_numIfEPS3_EEviiiT1_iilPT0_iilS7_iilS7_l,comdat
	.globl	_ZN9rocsolver6v33100L33latrd_upper_computeW_gemvt_kernelILi256E19rocblas_complex_numIfEPS3_EEviiiT1_iilPT0_iilS7_iilS7_l ; -- Begin function _ZN9rocsolver6v33100L33latrd_upper_computeW_gemvt_kernelILi256E19rocblas_complex_numIfEPS3_EEviiiT1_iilPT0_iilS7_iilS7_l
	.p2align	8
	.type	_ZN9rocsolver6v33100L33latrd_upper_computeW_gemvt_kernelILi256E19rocblas_complex_numIfEPS3_EEviiiT1_iilPT0_iilS7_iilS7_l,@function
_ZN9rocsolver6v33100L33latrd_upper_computeW_gemvt_kernelILi256E19rocblas_complex_numIfEPS3_EEviiiT1_iilPT0_iilS7_iilS7_l: ; @_ZN9rocsolver6v33100L33latrd_upper_computeW_gemvt_kernelILi256E19rocblas_complex_numIfEPS3_EEviiiT1_iilPT0_iilS7_iilS7_l
; %bb.0:
	s_load_dwordx4 s[16:19], s[4:5], 0x0
	s_load_dwordx4 s[0:3], s[4:5], 0x38
	s_waitcnt lgkmcnt(0)
	s_ashr_i32 s19, s7, 31
	v_mov_b32_e32 v3, 0
	v_mov_b32_e32 v2, 0
	s_cmp_lt_i32 s6, s16
	s_cselect_b64 s[22:23], -1, 0
	s_and_b64 s[8:9], s[22:23], exec
	s_cselect_b32 s8, 0, s16
	s_sub_i32 s20, s6, s8
	s_ashr_i32 s21, s20, 31
	s_mov_b64 s[8:9], -1
	s_cmp_eq_u32 s20, s18
	s_cbranch_scc1 .LBB139_11
; %bb.1:
	s_load_dwordx8 s[8:15], s[4:5], 0x10
	s_load_dwordx2 s[28:29], s[4:5], 0x30
	s_mul_i32 s1, s7, s1
	v_cmp_gt_i32_e32 vcc, s18, v0
	v_cndmask_b32_e32 v1, 0, v0, vcc
	s_waitcnt lgkmcnt(0)
	s_ashr_i32 s27, s10, 31
	s_mov_b32 s26, s10
	s_mul_i32 s6, s7, s13
	s_mul_hi_u32 s10, s7, s12
	s_add_i32 s6, s10, s6
	s_mul_i32 s10, s19, s12
	s_add_i32 s13, s6, s10
	s_mul_i32 s12, s7, s12
	s_lshl_b64 s[24:25], s[12:13], 3
	s_add_u32 s6, s8, s24
	s_addc_u32 s10, s9, s25
	s_lshl_b64 s[26:27], s[26:27], 3
	s_add_u32 s6, s6, s26
	s_addc_u32 s13, s10, s27
	s_mul_hi_u32 s10, s7, s0
	s_add_i32 s1, s10, s1
	s_mul_i32 s10, s19, s0
	s_add_i32 s1, s1, s10
	s_mul_i32 s0, s7, s0
	s_ashr_i32 s31, s28, 31
	s_lshl_b64 s[0:1], s[0:1], 3
	s_mov_b32 s30, s28
	s_add_u32 s10, s14, s0
	s_addc_u32 s12, s15, s1
	s_lshl_b64 s[0:1], s[30:31], 3
	s_add_u32 s10, s10, s0
	s_addc_u32 s12, s12, s1
	s_sub_i32 s0, s17, s16
	s_add_i32 s0, s0, s18
	s_add_i32 s0, s0, 1
	s_mul_hi_i32 s1, s29, s0
	s_mul_i32 s0, s29, s0
	s_lshl_b64 s[0:1], s[0:1], 3
	s_add_u32 s10, s10, s0
	s_addc_u32 s12, s12, s1
	s_and_b64 s[14:15], s[22:23], exec
	s_cselect_b32 s16, s13, s12
	s_cselect_b32 s17, s6, s10
	;; [unrolled: 1-line block ×3, first 2 shown]
	s_ashr_i32 s12, s18, 31
	s_lshr_b32 s12, s12, 24
	s_mov_b32 s14, 0
	s_add_i32 s12, s18, s12
	s_and_b32 s12, s12, 0xffffff00
	s_mov_b32 s15, s14
	s_mul_hi_i32 s1, s11, s18
	s_mul_i32 s0, s11, s18
	s_mul_hi_i32 s11, s10, s20
	s_mul_i32 s10, s10, s20
	s_cmpk_lt_i32 s18, 0x100
	v_pk_mov_b32 v[2:3], s[14:15], s[14:15] op_sel:[0,1]
	v_lshlrev_b32_e32 v1, 3, v1
	s_cbranch_scc1 .LBB139_4
; %bb.2:
	s_lshl_b64 s[28:29], s[0:1], 3
	s_add_u32 s15, s24, s28
	s_addc_u32 s24, s25, s29
	s_add_u32 s15, s15, s26
	s_addc_u32 s24, s24, s27
	s_add_u32 s8, s8, s15
	v_lshlrev_b32_e32 v2, 3, v0
	s_addc_u32 s9, s9, s24
	v_mov_b32_e32 v3, s9
	v_add_co_u32_e32 v4, vcc, s8, v2
	s_lshl_b64 s[8:9], s[10:11], 3
	s_add_u32 s8, s17, s8
	v_addc_co_u32_e32 v5, vcc, 0, v3, vcc
	s_addc_u32 s9, s16, s9
	v_mov_b32_e32 v2, s9
	v_add_co_u32_e32 v3, vcc, s8, v1
	v_addc_co_u32_e32 v2, vcc, 0, v2, vcc
	v_add_co_u32_e32 v6, vcc, 4, v3
	v_addc_co_u32_e32 v7, vcc, 0, v2, vcc
	v_mov_b32_e32 v2, 0
	v_mov_b32_e32 v3, v2
.LBB139_3:                              ; =>This Inner Loop Header: Depth=1
	global_load_dwordx2 v[8:9], v[6:7], off offset:-4
	global_load_dwordx2 v[10:11], v[4:5], off
	v_add_co_u32_e32 v4, vcc, 0x800, v4
	v_addc_co_u32_e32 v5, vcc, 0, v5, vcc
	s_addk_i32 s14, 0x100
	v_add_co_u32_e32 v6, vcc, 0x800, v6
	s_cmp_ge_i32 s14, s12
	v_addc_co_u32_e32 v7, vcc, 0, v7, vcc
	s_waitcnt vmcnt(0)
	v_pk_mul_f32 v[12:13], v[8:9], v[10:11] op_sel:[1,0]
	v_pk_fma_f32 v[14:15], v[8:9], v[10:11], v[12:13] op_sel:[0,0,1] op_sel_hi:[1,1,0]
	v_pk_fma_f32 v[8:9], v[8:9], v[10:11], v[12:13] op_sel:[0,0,1] op_sel_hi:[0,1,0] neg_lo:[0,0,1] neg_hi:[0,0,1]
	v_mov_b32_e32 v15, v9
	v_pk_add_f32 v[2:3], v[2:3], v[14:15]
	s_cbranch_scc0 .LBB139_3
.LBB139_4:
	v_add_u32_e32 v4, s12, v0
	v_cmp_gt_i32_e32 vcc, s18, v4
	s_and_saveexec_b64 s[8:9], vcc
	s_cbranch_execz .LBB139_6
; %bb.5:
	s_lshl_b64 s[0:1], s[0:1], 3
	s_add_u32 s6, s6, s0
	s_addc_u32 s14, s13, s1
	s_ashr_i32 s13, s12, 31
	s_lshl_b64 s[0:1], s[10:11], 3
	s_lshl_b64 s[10:11], s[12:13], 3
	s_add_u32 s0, s10, s0
	s_addc_u32 s1, s11, s1
	v_ashrrev_i32_e32 v5, 31, v4
	s_add_u32 s0, s0, s17
	v_lshlrev_b64 v[4:5], 3, v[4:5]
	s_addc_u32 s1, s1, s16
	v_mov_b32_e32 v6, s14
	v_add_co_u32_e32 v4, vcc, s6, v4
	v_addc_co_u32_e32 v5, vcc, v6, v5, vcc
	global_load_dwordx2 v[6:7], v1, s[0:1]
	global_load_dwordx2 v[8:9], v[4:5], off
	s_waitcnt vmcnt(1)
	v_mov_b32_e32 v4, v7
	s_waitcnt vmcnt(0)
	v_pk_mul_f32 v[10:11], v[6:7], v[8:9] op_sel:[0,1] op_sel_hi:[1,0]
	v_pk_mul_f32 v[4:5], v[4:5], v[8:9] op_sel:[0,1] op_sel_hi:[1,0]
	v_mov_b32_e32 v1, v10
	v_pk_fma_f32 v[4:5], v[6:7], v[8:9], v[4:5]
	v_pk_fma_f32 v[6:7], v[6:7], v[8:9], v[0:1] op_sel:[0,1,0] op_sel_hi:[1,0,1] neg_lo:[1,0,0] neg_hi:[1,0,0]
	v_mov_b32_e32 v5, v7
	v_pk_add_f32 v[2:3], v[2:3], v[4:5]
.LBB139_6:
	s_or_b64 exec, exec, s[8:9]
	v_mbcnt_lo_u32_b32 v1, -1, 0
	v_mbcnt_hi_u32_b32 v1, -1, v1
	v_and_b32_e32 v6, 63, v1
	v_cmp_ne_u32_e32 vcc, 63, v6
	v_addc_co_u32_e32 v4, vcc, 0, v1, vcc
	v_lshlrev_b32_e32 v5, 2, v4
	ds_bpermute_b32 v4, v5, v2
	ds_bpermute_b32 v5, v5, v3
	v_cmp_gt_u32_e32 vcc, 62, v6
	v_cndmask_b32_e64 v7, 0, 1, vcc
	v_lshlrev_b32_e32 v7, 1, v7
	v_add_lshl_u32 v7, v7, v1, 2
	s_waitcnt lgkmcnt(0)
	v_pk_add_f32 v[2:3], v[2:3], v[4:5]
	ds_bpermute_b32 v4, v7, v2
	ds_bpermute_b32 v5, v7, v3
	v_cmp_gt_u32_e32 vcc, 60, v6
	v_cndmask_b32_e64 v7, 0, 1, vcc
	v_lshlrev_b32_e32 v7, 2, v7
	v_add_lshl_u32 v7, v7, v1, 2
	s_waitcnt lgkmcnt(0)
	v_pk_add_f32 v[2:3], v[2:3], v[4:5]
	;; [unrolled: 8-line block ×5, first 2 shown]
	ds_bpermute_b32 v4, v1, v2
	ds_bpermute_b32 v5, v1, v3
	v_and_b32_e32 v1, 63, v0
	v_cmp_eq_u32_e32 vcc, 0, v1
	s_waitcnt lgkmcnt(0)
	v_pk_add_f32 v[4:5], v[2:3], v[4:5]
	s_and_saveexec_b64 s[0:1], vcc
	s_cbranch_execz .LBB139_8
; %bb.7:
	v_lshrrev_b32_e32 v1, 3, v0
	ds_write_b64 v1, v[4:5]
.LBB139_8:
	s_or_b64 exec, exec, s[0:1]
	v_cmp_eq_u32_e32 vcc, 0, v0
	s_mov_b64 s[8:9], 0
	v_mov_b32_e32 v3, 0
	v_mov_b32_e32 v2, 0
	s_waitcnt lgkmcnt(0)
	s_barrier
	s_and_saveexec_b64 s[0:1], vcc
	s_cbranch_execz .LBB139_10
; %bb.9:
	v_mov_b32_e32 v1, 0
	ds_read2_b64 v[6:9], v1 offset0:1 offset1:2
	ds_read_b64 v[2:3], v1 offset:24
	s_mov_b64 s[8:9], exec
	s_waitcnt lgkmcnt(1)
	v_pk_add_f32 v[4:5], v[4:5], v[6:7]
	v_pk_add_f32 v[4:5], v[4:5], v[8:9]
	s_waitcnt lgkmcnt(0)
	v_pk_add_f32 v[2:3], v[4:5], v[2:3]
.LBB139_10:
	s_or_b64 exec, exec, s[0:1]
.LBB139_11:
	s_and_saveexec_b64 s[0:1], s[8:9]
	s_cbranch_execz .LBB139_14
; %bb.12:
	v_cmp_eq_u32_e32 vcc, 0, v0
	s_and_b64 exec, exec, vcc
	s_cbranch_execz .LBB139_14
; %bb.13:
	s_load_dword s0, s[4:5], 0x48
	s_load_dwordx4 s[8:11], s[4:5], 0x50
	s_load_dwordx2 s[12:13], s[4:5], 0x60
	v_mov_b32_e32 v0, 0
	s_waitcnt lgkmcnt(0)
	s_ashr_i32 s1, s0, 31
	s_mul_i32 s4, s7, s9
	s_mul_hi_u32 s5, s7, s8
	s_add_i32 s4, s5, s4
	s_mul_i32 s5, s19, s8
	s_add_i32 s5, s4, s5
	s_mul_i32 s4, s7, s8
	s_lshl_b64 s[4:5], s[4:5], 3
	s_add_u32 s2, s2, s4
	s_addc_u32 s3, s3, s5
	s_lshl_b64 s[0:1], s[0:1], 3
	s_add_u32 s2, s2, s0
	s_addc_u32 s3, s3, s1
	s_mul_i32 s0, s7, s13
	s_mul_hi_u32 s1, s7, s12
	s_add_i32 s0, s1, s0
	s_mul_i32 s1, s19, s12
	s_add_i32 s1, s0, s1
	s_mul_i32 s0, s7, s12
	s_lshl_b64 s[0:1], s[0:1], 3
	s_add_u32 s4, s10, s0
	s_addc_u32 s5, s11, s1
	s_and_b64 s[0:1], s[22:23], exec
	s_cselect_b32 s3, s3, s5
	s_cselect_b32 s2, s2, s4
	s_lshl_b64 s[0:1], s[20:21], 3
	s_add_u32 s0, s2, s0
	s_addc_u32 s1, s3, s1
	global_store_dwordx2 v0, v[2:3], s[0:1]
.LBB139_14:
	s_endpgm
	.section	.rodata,"a",@progbits
	.p2align	6, 0x0
	.amdhsa_kernel _ZN9rocsolver6v33100L33latrd_upper_computeW_gemvt_kernelILi256E19rocblas_complex_numIfEPS3_EEviiiT1_iilPT0_iilS7_iilS7_l
		.amdhsa_group_segment_fixed_size 2048
		.amdhsa_private_segment_fixed_size 0
		.amdhsa_kernarg_size 104
		.amdhsa_user_sgpr_count 6
		.amdhsa_user_sgpr_private_segment_buffer 1
		.amdhsa_user_sgpr_dispatch_ptr 0
		.amdhsa_user_sgpr_queue_ptr 0
		.amdhsa_user_sgpr_kernarg_segment_ptr 1
		.amdhsa_user_sgpr_dispatch_id 0
		.amdhsa_user_sgpr_flat_scratch_init 0
		.amdhsa_user_sgpr_kernarg_preload_length 0
		.amdhsa_user_sgpr_kernarg_preload_offset 0
		.amdhsa_user_sgpr_private_segment_size 0
		.amdhsa_uses_dynamic_stack 0
		.amdhsa_system_sgpr_private_segment_wavefront_offset 0
		.amdhsa_system_sgpr_workgroup_id_x 1
		.amdhsa_system_sgpr_workgroup_id_y 0
		.amdhsa_system_sgpr_workgroup_id_z 1
		.amdhsa_system_sgpr_workgroup_info 0
		.amdhsa_system_vgpr_workitem_id 0
		.amdhsa_next_free_vgpr 16
		.amdhsa_next_free_sgpr 32
		.amdhsa_accum_offset 16
		.amdhsa_reserve_vcc 1
		.amdhsa_reserve_flat_scratch 0
		.amdhsa_float_round_mode_32 0
		.amdhsa_float_round_mode_16_64 0
		.amdhsa_float_denorm_mode_32 3
		.amdhsa_float_denorm_mode_16_64 3
		.amdhsa_dx10_clamp 1
		.amdhsa_ieee_mode 1
		.amdhsa_fp16_overflow 0
		.amdhsa_tg_split 0
		.amdhsa_exception_fp_ieee_invalid_op 0
		.amdhsa_exception_fp_denorm_src 0
		.amdhsa_exception_fp_ieee_div_zero 0
		.amdhsa_exception_fp_ieee_overflow 0
		.amdhsa_exception_fp_ieee_underflow 0
		.amdhsa_exception_fp_ieee_inexact 0
		.amdhsa_exception_int_div_zero 0
	.end_amdhsa_kernel
	.section	.text._ZN9rocsolver6v33100L33latrd_upper_computeW_gemvt_kernelILi256E19rocblas_complex_numIfEPS3_EEviiiT1_iilPT0_iilS7_iilS7_l,"axG",@progbits,_ZN9rocsolver6v33100L33latrd_upper_computeW_gemvt_kernelILi256E19rocblas_complex_numIfEPS3_EEviiiT1_iilPT0_iilS7_iilS7_l,comdat
.Lfunc_end139:
	.size	_ZN9rocsolver6v33100L33latrd_upper_computeW_gemvt_kernelILi256E19rocblas_complex_numIfEPS3_EEviiiT1_iilPT0_iilS7_iilS7_l, .Lfunc_end139-_ZN9rocsolver6v33100L33latrd_upper_computeW_gemvt_kernelILi256E19rocblas_complex_numIfEPS3_EEviiiT1_iilPT0_iilS7_iilS7_l
                                        ; -- End function
	.section	.AMDGPU.csdata,"",@progbits
; Kernel info:
; codeLenInByte = 1276
; NumSgprs: 36
; NumVgprs: 16
; NumAgprs: 0
; TotalNumVgprs: 16
; ScratchSize: 0
; MemoryBound: 0
; FloatMode: 240
; IeeeMode: 1
; LDSByteSize: 2048 bytes/workgroup (compile time only)
; SGPRBlocks: 4
; VGPRBlocks: 1
; NumSGPRsForWavesPerEU: 36
; NumVGPRsForWavesPerEU: 16
; AccumOffset: 16
; Occupancy: 8
; WaveLimiterHint : 0
; COMPUTE_PGM_RSRC2:SCRATCH_EN: 0
; COMPUTE_PGM_RSRC2:USER_SGPR: 6
; COMPUTE_PGM_RSRC2:TRAP_HANDLER: 0
; COMPUTE_PGM_RSRC2:TGID_X_EN: 1
; COMPUTE_PGM_RSRC2:TGID_Y_EN: 0
; COMPUTE_PGM_RSRC2:TGID_Z_EN: 1
; COMPUTE_PGM_RSRC2:TIDIG_COMP_CNT: 0
; COMPUTE_PGM_RSRC3_GFX90A:ACCUM_OFFSET: 3
; COMPUTE_PGM_RSRC3_GFX90A:TG_SPLIT: 0
	.section	.text._ZN9rocsolver6v33100L26latrd_upper_updateW_kernelI19rocblas_complex_numIfEPS3_EEviiiT0_iilPT_iilS7_lS7_l,"axG",@progbits,_ZN9rocsolver6v33100L26latrd_upper_updateW_kernelI19rocblas_complex_numIfEPS3_EEviiiT0_iilPT_iilS7_lS7_l,comdat
	.globl	_ZN9rocsolver6v33100L26latrd_upper_updateW_kernelI19rocblas_complex_numIfEPS3_EEviiiT0_iilPT_iilS7_lS7_l ; -- Begin function _ZN9rocsolver6v33100L26latrd_upper_updateW_kernelI19rocblas_complex_numIfEPS3_EEviiiT0_iilPT_iilS7_lS7_l
	.p2align	8
	.type	_ZN9rocsolver6v33100L26latrd_upper_updateW_kernelI19rocblas_complex_numIfEPS3_EEviiiT0_iilPT_iilS7_lS7_l,@function
_ZN9rocsolver6v33100L26latrd_upper_updateW_kernelI19rocblas_complex_numIfEPS3_EEviiiT0_iilPT_iilS7_lS7_l: ; @_ZN9rocsolver6v33100L26latrd_upper_updateW_kernelI19rocblas_complex_numIfEPS3_EEviiiT0_iilPT_iilS7_lS7_l
; %bb.0:
	s_load_dword s0, s[4:5], 0x6c
	s_load_dwordx4 s[28:31], s[4:5], 0x0
	s_load_dwordx2 s[10:11], s[4:5], 0x60
	s_mov_b32 s34, 0
	s_waitcnt lgkmcnt(0)
	s_and_b32 s33, s0, 0xffff
	v_cvt_f32_u32_e32 v1, s33
	s_sub_i32 s3, 0, s33
	s_add_i32 s1, s30, -1
	s_ashr_i32 s2, s1, 31
	v_rcp_iflag_f32_e32 v1, v1
	s_abs_i32 s1, s1
	v_mul_f32_e32 v1, 0x4f7ffffe, v1
	v_cvt_u32_f32_e32 v1, v1
	v_readfirstlane_b32 s9, v1
	s_mul_i32 s3, s3, s9
	s_mul_hi_u32 s3, s9, s3
	s_add_i32 s9, s9, s3
	s_mul_hi_u32 s3, s1, s9
	s_mul_i32 s9, s3, s33
	s_sub_i32 s1, s1, s9
	s_add_i32 s12, s3, 1
	s_sub_i32 s9, s1, s33
	s_cmp_ge_u32 s1, s33
	s_cselect_b32 s3, s12, s3
	s_cselect_b32 s1, s9, s1
	s_add_i32 s9, s3, 1
	s_cmp_ge_u32 s1, s33
	s_cselect_b32 s1, s9, s3
	s_abs_i32 s3, s10
	v_cvt_f32_u32_e32 v1, s3
	s_sub_i32 s9, 0, s3
	s_xor_b32 s1, s1, s2
	s_sub_i32 s1, s1, s2
	v_rcp_iflag_f32_e32 v1, v1
	s_xor_b32 s2, s1, s10
	s_abs_i32 s1, s1
	s_ashr_i32 s2, s2, 31
	v_mul_f32_e32 v1, 0x4f7ffffe, v1
	v_cvt_u32_f32_e32 v1, v1
	v_readfirstlane_b32 s12, v1
	s_mul_i32 s9, s9, s12
	s_mul_hi_u32 s9, s12, s9
	s_add_i32 s12, s12, s9
	s_mul_hi_u32 s9, s1, s12
	s_mul_i32 s12, s9, s3
	s_sub_i32 s1, s1, s12
	s_add_i32 s13, s9, 1
	s_sub_i32 s12, s1, s3
	s_cmp_ge_u32 s1, s3
	s_cselect_b32 s9, s13, s9
	s_cselect_b32 s1, s12, s1
	s_add_i32 s12, s9, 1
	s_cmp_ge_u32 s1, s3
	s_cselect_b32 s1, s12, s9
	s_xor_b32 s1, s1, s2
	s_sub_i32 s38, s1, s2
	s_cmp_lt_i32 s38, 0
	s_cbranch_scc1 .LBB140_20
; %bb.1:
	s_load_dwordx8 s[12:19], s[4:5], 0x10
	s_load_dwordx2 s[36:37], s[4:5], 0x30
	s_load_dwordx8 s[20:27], s[4:5], 0x38
	s_load_dwordx2 s[2:3], s[4:5], 0x58
	s_ashr_i32 s9, s8, 31
	s_waitcnt lgkmcnt(0)
	s_mul_i32 s4, s8, s17
	s_mul_hi_u32 s5, s8, s16
	s_add_i32 s4, s5, s4
	s_mul_i32 s5, s9, s16
	s_add_i32 s5, s4, s5
	s_mul_i32 s4, s8, s16
	s_lshr_b32 s39, s0, 16
	s_ashr_i32 s1, s14, 31
	s_lshl_b64 s[4:5], s[4:5], 3
	s_mov_b32 s0, s14
	s_add_u32 s4, s12, s4
	s_addc_u32 s5, s13, s5
	s_lshl_b64 s[0:1], s[0:1], 3
	s_add_u32 s12, s4, s0
	s_addc_u32 s13, s5, s1
	s_mul_i32 s4, s8, s21
	s_mul_hi_u32 s5, s8, s20
	s_add_i32 s4, s5, s4
	s_mul_i32 s5, s9, s20
	s_add_i32 s5, s4, s5
	s_mul_i32 s4, s8, s20
	s_ashr_i32 s1, s36, 31
	s_lshl_b64 s[4:5], s[4:5], 3
	s_mov_b32 s0, s36
	s_add_u32 s4, s18, s4
	s_addc_u32 s5, s19, s5
	s_lshl_b64 s[0:1], s[0:1], 3
	s_add_u32 s4, s4, s0
	s_addc_u32 s5, s5, s1
	s_mul_i32 s0, s8, s25
	s_mul_hi_u32 s1, s8, s24
	s_add_i32 s0, s1, s0
	s_mul_i32 s1, s9, s24
	s_add_i32 s1, s0, s1
	s_mul_i32 s0, s8, s24
	s_lshl_b64 s[0:1], s[0:1], 3
	s_add_u32 s20, s22, s0
	s_addc_u32 s21, s23, s1
	s_mul_i32 s0, s8, s3
	s_mul_hi_u32 s1, s8, s2
	s_add_i32 s0, s1, s0
	s_mul_i32 s9, s9, s2
	s_add_i32 s1, s0, s9
	s_mul_i32 s0, s8, s2
	s_lshl_b64 s[0:1], s[0:1], 3
	s_add_u32 s2, s26, s0
	s_addc_u32 s3, s27, s1
	s_sub_i32 s0, s30, s28
	s_add_i32 s8, s0, s29
	s_not_b32 s22, s30
	s_mul_hi_i32 s1, s37, s8
	s_mul_i32 s0, s37, s8
	s_add_i32 s22, s22, s28
	s_lshl_b64 s[0:1], s[0:1], 3
	s_add_u32 s23, s4, s0
	v_and_b32_e32 v14, 0x3ff, v0
	v_bfe_u32 v15, v0, 10, 10
	s_addc_u32 s24, s5, s1
	s_add_i32 s0, s30, 1
	v_cvt_f32_u32_e32 v0, s39
	s_mul_hi_i32 s1, s15, s0
	s_mul_i32 s0, s15, s0
	s_lshl_b64 s[0:1], s[0:1], 3
	s_add_u32 s25, s12, s0
	s_addc_u32 s26, s13, s1
	s_add_i32 s8, s8, 1
	v_rcp_iflag_f32_e32 v0, v0
	s_mul_hi_i32 s1, s37, s8
	s_mul_i32 s0, s37, s8
	s_lshl_b64 s[0:1], s[0:1], 3
	s_add_u32 s27, s4, s0
	s_addc_u32 s28, s5, s1
	s_ashr_i32 s31, s30, 31
	v_mul_f32_e32 v0, 0x4f7ffffe, v0
	s_lshl_b64 s[0:1], s[30:31], 3
	v_cvt_u32_f32_e32 v0, v0
	s_add_u32 s4, s23, s0
	s_addc_u32 s5, s24, s1
	s_add_u32 s12, s2, s0
	s_addc_u32 s13, s3, s1
	s_sub_i32 s2, 0, s39
	v_readfirstlane_b32 s3, v0
	s_mul_i32 s2, s2, s3
	s_add_i32 s0, s22, -1
	s_mul_hi_u32 s2, s3, s2
	s_ashr_i32 s1, s0, 31
	s_abs_i32 s0, s0
	s_add_i32 s3, s3, s2
	s_mul_hi_u32 s2, s0, s3
	s_mul_i32 s3, s2, s39
	s_sub_i32 s0, s0, s3
	s_add_i32 s3, s2, 1
	s_sub_i32 s8, s0, s39
	s_cmp_ge_u32 s0, s39
	s_cselect_b32 s2, s3, s2
	s_cselect_b32 s0, s8, s0
	s_add_i32 s3, s2, 1
	s_cmp_ge_u32 s0, s39
	s_cselect_b32 s0, s3, s2
	s_abs_i32 s2, s11
	v_cvt_f32_u32_e32 v0, s2
	s_mul_i32 s7, s7, s39
	v_add_u32_e32 v16, s7, v15
	s_sub_i32 s3, 0, s2
	v_rcp_iflag_f32_e32 v0, v0
	s_xor_b32 s0, s0, s1
	s_sub_i32 s0, s0, s1
	s_xor_b32 s1, s0, s11
	v_mul_f32_e32 v0, 0x4f7ffffe, v0
	v_cvt_u32_f32_e32 v0, v0
	s_abs_i32 s0, s0
	s_ashr_i32 s1, s1, 31
	v_lshl_add_u32 v17, v14, 3, 0
	v_readfirstlane_b32 s7, v0
	s_mul_i32 s3, s3, s7
	s_mul_hi_u32 s3, s7, s3
	s_add_i32 s7, s7, s3
	s_mul_hi_u32 s3, s0, s7
	s_mul_i32 s7, s3, s2
	s_sub_i32 s0, s0, s7
	s_add_i32 s7, s3, 1
	s_sub_i32 s8, s0, s2
	s_cmp_ge_u32 s0, s2
	s_cselect_b32 s3, s7, s3
	s_cselect_b32 s0, s8, s0
	s_add_i32 s7, s3, 1
	s_cmp_ge_u32 s0, s2
	s_cselect_b32 s0, s7, s3
	s_xor_b32 s0, s0, s1
	s_sub_i32 s31, s0, s1
	s_cmp_gt_i32 s31, -1
	v_mul_u32_u24_e32 v0, s33, v15
	v_lshl_add_u32 v18, v0, 3, v17
	s_cselect_b64 s[18:19], -1, 0
	s_add_u32 s7, s4, 8
	v_mul_lo_u32 v0, s15, v16
	s_mul_i32 s4, s6, s33
	s_mul_i32 s29, s11, s39
	v_add3_u32 v19, v14, v0, s4
	v_mul_lo_u32 v0, s37, v16
	v_cmp_eq_u32_e64 s[0:1], 0, v16
	v_cmp_gt_u16_e64 s[16:17], s39, 1
	v_cmp_eq_u32_e64 s[2:3], 0, v15
	s_addc_u32 s11, s5, 0
	s_add_i32 s31, s31, 1
	s_mul_i32 s36, s10, s33
	s_mul_i32 s40, s29, s15
	v_add3_u32 v20, v14, v0, s4
	s_mul_i32 s37, s29, s37
	v_mov_b32_e32 v21, 0
	s_mov_b32 s41, 0
	s_branch .LBB140_3
.LBB140_2:                              ;   in Loop: Header=BB140_3 Depth=1
	s_or_b64 exec, exec, s[4:5]
	s_add_i32 s4, s41, 1
	v_add_u32_e32 v19, s36, v19
	v_add_u32_e32 v20, s36, v20
	s_cmp_eq_u32 s41, s38
	s_mov_b32 s41, s4
	s_cbranch_scc1 .LBB140_20
.LBB140_3:                              ; =>This Loop Header: Depth=1
                                        ;     Child Loop BB140_12 Depth 2
                                        ;     Child Loop BB140_9 Depth 2
	s_mul_i32 s4, s41, s10
	s_add_i32 s4, s4, s6
	s_mul_i32 s4, s4, s33
	v_add_u32_e32 v0, s4, v14
	v_cmp_gt_i32_e64 s[4:5], s30, v0
	s_mov_b32 s35, s34
	s_and_b64 s[14:15], s[0:1], s[4:5]
	v_pk_mov_b32 v[2:3], s[34:35], s[34:35] op_sel:[0,1]
	v_ashrrev_i32_e32 v1, 31, v0
	s_and_saveexec_b64 s[8:9], s[14:15]
	s_cbranch_execz .LBB140_5
; %bb.4:                                ;   in Loop: Header=BB140_3 Depth=1
	v_lshlrev_b64 v[2:3], 3, v[0:1]
	v_mov_b32_e32 v4, s24
	v_add_co_u32_e32 v2, vcc, s23, v2
	v_addc_co_u32_e32 v3, vcc, v4, v3, vcc
	global_load_dwordx2 v[2:3], v[2:3], off
.LBB140_5:                              ;   in Loop: Header=BB140_3 Depth=1
	s_or_b64 exec, exec, s[8:9]
	s_andn2_b64 vcc, exec, s[18:19]
	v_mov_b32_e32 v4, v16
	v_mov_b32_e32 v6, v20
	;; [unrolled: 1-line block ×3, first 2 shown]
	s_mov_b32 s35, s31
	s_cbranch_vccz .LBB140_12
.LBB140_6:                              ;   in Loop: Header=BB140_3 Depth=1
	s_andn2_b64 vcc, exec, s[16:17]
	s_waitcnt vmcnt(0)
	ds_write_b64 v18, v[2:3]
	s_waitcnt lgkmcnt(0)
	s_barrier
	s_cbranch_vccnz .LBB140_18
; %bb.7:                                ;   in Loop: Header=BB140_3 Depth=1
	s_mov_b32 s14, s39
	s_lshr_b32 s15, s14, 1
	v_cmp_gt_u32_e32 vcc, s15, v15
	s_and_saveexec_b64 s[8:9], vcc
	s_cbranch_execz .LBB140_9
.LBB140_8:                              ;   in Loop: Header=BB140_3 Depth=1
	v_add_u32_e32 v4, s15, v15
	v_mul_u32_u24_e32 v4, s33, v4
	v_lshl_add_u32 v4, v4, 3, v17
	ds_read_b64 v[4:5], v4
	s_waitcnt lgkmcnt(0)
	v_pk_add_f32 v[2:3], v[2:3], v[4:5]
	ds_write_b64 v18, v[2:3]
.LBB140_9:                              ;   Parent Loop BB140_3 Depth=1
                                        ; =>  This Inner Loop Header: Depth=2
	s_or_b64 exec, exec, s[8:9]
	s_cmp_lt_u32 s14, 4
	s_waitcnt lgkmcnt(0)
	s_barrier
	s_cbranch_scc1 .LBB140_18
; %bb.10:                               ;   in Loop: Header=BB140_9 Depth=2
	s_mov_b32 s14, s15
	s_lshr_b32 s15, s14, 1
	v_cmp_gt_u32_e32 vcc, s15, v15
	s_and_saveexec_b64 s[8:9], vcc
	s_cbranch_execnz .LBB140_8
	s_branch .LBB140_9
.LBB140_11:                             ;   in Loop: Header=BB140_12 Depth=2
	s_or_b64 exec, exec, s[8:9]
	s_add_i32 s35, s35, -1
	v_add_u32_e32 v8, s40, v8
	v_add_u32_e32 v6, s37, v6
	s_cmp_eq_u32 s35, 0
	v_add_u32_e32 v4, s29, v4
	s_cbranch_scc1 .LBB140_6
.LBB140_12:                             ;   Parent Loop BB140_3 Depth=1
                                        ; =>  This Inner Loop Header: Depth=2
	v_cmp_gt_i32_e32 vcc, s22, v4
	s_waitcnt vmcnt(0)
	v_mov_b32_e32 v10, 0
	v_ashrrev_i32_e32 v5, 31, v4
	v_mov_b32_e32 v12, 0
	v_mov_b32_e32 v13, 0
	s_and_saveexec_b64 s[14:15], vcc
	s_cbranch_execnz .LBB140_15
; %bb.13:                               ;   in Loop: Header=BB140_12 Depth=2
	s_or_b64 exec, exec, s[14:15]
	v_mov_b32_e32 v11, 0
	s_and_saveexec_b64 s[14:15], vcc
	s_cbranch_execnz .LBB140_16
.LBB140_14:                             ;   in Loop: Header=BB140_12 Depth=2
	s_or_b64 exec, exec, s[14:15]
	s_and_b64 s[14:15], s[4:5], vcc
	s_and_saveexec_b64 s[8:9], s[14:15]
	s_cbranch_execz .LBB140_11
	s_branch .LBB140_17
.LBB140_15:                             ;   in Loop: Header=BB140_12 Depth=2
	v_lshlrev_b64 v[12:13], 3, v[4:5]
	v_mov_b32_e32 v7, s21
	v_add_co_u32_e64 v12, s[8:9], s20, v12
	v_addc_co_u32_e64 v13, s[8:9], v7, v13, s[8:9]
	global_load_dwordx2 v[12:13], v[12:13], off
	s_or_b64 exec, exec, s[14:15]
	v_mov_b32_e32 v11, 0
	s_and_saveexec_b64 s[14:15], vcc
	s_cbranch_execz .LBB140_14
.LBB140_16:                             ;   in Loop: Header=BB140_12 Depth=2
	v_lshlrev_b64 v[10:11], 3, v[4:5]
	v_mov_b32_e32 v5, s11
	v_add_co_u32_e64 v10, s[8:9], s7, v10
	v_addc_co_u32_e64 v11, s[8:9], v5, v11, s[8:9]
	global_load_dwordx2 v[10:11], v[10:11], off
	s_or_b64 exec, exec, s[14:15]
	s_and_b64 s[14:15], s[4:5], vcc
	s_and_saveexec_b64 s[8:9], s[14:15]
	s_cbranch_execz .LBB140_11
.LBB140_17:                             ;   in Loop: Header=BB140_12 Depth=2
	v_ashrrev_i32_e32 v9, 31, v8
	v_lshlrev_b64 v[22:23], 3, v[8:9]
	v_mov_b32_e32 v5, s26
	v_add_co_u32_e32 v22, vcc, s25, v22
	v_ashrrev_i32_e32 v7, 31, v6
	v_addc_co_u32_e32 v23, vcc, v5, v23, vcc
	v_lshlrev_b64 v[24:25], 3, v[6:7]
	v_mov_b32_e32 v5, s28
	v_add_co_u32_e32 v24, vcc, s27, v24
	v_addc_co_u32_e32 v25, vcc, v5, v25, vcc
	global_load_dwordx2 v[22:23], v[22:23], off
	s_waitcnt vmcnt(0)
	v_pk_mul_f32 v[26:27], v[12:13], v[22:23] op_sel:[0,1]
	global_load_dwordx2 v[24:25], v[24:25], off
	v_pk_fma_f32 v[30:31], v[12:13], v[22:23], v[26:27] op_sel:[0,0,1] op_sel_hi:[1,1,0] neg_lo:[0,0,1] neg_hi:[0,0,1]
	v_pk_fma_f32 v[12:13], v[12:13], v[22:23], v[26:27] op_sel:[0,0,1] op_sel_hi:[1,0,0]
	v_mov_b32_e32 v31, v13
	s_waitcnt vmcnt(0)
	v_pk_mul_f32 v[28:29], v[10:11], v[24:25] op_sel:[0,1]
	v_pk_fma_f32 v[22:23], v[10:11], v[24:25], v[28:29] op_sel:[0,0,1] op_sel_hi:[1,1,0] neg_lo:[0,0,1] neg_hi:[0,0,1]
	v_pk_fma_f32 v[10:11], v[10:11], v[24:25], v[28:29] op_sel:[0,0,1] op_sel_hi:[1,0,0]
	v_mov_b32_e32 v23, v11
	v_pk_add_f32 v[10:11], v[30:31], v[22:23]
	v_pk_add_f32 v[2:3], v[2:3], v[10:11] neg_lo:[0,1] neg_hi:[0,1]
	s_branch .LBB140_11
.LBB140_18:                             ;   in Loop: Header=BB140_3 Depth=1
	s_and_b64 s[8:9], s[2:3], s[4:5]
	s_and_saveexec_b64 s[4:5], s[8:9]
	s_cbranch_execz .LBB140_2
; %bb.19:                               ;   in Loop: Header=BB140_3 Depth=1
	global_load_dwordx2 v[4:5], v21, s[12:13] offset:-8
	v_lshlrev_b64 v[0:1], 3, v[0:1]
	v_mov_b32_e32 v8, s24
	v_add_co_u32_e32 v0, vcc, s23, v0
	v_addc_co_u32_e32 v1, vcc, v8, v1, vcc
	s_waitcnt vmcnt(0)
	v_mul_f32_e32 v6, v3, v5
	v_mul_f32_e32 v7, v2, v5
	v_fma_f32 v6, v2, v4, -v6
	v_fmac_f32_e32 v7, v3, v4
	global_store_dwordx2 v[0:1], v[6:7], off
	s_branch .LBB140_2
.LBB140_20:
	s_endpgm
	.section	.rodata,"a",@progbits
	.p2align	6, 0x0
	.amdhsa_kernel _ZN9rocsolver6v33100L26latrd_upper_updateW_kernelI19rocblas_complex_numIfEPS3_EEviiiT0_iilPT_iilS7_lS7_l
		.amdhsa_group_segment_fixed_size 0
		.amdhsa_private_segment_fixed_size 0
		.amdhsa_kernarg_size 352
		.amdhsa_user_sgpr_count 6
		.amdhsa_user_sgpr_private_segment_buffer 1
		.amdhsa_user_sgpr_dispatch_ptr 0
		.amdhsa_user_sgpr_queue_ptr 0
		.amdhsa_user_sgpr_kernarg_segment_ptr 1
		.amdhsa_user_sgpr_dispatch_id 0
		.amdhsa_user_sgpr_flat_scratch_init 0
		.amdhsa_user_sgpr_kernarg_preload_length 0
		.amdhsa_user_sgpr_kernarg_preload_offset 0
		.amdhsa_user_sgpr_private_segment_size 0
		.amdhsa_uses_dynamic_stack 0
		.amdhsa_system_sgpr_private_segment_wavefront_offset 0
		.amdhsa_system_sgpr_workgroup_id_x 1
		.amdhsa_system_sgpr_workgroup_id_y 1
		.amdhsa_system_sgpr_workgroup_id_z 1
		.amdhsa_system_sgpr_workgroup_info 0
		.amdhsa_system_vgpr_workitem_id 1
		.amdhsa_next_free_vgpr 32
		.amdhsa_next_free_sgpr 42
		.amdhsa_accum_offset 32
		.amdhsa_reserve_vcc 1
		.amdhsa_reserve_flat_scratch 0
		.amdhsa_float_round_mode_32 0
		.amdhsa_float_round_mode_16_64 0
		.amdhsa_float_denorm_mode_32 3
		.amdhsa_float_denorm_mode_16_64 3
		.amdhsa_dx10_clamp 1
		.amdhsa_ieee_mode 1
		.amdhsa_fp16_overflow 0
		.amdhsa_tg_split 0
		.amdhsa_exception_fp_ieee_invalid_op 0
		.amdhsa_exception_fp_denorm_src 0
		.amdhsa_exception_fp_ieee_div_zero 0
		.amdhsa_exception_fp_ieee_overflow 0
		.amdhsa_exception_fp_ieee_underflow 0
		.amdhsa_exception_fp_ieee_inexact 0
		.amdhsa_exception_int_div_zero 0
	.end_amdhsa_kernel
	.section	.text._ZN9rocsolver6v33100L26latrd_upper_updateW_kernelI19rocblas_complex_numIfEPS3_EEviiiT0_iilPT_iilS7_lS7_l,"axG",@progbits,_ZN9rocsolver6v33100L26latrd_upper_updateW_kernelI19rocblas_complex_numIfEPS3_EEviiiT0_iilPT_iilS7_lS7_l,comdat
.Lfunc_end140:
	.size	_ZN9rocsolver6v33100L26latrd_upper_updateW_kernelI19rocblas_complex_numIfEPS3_EEviiiT0_iilPT_iilS7_lS7_l, .Lfunc_end140-_ZN9rocsolver6v33100L26latrd_upper_updateW_kernelI19rocblas_complex_numIfEPS3_EEviiiT0_iilPT_iilS7_lS7_l
                                        ; -- End function
	.section	.AMDGPU.csdata,"",@progbits
; Kernel info:
; codeLenInByte = 1660
; NumSgprs: 46
; NumVgprs: 32
; NumAgprs: 0
; TotalNumVgprs: 32
; ScratchSize: 0
; MemoryBound: 0
; FloatMode: 240
; IeeeMode: 1
; LDSByteSize: 0 bytes/workgroup (compile time only)
; SGPRBlocks: 5
; VGPRBlocks: 3
; NumSGPRsForWavesPerEU: 46
; NumVGPRsForWavesPerEU: 32
; AccumOffset: 32
; Occupancy: 8
; WaveLimiterHint : 0
; COMPUTE_PGM_RSRC2:SCRATCH_EN: 0
; COMPUTE_PGM_RSRC2:USER_SGPR: 6
; COMPUTE_PGM_RSRC2:TRAP_HANDLER: 0
; COMPUTE_PGM_RSRC2:TGID_X_EN: 1
; COMPUTE_PGM_RSRC2:TGID_Y_EN: 1
; COMPUTE_PGM_RSRC2:TGID_Z_EN: 1
; COMPUTE_PGM_RSRC2:TIDIG_COMP_CNT: 1
; COMPUTE_PGM_RSRC3_GFX90A:ACCUM_OFFSET: 7
; COMPUTE_PGM_RSRC3_GFX90A:TG_SPLIT: 0
	.section	.text._ZN9rocsolver6v33100L11set_tridiagI19rocblas_complex_numIfEfPS3_TnNSt9enable_ifIX18rocblas_is_complexIT_EEiE4typeELi0EEEv13rocblas_fill_iT1_iilPT0_lSC_l,"axG",@progbits,_ZN9rocsolver6v33100L11set_tridiagI19rocblas_complex_numIfEfPS3_TnNSt9enable_ifIX18rocblas_is_complexIT_EEiE4typeELi0EEEv13rocblas_fill_iT1_iilPT0_lSC_l,comdat
	.globl	_ZN9rocsolver6v33100L11set_tridiagI19rocblas_complex_numIfEfPS3_TnNSt9enable_ifIX18rocblas_is_complexIT_EEiE4typeELi0EEEv13rocblas_fill_iT1_iilPT0_lSC_l ; -- Begin function _ZN9rocsolver6v33100L11set_tridiagI19rocblas_complex_numIfEfPS3_TnNSt9enable_ifIX18rocblas_is_complexIT_EEiE4typeELi0EEEv13rocblas_fill_iT1_iilPT0_lSC_l
	.p2align	8
	.type	_ZN9rocsolver6v33100L11set_tridiagI19rocblas_complex_numIfEfPS3_TnNSt9enable_ifIX18rocblas_is_complexIT_EEiE4typeELi0EEEv13rocblas_fill_iT1_iilPT0_lSC_l,@function
_ZN9rocsolver6v33100L11set_tridiagI19rocblas_complex_numIfEfPS3_TnNSt9enable_ifIX18rocblas_is_complexIT_EEiE4typeELi0EEEv13rocblas_fill_iT1_iilPT0_lSC_l: ; @_ZN9rocsolver6v33100L11set_tridiagI19rocblas_complex_numIfEfPS3_TnNSt9enable_ifIX18rocblas_is_complexIT_EEiE4typeELi0EEEv13rocblas_fill_iT1_iilPT0_lSC_l
; %bb.0:
	s_load_dword s0, s[4:5], 0x4c
	s_load_dwordx2 s[16:17], s[4:5], 0x0
	s_waitcnt lgkmcnt(0)
	s_and_b32 s0, s0, 0xffff
	s_mul_i32 s6, s6, s0
	v_add_u32_e32 v2, s6, v0
	v_cmp_gt_i32_e32 vcc, s17, v2
	s_and_saveexec_b64 s[0:1], vcc
	s_cbranch_execz .LBB141_7
; %bb.1:
	s_load_dwordx4 s[0:3], s[4:5], 0x8
	s_load_dwordx8 s[8:15], s[4:5], 0x18
	s_ashr_i32 s18, s7, 31
	v_mov_b32_e32 v9, 0
	s_waitcnt lgkmcnt(0)
	s_ashr_i32 s21, s2, 31
	s_mov_b32 s20, s2
	s_mul_i32 s2, s7, s9
	s_mul_hi_u32 s6, s7, s8
	s_add_i32 s2, s6, s2
	s_mul_i32 s6, s18, s8
	s_add_i32 s9, s2, s6
	s_mul_i32 s8, s7, s8
	s_lshl_b64 s[8:9], s[8:9], 3
	s_add_u32 s2, s0, s8
	s_addc_u32 s6, s1, s9
	s_lshl_b64 s[0:1], s[20:21], 3
	s_add_u32 s2, s2, s0
	s_addc_u32 s6, s6, s1
	v_mad_u64_u32 v[0:1], s[0:1], v2, s3, v[2:3]
	v_ashrrev_i32_e32 v1, 31, v0
	v_lshlrev_b64 v[4:5], 3, v[0:1]
	v_mov_b32_e32 v1, s6
	v_add_co_u32_e32 v6, vcc, s2, v4
	v_addc_co_u32_e32 v7, vcc, v1, v5, vcc
	global_load_dword v8, v[6:7], off
	s_mul_i32 s1, s7, s13
	s_mul_hi_u32 s8, s7, s12
	s_mul_i32 s9, s18, s12
	s_add_i32 s1, s8, s1
	s_mul_i32 s0, s7, s12
	s_add_i32 s1, s1, s9
	s_lshl_b64 s[0:1], s[0:1], 2
	v_ashrrev_i32_e32 v3, 31, v2
	s_add_u32 s0, s10, s0
	v_lshlrev_b64 v[4:5], 2, v[2:3]
	s_addc_u32 s1, s11, s1
	v_mov_b32_e32 v1, s1
	v_add_co_u32_e32 v10, vcc, s0, v4
	s_add_i32 s8, s17, -1
	v_addc_co_u32_e32 v11, vcc, v1, v5, vcc
	v_cmp_gt_i32_e32 vcc, s8, v2
	s_waitcnt vmcnt(0)
	global_store_dword v[10:11], v8, off
	global_store_dwordx2 v[6:7], v[8:9], off
	s_and_b64 exec, exec, vcc
	s_cbranch_execz .LBB141_7
; %bb.2:
	s_load_dwordx2 s[0:1], s[4:5], 0x38
	s_waitcnt lgkmcnt(0)
	s_mul_i32 s1, s7, s1
	s_mul_hi_u32 s4, s7, s0
	s_mul_i32 s5, s18, s0
	s_add_i32 s1, s4, s1
	s_mul_i32 s0, s7, s0
	s_add_i32 s1, s1, s5
	s_lshl_b64 s[0:1], s[0:1], 2
	s_add_u32 s0, s14, s0
	s_addc_u32 s1, s15, s1
	v_mov_b32_e32 v1, s1
	v_add_co_u32_e32 v2, vcc, s0, v4
	v_addc_co_u32_e32 v3, vcc, v1, v5, vcc
	global_load_dword v2, v[2:3], off
	s_cmpk_lg_i32 s16, 0x7a
	s_cbranch_scc0 .LBB141_4
; %bb.3:
	v_add_u32_e32 v4, s3, v0
	s_cbranch_execz .LBB141_5
	s_branch .LBB141_6
.LBB141_4:
                                        ; implicit-def: $vgpr4
.LBB141_5:
	v_add_u32_e32 v4, 1, v0
.LBB141_6:
	v_ashrrev_i32_e32 v5, 31, v4
	v_lshlrev_b64 v[0:1], 3, v[4:5]
	v_mov_b32_e32 v3, s6
	v_add_co_u32_e32 v0, vcc, s2, v0
	v_addc_co_u32_e32 v1, vcc, v3, v1, vcc
	v_mov_b32_e32 v3, 0
	s_waitcnt vmcnt(0)
	global_store_dwordx2 v[0:1], v[2:3], off
.LBB141_7:
	s_endpgm
	.section	.rodata,"a",@progbits
	.p2align	6, 0x0
	.amdhsa_kernel _ZN9rocsolver6v33100L11set_tridiagI19rocblas_complex_numIfEfPS3_TnNSt9enable_ifIX18rocblas_is_complexIT_EEiE4typeELi0EEEv13rocblas_fill_iT1_iilPT0_lSC_l
		.amdhsa_group_segment_fixed_size 0
		.amdhsa_private_segment_fixed_size 0
		.amdhsa_kernarg_size 320
		.amdhsa_user_sgpr_count 6
		.amdhsa_user_sgpr_private_segment_buffer 1
		.amdhsa_user_sgpr_dispatch_ptr 0
		.amdhsa_user_sgpr_queue_ptr 0
		.amdhsa_user_sgpr_kernarg_segment_ptr 1
		.amdhsa_user_sgpr_dispatch_id 0
		.amdhsa_user_sgpr_flat_scratch_init 0
		.amdhsa_user_sgpr_kernarg_preload_length 0
		.amdhsa_user_sgpr_kernarg_preload_offset 0
		.amdhsa_user_sgpr_private_segment_size 0
		.amdhsa_uses_dynamic_stack 0
		.amdhsa_system_sgpr_private_segment_wavefront_offset 0
		.amdhsa_system_sgpr_workgroup_id_x 1
		.amdhsa_system_sgpr_workgroup_id_y 1
		.amdhsa_system_sgpr_workgroup_id_z 0
		.amdhsa_system_sgpr_workgroup_info 0
		.amdhsa_system_vgpr_workitem_id 0
		.amdhsa_next_free_vgpr 12
		.amdhsa_next_free_sgpr 22
		.amdhsa_accum_offset 12
		.amdhsa_reserve_vcc 1
		.amdhsa_reserve_flat_scratch 0
		.amdhsa_float_round_mode_32 0
		.amdhsa_float_round_mode_16_64 0
		.amdhsa_float_denorm_mode_32 3
		.amdhsa_float_denorm_mode_16_64 3
		.amdhsa_dx10_clamp 1
		.amdhsa_ieee_mode 1
		.amdhsa_fp16_overflow 0
		.amdhsa_tg_split 0
		.amdhsa_exception_fp_ieee_invalid_op 0
		.amdhsa_exception_fp_denorm_src 0
		.amdhsa_exception_fp_ieee_div_zero 0
		.amdhsa_exception_fp_ieee_overflow 0
		.amdhsa_exception_fp_ieee_underflow 0
		.amdhsa_exception_fp_ieee_inexact 0
		.amdhsa_exception_int_div_zero 0
	.end_amdhsa_kernel
	.section	.text._ZN9rocsolver6v33100L11set_tridiagI19rocblas_complex_numIfEfPS3_TnNSt9enable_ifIX18rocblas_is_complexIT_EEiE4typeELi0EEEv13rocblas_fill_iT1_iilPT0_lSC_l,"axG",@progbits,_ZN9rocsolver6v33100L11set_tridiagI19rocblas_complex_numIfEfPS3_TnNSt9enable_ifIX18rocblas_is_complexIT_EEiE4typeELi0EEEv13rocblas_fill_iT1_iilPT0_lSC_l,comdat
.Lfunc_end141:
	.size	_ZN9rocsolver6v33100L11set_tridiagI19rocblas_complex_numIfEfPS3_TnNSt9enable_ifIX18rocblas_is_complexIT_EEiE4typeELi0EEEv13rocblas_fill_iT1_iilPT0_lSC_l, .Lfunc_end141-_ZN9rocsolver6v33100L11set_tridiagI19rocblas_complex_numIfEfPS3_TnNSt9enable_ifIX18rocblas_is_complexIT_EEiE4typeELi0EEEv13rocblas_fill_iT1_iilPT0_lSC_l
                                        ; -- End function
	.section	.AMDGPU.csdata,"",@progbits
; Kernel info:
; codeLenInByte = 404
; NumSgprs: 26
; NumVgprs: 12
; NumAgprs: 0
; TotalNumVgprs: 12
; ScratchSize: 0
; MemoryBound: 0
; FloatMode: 240
; IeeeMode: 1
; LDSByteSize: 0 bytes/workgroup (compile time only)
; SGPRBlocks: 3
; VGPRBlocks: 1
; NumSGPRsForWavesPerEU: 26
; NumVGPRsForWavesPerEU: 12
; AccumOffset: 12
; Occupancy: 8
; WaveLimiterHint : 0
; COMPUTE_PGM_RSRC2:SCRATCH_EN: 0
; COMPUTE_PGM_RSRC2:USER_SGPR: 6
; COMPUTE_PGM_RSRC2:TRAP_HANDLER: 0
; COMPUTE_PGM_RSRC2:TGID_X_EN: 1
; COMPUTE_PGM_RSRC2:TGID_Y_EN: 1
; COMPUTE_PGM_RSRC2:TGID_Z_EN: 0
; COMPUTE_PGM_RSRC2:TIDIG_COMP_CNT: 0
; COMPUTE_PGM_RSRC3_GFX90A:ACCUM_OFFSET: 2
; COMPUTE_PGM_RSRC3_GFX90A:TG_SPLIT: 0
	.section	.text._ZN9rocsolver6v33100L10init_identI19rocblas_complex_numIfEPS3_EEviiT0_iil,"axG",@progbits,_ZN9rocsolver6v33100L10init_identI19rocblas_complex_numIfEPS3_EEviiT0_iil,comdat
	.globl	_ZN9rocsolver6v33100L10init_identI19rocblas_complex_numIfEPS3_EEviiT0_iil ; -- Begin function _ZN9rocsolver6v33100L10init_identI19rocblas_complex_numIfEPS3_EEviiT0_iil
	.p2align	8
	.type	_ZN9rocsolver6v33100L10init_identI19rocblas_complex_numIfEPS3_EEviiT0_iil,@function
_ZN9rocsolver6v33100L10init_identI19rocblas_complex_numIfEPS3_EEviiT0_iil: ; @_ZN9rocsolver6v33100L10init_identI19rocblas_complex_numIfEPS3_EEviiT0_iil
; %bb.0:
	s_load_dword s2, s[4:5], 0x2c
	s_load_dwordx2 s[0:1], s[4:5], 0x0
	v_and_b32_e32 v1, 0x3ff, v0
	v_bfe_u32 v0, v0, 10, 10
	s_waitcnt lgkmcnt(0)
	s_lshr_b32 s3, s2, 16
	s_and_b32 s2, s2, 0xffff
	s_mul_i32 s6, s6, s2
	s_mul_i32 s7, s7, s3
	v_add_u32_e32 v4, s6, v1
	v_add_u32_e32 v1, s7, v0
	v_cmp_gt_u32_e32 vcc, s0, v4
	v_cmp_gt_u32_e64 s[0:1], s1, v1
	s_and_b64 s[0:1], vcc, s[0:1]
	s_and_saveexec_b64 s[2:3], s[0:1]
	s_cbranch_execz .LBB142_6
; %bb.1:
	s_load_dwordx2 s[0:1], s[4:5], 0x10
	v_cmp_ne_u32_e32 vcc, v4, v1
                                        ; implicit-def: $sgpr6
                                        ; implicit-def: $vgpr0
	s_and_saveexec_b64 s[2:3], vcc
	s_xor_b64 s[2:3], exec, s[2:3]
	s_cbranch_execz .LBB142_3
; %bb.2:
	s_waitcnt lgkmcnt(0)
	v_mad_u64_u32 v[0:1], s[6:7], v1, s1, v[4:5]
	s_mov_b32 s6, 0
                                        ; implicit-def: $vgpr4
.LBB142_3:
	s_or_saveexec_b64 s[2:3], s[2:3]
	v_mov_b32_e32 v2, s6
	s_xor_b64 exec, exec, s[2:3]
	s_cbranch_execz .LBB142_5
; %bb.4:
	s_waitcnt lgkmcnt(0)
	v_mad_u64_u32 v[0:1], s[6:7], v4, s1, v[4:5]
	v_mov_b32_e32 v2, 1.0
.LBB142_5:
	s_or_b64 exec, exec, s[2:3]
	s_load_dwordx2 s[2:3], s[4:5], 0x18
	s_load_dwordx2 s[6:7], s[4:5], 0x8
	s_waitcnt lgkmcnt(0)
	s_ashr_i32 s1, s0, 31
	v_mov_b32_e32 v1, 0
	v_lshlrev_b64 v[4:5], 3, v[0:1]
	s_mul_i32 s3, s8, s3
	s_mul_hi_u32 s4, s8, s2
	s_mul_i32 s2, s8, s2
	s_add_i32 s3, s4, s3
	s_lshl_b64 s[2:3], s[2:3], 3
	s_add_u32 s2, s6, s2
	s_addc_u32 s3, s7, s3
	s_lshl_b64 s[0:1], s[0:1], 3
	s_add_u32 s0, s2, s0
	s_addc_u32 s1, s3, s1
	v_mov_b32_e32 v0, s1
	v_add_co_u32_e32 v4, vcc, s0, v4
	v_addc_co_u32_e32 v5, vcc, v0, v5, vcc
	v_mov_b32_e32 v3, v1
	global_store_dwordx2 v[4:5], v[2:3], off
.LBB142_6:
	s_endpgm
	.section	.rodata,"a",@progbits
	.p2align	6, 0x0
	.amdhsa_kernel _ZN9rocsolver6v33100L10init_identI19rocblas_complex_numIfEPS3_EEviiT0_iil
		.amdhsa_group_segment_fixed_size 0
		.amdhsa_private_segment_fixed_size 0
		.amdhsa_kernarg_size 288
		.amdhsa_user_sgpr_count 6
		.amdhsa_user_sgpr_private_segment_buffer 1
		.amdhsa_user_sgpr_dispatch_ptr 0
		.amdhsa_user_sgpr_queue_ptr 0
		.amdhsa_user_sgpr_kernarg_segment_ptr 1
		.amdhsa_user_sgpr_dispatch_id 0
		.amdhsa_user_sgpr_flat_scratch_init 0
		.amdhsa_user_sgpr_kernarg_preload_length 0
		.amdhsa_user_sgpr_kernarg_preload_offset 0
		.amdhsa_user_sgpr_private_segment_size 0
		.amdhsa_uses_dynamic_stack 0
		.amdhsa_system_sgpr_private_segment_wavefront_offset 0
		.amdhsa_system_sgpr_workgroup_id_x 1
		.amdhsa_system_sgpr_workgroup_id_y 1
		.amdhsa_system_sgpr_workgroup_id_z 1
		.amdhsa_system_sgpr_workgroup_info 0
		.amdhsa_system_vgpr_workitem_id 1
		.amdhsa_next_free_vgpr 6
		.amdhsa_next_free_sgpr 9
		.amdhsa_accum_offset 8
		.amdhsa_reserve_vcc 1
		.amdhsa_reserve_flat_scratch 0
		.amdhsa_float_round_mode_32 0
		.amdhsa_float_round_mode_16_64 0
		.amdhsa_float_denorm_mode_32 3
		.amdhsa_float_denorm_mode_16_64 3
		.amdhsa_dx10_clamp 1
		.amdhsa_ieee_mode 1
		.amdhsa_fp16_overflow 0
		.amdhsa_tg_split 0
		.amdhsa_exception_fp_ieee_invalid_op 0
		.amdhsa_exception_fp_denorm_src 0
		.amdhsa_exception_fp_ieee_div_zero 0
		.amdhsa_exception_fp_ieee_overflow 0
		.amdhsa_exception_fp_ieee_underflow 0
		.amdhsa_exception_fp_ieee_inexact 0
		.amdhsa_exception_int_div_zero 0
	.end_amdhsa_kernel
	.section	.text._ZN9rocsolver6v33100L10init_identI19rocblas_complex_numIfEPS3_EEviiT0_iil,"axG",@progbits,_ZN9rocsolver6v33100L10init_identI19rocblas_complex_numIfEPS3_EEviiT0_iil,comdat
.Lfunc_end142:
	.size	_ZN9rocsolver6v33100L10init_identI19rocblas_complex_numIfEPS3_EEviiT0_iil, .Lfunc_end142-_ZN9rocsolver6v33100L10init_identI19rocblas_complex_numIfEPS3_EEviiT0_iil
                                        ; -- End function
	.section	.AMDGPU.csdata,"",@progbits
; Kernel info:
; codeLenInByte = 268
; NumSgprs: 13
; NumVgprs: 6
; NumAgprs: 0
; TotalNumVgprs: 6
; ScratchSize: 0
; MemoryBound: 0
; FloatMode: 240
; IeeeMode: 1
; LDSByteSize: 0 bytes/workgroup (compile time only)
; SGPRBlocks: 1
; VGPRBlocks: 0
; NumSGPRsForWavesPerEU: 13
; NumVGPRsForWavesPerEU: 6
; AccumOffset: 8
; Occupancy: 8
; WaveLimiterHint : 0
; COMPUTE_PGM_RSRC2:SCRATCH_EN: 0
; COMPUTE_PGM_RSRC2:USER_SGPR: 6
; COMPUTE_PGM_RSRC2:TRAP_HANDLER: 0
; COMPUTE_PGM_RSRC2:TGID_X_EN: 1
; COMPUTE_PGM_RSRC2:TGID_Y_EN: 1
; COMPUTE_PGM_RSRC2:TGID_Z_EN: 1
; COMPUTE_PGM_RSRC2:TIDIG_COMP_CNT: 1
; COMPUTE_PGM_RSRC3_GFX90A:ACCUM_OFFSET: 1
; COMPUTE_PGM_RSRC3_GFX90A:TG_SPLIT: 0
	.section	.text._ZN9rocsolver6v33100L11lasr_kernelI19rocblas_complex_numIfEfPS3_iEEv13rocblas_side_14rocblas_pivot_15rocblas_direct_T2_S8_PT0_lSA_lT1_lS8_lS8_,"axG",@progbits,_ZN9rocsolver6v33100L11lasr_kernelI19rocblas_complex_numIfEfPS3_iEEv13rocblas_side_14rocblas_pivot_15rocblas_direct_T2_S8_PT0_lSA_lT1_lS8_lS8_,comdat
	.globl	_ZN9rocsolver6v33100L11lasr_kernelI19rocblas_complex_numIfEfPS3_iEEv13rocblas_side_14rocblas_pivot_15rocblas_direct_T2_S8_PT0_lSA_lT1_lS8_lS8_ ; -- Begin function _ZN9rocsolver6v33100L11lasr_kernelI19rocblas_complex_numIfEfPS3_iEEv13rocblas_side_14rocblas_pivot_15rocblas_direct_T2_S8_PT0_lSA_lT1_lS8_lS8_
	.p2align	8
	.type	_ZN9rocsolver6v33100L11lasr_kernelI19rocblas_complex_numIfEfPS3_iEEv13rocblas_side_14rocblas_pivot_15rocblas_direct_T2_S8_PT0_lSA_lT1_lS8_lS8_,@function
_ZN9rocsolver6v33100L11lasr_kernelI19rocblas_complex_numIfEfPS3_iEEv13rocblas_side_14rocblas_pivot_15rocblas_direct_T2_S8_PT0_lSA_lT1_lS8_lS8_: ; @_ZN9rocsolver6v33100L11lasr_kernelI19rocblas_complex_numIfEfPS3_iEEv13rocblas_side_14rocblas_pivot_15rocblas_direct_T2_S8_PT0_lSA_lT1_lS8_lS8_
; %bb.0:
	s_load_dword s33, s[4:5], 0x58
	s_waitcnt lgkmcnt(0)
	s_cmp_ge_u32 s7, s33
	s_cbranch_scc1 .LBB143_98
; %bb.1:
	s_load_dwordx4 s[0:3], s[4:5], 0x38
	s_load_dword s20, s[4:5], 0x48
	s_load_dwordx2 s[22:23], s[4:5], 0x50
	s_load_dword s26, s[4:5], 0x60
	s_load_dwordx2 s[24:25], s[4:5], 0x68
	s_load_dwordx4 s[16:19], s[4:5], 0x0
	s_load_dword s86, s[4:5], 0x10
	s_load_dwordx8 s[8:15], s[4:5], 0x18
	s_waitcnt lgkmcnt(0)
	s_ashr_i32 s21, s20, 31
	s_and_b32 s5, s25, 0xffff
	s_mul_i32 s6, s6, s5
	s_lshl_b64 s[2:3], s[2:3], 3
	v_add_u32_e32 v0, s6, v0
	s_add_u32 s6, s0, s2
	s_addc_u32 s25, s1, s3
	s_cmpk_lg_i32 s16, 0x8d
	s_cselect_b64 s[38:39], -1, 0
	s_cmpk_lg_i32 s16, 0x8e
	s_cselect_b64 s[44:45], -1, 0
	;; [unrolled: 2-line block ×6, first 2 shown]
	s_or_b64 s[28:29], s[38:39], s[42:43]
	s_or_b64 s[16:17], s[28:29], s[52:53]
	s_xor_b64 s[16:17], s[16:17], -1
	s_ashr_i32 s27, s19, 31
	s_add_i32 s62, s19, -2
	s_cmpk_lg_i32 s18, 0xac
	s_cselect_b64 s[54:55], -1, 0
	s_or_b64 s[28:29], s[28:29], s[54:55]
	s_xor_b64 s[28:29], s[28:29], -1
	s_cmp_gt_i32 s19, 1
	s_cselect_b64 s[30:31], -1, 0
	s_or_b64 s[36:37], s[38:39], s[50:51]
	s_or_b64 s[40:41], s[38:39], s[48:49]
	s_or_b64 s[46:47], s[44:45], s[42:43]
	s_or_b64 s[34:35], s[36:37], s[52:53]
	s_or_b64 s[36:37], s[36:37], s[54:55]
	s_or_b64 s[38:39], s[40:41], s[52:53]
	s_or_b64 s[40:41], s[40:41], s[54:55]
	s_or_b64 s[42:43], s[46:47], s[52:53]
	s_or_b64 s[46:47], s[46:47], s[54:55]
	s_xor_b64 s[34:35], s[34:35], -1
	s_xor_b64 s[36:37], s[36:37], -1
	;; [unrolled: 1-line block ×5, first 2 shown]
	s_add_i32 s18, s86, -1
	s_xor_b64 s[46:47], s[46:47], -1
                                        ; implicit-def: $vgpr48 : SGPR spill to VGPR lane
	s_add_i32 s68, s86, -2
	v_writelane_b32 v48, s46, 0
	s_cmp_gt_i32 s86, 1
	v_writelane_b32 v48, s47, 1
	s_cselect_b64 s[46:47], -1, 0
	s_or_b64 s[50:51], s[44:45], s[50:51]
	s_or_b64 s[56:57], s[50:51], s[52:53]
	s_xor_b64 s[56:57], s[56:57], -1
	v_writelane_b32 v48, s56, 2
	s_or_b64 s[50:51], s[50:51], s[54:55]
	v_writelane_b32 v48, s57, 3
	s_xor_b64 s[50:51], s[50:51], -1
	s_or_b64 s[44:45], s[44:45], s[48:49]
	v_writelane_b32 v48, s50, 4
	s_or_b64 s[48:49], s[44:45], s[52:53]
	v_writelane_b32 v48, s51, 5
	s_xor_b64 s[48:49], s[48:49], -1
	v_writelane_b32 v48, s48, 6
	v_cmp_le_i32_e32 vcc, s19, v0
	v_writelane_b32 v48, s49, 7
	s_or_b64 s[48:49], s[54:55], vcc
	s_or_b64 s[44:45], s[44:45], s[48:49]
	s_xor_b64 s[44:45], s[44:45], -1
	s_mul_i32 s4, s26, s5
	v_writelane_b32 v48, s44, 8
	v_writelane_b32 v48, s45, 9
	s_mul_hi_i32 s45, s20, s4
	s_mul_i32 s44, s20, s4
	s_mov_b32 s63, 0
	s_add_i32 s56, s19, -1
	s_lshl_b64 s[14:15], s[14:15], 2
	s_lshl_b64 s[58:59], s[22:23], 3
	s_ashr_i32 s5, s4, 31
	s_lshl_b64 s[60:61], s[44:45], 3
	s_lshl_b64 s[10:11], s[10:11], 2
	;; [unrolled: 1-line block ×3, first 2 shown]
	s_add_u32 s87, s8, s44
	s_addc_u32 s88, s9, s45
	s_add_u32 s89, s12, s44
	s_mul_i32 s26, s21, s68
	s_mul_hi_u32 s48, s20, s68
	s_addc_u32 s90, s13, s45
	s_mov_b32 s57, s63
	s_add_i32 s49, s48, s26
	s_mul_i32 s48, s20, s68
	s_mov_b32 s69, s63
	s_lshl_b64 s[44:45], s[62:63], 3
	s_lshl_b64 s[48:49], s[48:49], 3
	s_add_i32 s91, s19, 1
	s_lshl_b64 s[50:51], s[56:57], 3
	s_lshl_b64 s[62:63], s[20:21], 3
	;; [unrolled: 1-line block ×3, first 2 shown]
	s_add_u32 s5, s48, s2
	s_addc_u32 s26, s49, s3
	s_add_u32 s52, s0, s5
	s_mul_i32 s5, s21, s18
	s_mul_hi_u32 s21, s20, s18
	s_mul_i32 s66, s20, s18
	s_addc_u32 s26, s1, s26
	s_add_i32 s49, s21, s5
	s_mov_b32 s48, s66
	s_lshl_b64 s[48:49], s[48:49], 3
	s_add_u32 s5, s48, s2
	s_addc_u32 s21, s49, s3
	s_add_u32 s53, s0, s5
	s_addc_u32 s54, s1, s21
	s_lshl_b64 s[48:49], s[68:69], 2
	s_add_u32 s5, s8, s48
	s_addc_u32 s21, s9, s49
	s_add_u32 s57, s12, s48
	s_addc_u32 s92, s13, s49
	;; [unrolled: 2-line block ×4, first 2 shown]
	v_mad_i64_i32 v[2:3], s[0:1], s20, v0, 0
	v_lshlrev_b64 v[2:3], 3, v[2:3]
	v_mov_b32_e32 v1, s25
	v_add_co_u32_e32 v4, vcc, s6, v2
	v_addc_co_u32_e32 v1, vcc, v1, v3, vcc
	v_add_co_u32_e32 v2, vcc, 8, v4
	v_addc_co_u32_e32 v3, vcc, 0, v1, vcc
	v_mov_b32_e32 v5, s45
	v_add_co_u32_e32 v16, vcc, s44, v4
	v_addc_co_u32_e32 v17, vcc, v1, v5, vcc
	v_add_co_u32_e32 v18, vcc, 4, v4
	v_addc_co_u32_e32 v19, vcc, 0, v1, vcc
	v_mov_b32_e32 v1, s51
	v_add_co_u32_e32 v20, vcc, s50, v18
	v_addc_co_u32_e32 v21, vcc, v19, v1, vcc
	v_add_co_u32_e32 v22, vcc, 4, v16
	v_ashrrev_i32_e32 v1, 31, v0
	v_addc_co_u32_e32 v23, vcc, 0, v17, vcc
	v_lshlrev_b64 v[4:5], 3, v[0:1]
	v_mov_b32_e32 v1, s25
	v_add_co_u32_e32 v24, vcc, s6, v4
	v_addc_co_u32_e32 v25, vcc, v1, v5, vcc
	v_mov_b32_e32 v1, s26
	v_add_co_u32_e32 v26, vcc, s52, v4
	v_addc_co_u32_e32 v27, vcc, v1, v5, vcc
	;; [unrolled: 3-line block ×3, first 2 shown]
	v_add_co_u32_e32 v28, vcc, 4, v6
	v_addc_co_u32_e32 v29, vcc, 0, v1, vcc
	v_mov_b32_e32 v1, s3
	v_add_co_u32_e32 v4, vcc, s2, v4
	v_addc_co_u32_e32 v1, vcc, v1, v5, vcc
	v_add_co_u32_e32 v30, vcc, 4, v4
	v_addc_co_u32_e32 v31, vcc, 0, v1, vcc
	;; [unrolled: 2-line block ×3, first 2 shown]
	s_add_i32 s93, s86, 1
	v_add_co_u32_e32 v34, vcc, 4, v26
	s_sub_u32 s94, 0, s62
	v_addc_co_u32_e32 v35, vcc, 0, v27, vcc
	s_mov_b32 s26, s19
	s_mul_hi_i32 s67, s20, s18
	v_mov_b32_e32 v36, 0
	s_subb_u32 s95, 0, s63
	v_cmp_gt_i32_e64 s[0:1], s86, v0
	v_cmp_gt_i32_e64 s[2:3], s19, v0
	s_branch .LBB143_4
.LBB143_2:                              ;   in Loop: Header=BB143_4 Depth=1
	s_or_b64 exec, exec, s[68:69]
.LBB143_3:                              ;   in Loop: Header=BB143_4 Depth=1
	s_add_i32 s7, s7, s24
	s_cmp_ge_u32 s7, s33
	s_cbranch_scc1 .LBB143_98
.LBB143_4:                              ; =>This Loop Header: Depth=1
                                        ;     Child Loop BB143_8 Depth 2
                                        ;       Child Loop BB143_9 Depth 3
                                        ;     Child Loop BB143_16 Depth 2
                                        ;       Child Loop BB143_17 Depth 3
	;; [unrolled: 2-line block ×12, first 2 shown]
	s_mul_i32 s44, s11, s7
	s_mul_hi_u32 s45, s10, s7
	s_add_i32 s84, s45, s44
	s_mul_i32 s44, s15, s7
	s_mul_hi_u32 s45, s14, s7
	s_mul_i32 s85, s10, s7
	s_add_i32 s50, s45, s44
	s_add_u32 s68, s8, s85
	v_mov_b32_e32 v1, s7
	s_mul_i32 s51, s14, s7
	s_addc_u32 s69, s9, s84
	v_mad_u64_u32 v[4:5], s[44:45], s58, v1, v[2:3]
	s_add_u32 s70, s12, s51
	s_mul_i32 s44, s7, s23
	s_mul_hi_u32 s45, s7, s22
	s_addc_u32 s71, s13, s50
	s_add_i32 s45, s45, s44
	s_mul_i32 s44, s7, s22
	s_lshl_b64 s[44:45], s[44:45], 3
	s_mul_i32 s52, s59, s7
	s_add_u32 s54, s6, s44
	v_add_u32_e32 v5, s52, v5
	s_addc_u32 s55, s25, s45
	s_andn2_b64 vcc, exec, s[16:17]
	s_mov_b64 s[72:73], -1
	s_cbranch_vccnz .LBB143_11
; %bb.5:                                ;   in Loop: Header=BB143_4 Depth=1
	s_and_saveexec_b64 s[72:73], s[0:1]
	s_cbranch_execz .LBB143_10
; %bb.6:                                ;   in Loop: Header=BB143_4 Depth=1
	s_lshl_b64 s[44:45], s[26:27], 3
	s_add_u32 s44, s54, s44
	s_addc_u32 s45, s55, s45
	s_add_u32 s53, s44, -8
	s_addc_u32 s48, s45, -1
	s_mov_b64 s[74:75], 0
	v_mov_b32_e32 v1, s55
	v_pk_mov_b32 v[6:7], v[4:5], v[4:5] op_sel:[0,1]
	v_mov_b32_e32 v14, v0
	s_branch .LBB143_8
.LBB143_7:                              ;   in Loop: Header=BB143_8 Depth=2
	v_mov_b32_e32 v12, s48
	v_add_co_u32_e32 v8, vcc, s53, v8
	v_addc_co_u32_e32 v9, vcc, v12, v9, vcc
	v_add_u32_e32 v14, s4, v14
	v_cmp_le_i32_e32 vcc, s86, v14
	s_waitcnt vmcnt(0)
	global_store_dwordx2 v[8:9], v[10:11], off
	v_mov_b32_e32 v8, s61
	s_or_b64 s[74:75], vcc, s[74:75]
	v_add_co_u32_e32 v6, vcc, s60, v6
	v_addc_co_u32_e32 v7, vcc, v7, v8, vcc
	s_andn2_b64 exec, exec, s[74:75]
	s_cbranch_execz .LBB143_10
.LBB143_8:                              ;   Parent Loop BB143_4 Depth=1
                                        ; =>  This Loop Header: Depth=2
                                        ;       Child Loop BB143_9 Depth 3
	v_mad_i64_i32 v[8:9], s[44:45], v14, s20, 0
	v_lshlrev_b64 v[8:9], 3, v[8:9]
	v_add_co_u32_e32 v10, vcc, s54, v8
	v_addc_co_u32_e32 v11, vcc, v1, v9, vcc
	global_load_dwordx2 v[10:11], v[10:11], off
	s_andn2_b64 vcc, exec, s[30:31]
	s_mov_b64 s[76:77], s[68:69]
	v_pk_mov_b32 v[12:13], v[6:7], v[6:7] op_sel:[0,1]
	s_mov_b64 s[78:79], s[70:71]
	s_mov_b32 s44, s56
	s_cbranch_vccnz .LBB143_7
.LBB143_9:                              ;   Parent Loop BB143_4 Depth=1
                                        ;     Parent Loop BB143_8 Depth=2
                                        ; =>    This Inner Loop Header: Depth=3
	global_load_dword v38, v36, s[78:79]
	global_load_dwordx2 v[40:41], v[12:13], off
	global_load_dword v42, v36, s[76:77]
	s_add_i32 s44, s44, -1
	s_add_u32 s78, s78, 4
	s_addc_u32 s79, s79, 0
	s_add_u32 s76, s76, 4
	s_addc_u32 s77, s77, 0
	s_cmp_eq_u32 s44, 0
	s_waitcnt vmcnt(1)
	v_mul_f32_e32 v44, v38, v40
	v_mul_f32_e32 v45, v38, v41
	s_waitcnt vmcnt(0)
	v_fmac_f32_e32 v44, v10, v42
	v_fmac_f32_e32 v45, v11, v42
	v_pk_mul_f32 v[38:39], v[10:11], v[38:39] op_sel_hi:[1,0]
	global_store_dwordx2 v[12:13], v[44:45], off offset:-8
	v_add_co_u32_e32 v12, vcc, 8, v12
	v_pk_fma_f32 v[10:11], v[42:43], v[40:41], v[38:39] op_sel_hi:[0,1,1] neg_lo:[0,0,1] neg_hi:[0,0,1]
	v_addc_co_u32_e32 v13, vcc, 0, v13, vcc
	s_cbranch_scc0 .LBB143_9
	s_branch .LBB143_7
.LBB143_10:                             ;   in Loop: Header=BB143_4 Depth=1
	s_or_b64 exec, exec, s[72:73]
	s_mov_b64 s[72:73], 0
.LBB143_11:                             ;   in Loop: Header=BB143_4 Depth=1
	s_andn2_b64 vcc, exec, s[72:73]
	s_cbranch_vccnz .LBB143_3
; %bb.12:                               ;   in Loop: Header=BB143_4 Depth=1
	s_mul_hi_u32 s44, s58, s7
	s_add_i32 s52, s44, s52
	s_add_u32 s72, s87, s85
	s_addc_u32 s73, s88, s84
	s_add_u32 s74, s89, s51
	s_mul_i32 s53, s58, s7
	s_addc_u32 s75, s90, s50
	s_andn2_b64 vcc, exec, s[28:29]
	s_mov_b64 s[76:77], -1
	s_cbranch_vccnz .LBB143_19
; %bb.13:                               ;   in Loop: Header=BB143_4 Depth=1
	s_and_saveexec_b64 s[76:77], s[0:1]
	s_cbranch_execz .LBB143_18
; %bb.14:                               ;   in Loop: Header=BB143_4 Depth=1
	s_lshl_b64 s[44:45], s[26:27], 3
	s_add_u32 s44, s54, s44
	s_addc_u32 s45, s55, s45
	v_mov_b32_e32 v1, s52
	v_add_co_u32_e32 v6, vcc, s53, v16
	s_add_u32 s48, s44, -8
	v_addc_co_u32_e32 v7, vcc, v17, v1, vcc
	s_addc_u32 s49, s45, -1
	s_mov_b64 s[78:79], 0
	v_mov_b32_e32 v1, v0
	s_branch .LBB143_16
.LBB143_15:                             ;   in Loop: Header=BB143_16 Depth=2
	v_mov_b32_e32 v12, s55
	v_add_co_u32_e32 v8, vcc, s54, v8
	v_addc_co_u32_e32 v9, vcc, v12, v9, vcc
	v_add_u32_e32 v1, s4, v1
	v_cmp_le_i32_e32 vcc, s86, v1
	s_waitcnt vmcnt(0)
	global_store_dwordx2 v[8:9], v[10:11], off
	v_mov_b32_e32 v8, s61
	s_or_b64 s[78:79], vcc, s[78:79]
	v_add_co_u32_e32 v6, vcc, s60, v6
	v_addc_co_u32_e32 v7, vcc, v7, v8, vcc
	s_andn2_b64 exec, exec, s[78:79]
	s_cbranch_execz .LBB143_18
.LBB143_16:                             ;   Parent Loop BB143_4 Depth=1
                                        ; =>  This Loop Header: Depth=2
                                        ;       Child Loop BB143_17 Depth 3
	v_mad_i64_i32 v[8:9], s[44:45], v1, s20, 0
	v_lshlrev_b64 v[8:9], 3, v[8:9]
	v_mov_b32_e32 v11, s49
	v_add_co_u32_e32 v10, vcc, s48, v8
	v_addc_co_u32_e32 v11, vcc, v11, v9, vcc
	global_load_dwordx2 v[10:11], v[10:11], off
	s_andn2_b64 vcc, exec, s[30:31]
	v_pk_mov_b32 v[12:13], v[6:7], v[6:7] op_sel:[0,1]
	s_mov_b64 s[80:81], s[74:75]
	s_mov_b64 s[82:83], s[72:73]
	s_mov_b32 s44, s56
	s_cbranch_vccnz .LBB143_15
.LBB143_17:                             ;   Parent Loop BB143_4 Depth=1
                                        ;     Parent Loop BB143_16 Depth=2
                                        ; =>    This Inner Loop Header: Depth=3
	global_load_dwordx2 v[14:15], v[12:13], off
	global_load_dword v38, v36, s[80:81]
	global_load_dword v40, v36, s[82:83]
	s_add_i32 s44, s44, -1
	s_add_u32 s82, s82, -4
	s_addc_u32 s83, s83, -1
	s_add_u32 s80, s80, -4
	s_addc_u32 s81, s81, -1
	s_cmp_eq_u32 s44, 0
	s_waitcnt vmcnt(1)
	v_mul_f32_e32 v37, v38, v14
	v_mul_f32_e32 v39, v38, v15
	s_waitcnt vmcnt(0)
	v_fma_f32 v42, v10, v40, -v37
	v_fma_f32 v43, v11, v40, -v39
	v_pk_mul_f32 v[14:15], v[40:41], v[14:15] op_sel_hi:[0,1]
	global_store_dwordx2 v[12:13], v[42:43], off offset:8
	v_add_co_u32_e32 v12, vcc, -8, v12
	v_pk_fma_f32 v[10:11], v[10:11], v[38:39], v[14:15] op_sel_hi:[1,0,1]
	v_addc_co_u32_e32 v13, vcc, -1, v13, vcc
	s_cbranch_scc0 .LBB143_17
	s_branch .LBB143_15
.LBB143_18:                             ;   in Loop: Header=BB143_4 Depth=1
	s_or_b64 exec, exec, s[76:77]
	s_mov_b64 s[76:77], 0
.LBB143_19:                             ;   in Loop: Header=BB143_4 Depth=1
	s_andn2_b64 vcc, exec, s[76:77]
	s_cbranch_vccnz .LBB143_3
; %bb.20:                               ;   in Loop: Header=BB143_4 Depth=1
	s_andn2_b64 vcc, exec, s[34:35]
	s_mov_b64 s[76:77], -1
	s_cbranch_vccnz .LBB143_27
; %bb.21:                               ;   in Loop: Header=BB143_4 Depth=1
	s_and_saveexec_b64 s[76:77], s[0:1]
	s_cbranch_execz .LBB143_26
; %bb.22:                               ;   in Loop: Header=BB143_4 Depth=1
	s_mov_b64 s[78:79], 0
	v_mov_b32_e32 v1, v0
	s_branch .LBB143_24
.LBB143_23:                             ;   in Loop: Header=BB143_24 Depth=2
	v_add_u32_e32 v1, s4, v1
	v_cmp_le_i32_e32 vcc, s86, v1
	s_waitcnt vmcnt(0)
	global_store_dwordx2 v[6:7], v[8:9], off
	v_mov_b32_e32 v6, s61
	s_or_b64 s[78:79], vcc, s[78:79]
	v_add_co_u32_e32 v4, vcc, s60, v4
	v_addc_co_u32_e32 v5, vcc, v5, v6, vcc
	s_andn2_b64 exec, exec, s[78:79]
	s_cbranch_execz .LBB143_26
.LBB143_24:                             ;   Parent Loop BB143_4 Depth=1
                                        ; =>  This Loop Header: Depth=2
                                        ;       Child Loop BB143_25 Depth 3
	v_mad_i64_i32 v[6:7], s[44:45], v1, s20, 0
	v_lshlrev_b64 v[6:7], 3, v[6:7]
	v_mov_b32_e32 v8, s55
	v_add_co_u32_e32 v6, vcc, s54, v6
	v_addc_co_u32_e32 v7, vcc, v8, v7, vcc
	global_load_dwordx2 v[8:9], v[6:7], off
	s_andn2_b64 vcc, exec, s[30:31]
	v_pk_mov_b32 v[10:11], v[4:5], v[4:5] op_sel:[0,1]
	s_mov_b32 s44, s56
	s_mov_b64 s[80:81], s[68:69]
	s_mov_b64 s[82:83], s[70:71]
	s_cbranch_vccnz .LBB143_23
.LBB143_25:                             ;   Parent Loop BB143_4 Depth=1
                                        ;     Parent Loop BB143_24 Depth=2
                                        ; =>    This Inner Loop Header: Depth=3
	global_load_dword v12, v36, s[82:83]
	global_load_dwordx2 v[14:15], v[10:11], off
	global_load_dword v38, v36, s[80:81]
	s_add_u32 s82, s82, 4
	s_addc_u32 s83, s83, 0
	s_add_u32 s80, s80, 4
	s_addc_u32 s81, s81, 0
	s_add_i32 s44, s44, -1
	s_cmp_eq_u32 s44, 0
	s_waitcnt vmcnt(2)
	v_mul_f32_e32 v37, v8, v12
	v_mul_f32_e32 v39, v9, v12
	s_waitcnt vmcnt(1)
	v_pk_mul_f32 v[12:13], v[12:13], v[14:15] op_sel_hi:[0,1]
	s_waitcnt vmcnt(0)
	v_fma_f32 v14, v38, v14, -v37
	v_fma_f32 v15, v38, v15, -v39
	global_store_dwordx2 v[10:11], v[14:15], off
	v_add_co_u32_e32 v10, vcc, 8, v10
	v_pk_fma_f32 v[8:9], v[8:9], v[38:39], v[12:13] op_sel_hi:[1,0,1]
	v_addc_co_u32_e32 v11, vcc, 0, v11, vcc
	s_cbranch_scc0 .LBB143_25
	s_branch .LBB143_23
.LBB143_26:                             ;   in Loop: Header=BB143_4 Depth=1
	s_or_b64 exec, exec, s[76:77]
	s_mov_b64 s[76:77], 0
.LBB143_27:                             ;   in Loop: Header=BB143_4 Depth=1
	s_andn2_b64 vcc, exec, s[76:77]
	s_cbranch_vccnz .LBB143_3
; %bb.28:                               ;   in Loop: Header=BB143_4 Depth=1
	s_andn2_b64 vcc, exec, s[36:37]
	s_mov_b64 s[76:77], -1
	s_cbranch_vccnz .LBB143_35
; %bb.29:                               ;   in Loop: Header=BB143_4 Depth=1
	s_and_saveexec_b64 s[76:77], s[0:1]
	s_cbranch_execz .LBB143_34
; %bb.30:                               ;   in Loop: Header=BB143_4 Depth=1
	v_mov_b32_e32 v1, s52
	v_add_co_u32_e32 v4, vcc, s53, v20
	v_addc_co_u32_e32 v5, vcc, v21, v1, vcc
	s_mov_b64 s[78:79], 0
	v_mov_b32_e32 v1, v0
	s_branch .LBB143_32
.LBB143_31:                             ;   in Loop: Header=BB143_32 Depth=2
	v_add_u32_e32 v1, s4, v1
	v_cmp_le_i32_e32 vcc, s86, v1
	s_waitcnt vmcnt(0)
	global_store_dwordx2 v[6:7], v[8:9], off
	v_mov_b32_e32 v6, s61
	s_or_b64 s[78:79], vcc, s[78:79]
	v_add_co_u32_e32 v4, vcc, s60, v4
	v_addc_co_u32_e32 v5, vcc, v5, v6, vcc
	s_andn2_b64 exec, exec, s[78:79]
	s_cbranch_execz .LBB143_34
.LBB143_32:                             ;   Parent Loop BB143_4 Depth=1
                                        ; =>  This Loop Header: Depth=2
                                        ;       Child Loop BB143_33 Depth 3
	v_mad_i64_i32 v[6:7], s[44:45], v1, s20, 0
	v_lshlrev_b64 v[6:7], 3, v[6:7]
	v_mov_b32_e32 v8, s55
	v_add_co_u32_e32 v6, vcc, s54, v6
	v_addc_co_u32_e32 v7, vcc, v8, v7, vcc
	global_load_dwordx2 v[8:9], v[6:7], off
	s_andn2_b64 vcc, exec, s[30:31]
	v_pk_mov_b32 v[10:11], v[4:5], v[4:5] op_sel:[0,1]
	s_mov_b64 s[80:81], s[74:75]
	s_mov_b64 s[82:83], s[72:73]
	s_mov_b32 s44, s91
	s_cbranch_vccnz .LBB143_31
.LBB143_33:                             ;   Parent Loop BB143_4 Depth=1
                                        ;     Parent Loop BB143_32 Depth=2
                                        ; =>    This Inner Loop Header: Depth=3
	global_load_dword v12, v36, s[80:81]
	global_load_dwordx2 v[14:15], v[10:11], off offset:-4
	global_load_dword v38, v36, s[82:83]
	s_add_i32 s44, s44, -1
	s_add_u32 s82, s82, -4
	s_addc_u32 s83, s83, -1
	s_add_u32 s80, s80, -4
	s_addc_u32 s81, s81, -1
	s_cmp_lt_u32 s44, 3
	s_waitcnt vmcnt(2)
	v_mul_f32_e32 v37, v8, v12
	v_mul_f32_e32 v39, v9, v12
	s_waitcnt vmcnt(1)
	v_pk_mul_f32 v[12:13], v[12:13], v[14:15] op_sel_hi:[0,1]
	s_waitcnt vmcnt(0)
	v_fma_f32 v14, v38, v14, -v37
	v_fma_f32 v15, v38, v15, -v39
	global_store_dwordx2 v[10:11], v[14:15], off offset:-4
	v_add_co_u32_e32 v10, vcc, -8, v10
	v_pk_fma_f32 v[8:9], v[8:9], v[38:39], v[12:13] op_sel_hi:[1,0,1]
	v_addc_co_u32_e32 v11, vcc, -1, v11, vcc
	s_cbranch_scc0 .LBB143_33
	s_branch .LBB143_31
.LBB143_34:                             ;   in Loop: Header=BB143_4 Depth=1
	s_or_b64 exec, exec, s[76:77]
	s_mov_b64 s[76:77], 0
.LBB143_35:                             ;   in Loop: Header=BB143_4 Depth=1
	s_andn2_b64 vcc, exec, s[76:77]
	s_cbranch_vccnz .LBB143_3
; %bb.36:                               ;   in Loop: Header=BB143_4 Depth=1
	s_andn2_b64 vcc, exec, s[38:39]
	s_mov_b64 s[76:77], -1
	s_cbranch_vccnz .LBB143_43
; %bb.37:                               ;   in Loop: Header=BB143_4 Depth=1
	s_and_saveexec_b64 s[76:77], s[0:1]
	s_cbranch_execz .LBB143_42
; %bb.38:                               ;   in Loop: Header=BB143_4 Depth=1
	s_lshl_b64 s[44:45], s[26:27], 3
	s_add_u32 s44, s54, s44
	s_addc_u32 s45, s55, s45
	v_mov_b32_e32 v1, s52
	v_add_co_u32_e32 v4, vcc, s53, v18
	s_add_u32 s48, s44, -8
	v_addc_co_u32_e32 v5, vcc, v19, v1, vcc
	s_addc_u32 s49, s45, -1
	s_mov_b64 s[78:79], 0
	v_mov_b32_e32 v1, v0
	s_branch .LBB143_40
.LBB143_39:                             ;   in Loop: Header=BB143_40 Depth=2
	v_add_u32_e32 v1, s4, v1
	v_cmp_le_i32_e32 vcc, s86, v1
	s_waitcnt vmcnt(0)
	global_store_dwordx2 v[6:7], v[8:9], off
	v_mov_b32_e32 v6, s61
	s_or_b64 s[78:79], vcc, s[78:79]
	v_add_co_u32_e32 v4, vcc, s60, v4
	v_addc_co_u32_e32 v5, vcc, v5, v6, vcc
	s_andn2_b64 exec, exec, s[78:79]
	s_cbranch_execz .LBB143_42
.LBB143_40:                             ;   Parent Loop BB143_4 Depth=1
                                        ; =>  This Loop Header: Depth=2
                                        ;       Child Loop BB143_41 Depth 3
	v_mad_i64_i32 v[6:7], s[44:45], v1, s20, 0
	v_lshlrev_b64 v[6:7], 3, v[6:7]
	v_mov_b32_e32 v8, s49
	v_add_co_u32_e32 v6, vcc, s48, v6
	v_addc_co_u32_e32 v7, vcc, v8, v7, vcc
	global_load_dwordx2 v[8:9], v[6:7], off
	s_andn2_b64 vcc, exec, s[30:31]
	v_pk_mov_b32 v[10:11], v[4:5], v[4:5] op_sel:[0,1]
	s_mov_b64 s[80:81], s[70:71]
	s_mov_b64 s[82:83], s[68:69]
	s_mov_b32 s44, s56
	s_cbranch_vccnz .LBB143_39
.LBB143_41:                             ;   Parent Loop BB143_4 Depth=1
                                        ;     Parent Loop BB143_40 Depth=2
                                        ; =>    This Inner Loop Header: Depth=3
	global_load_dwordx2 v[12:13], v[10:11], off offset:-4
	global_load_dword v14, v36, s[82:83]
	global_load_dword v38, v36, s[80:81]
	s_add_i32 s44, s44, -1
	s_add_u32 s82, s82, 4
	s_addc_u32 s83, s83, 0
	s_add_u32 s80, s80, 4
	s_addc_u32 s81, s81, 0
	s_cmp_eq_u32 s44, 0
	s_waitcnt vmcnt(1)
	v_mul_f32_e32 v40, v14, v12
	v_mul_f32_e32 v41, v14, v13
	s_waitcnt vmcnt(0)
	v_fmac_f32_e32 v40, v8, v38
	v_fmac_f32_e32 v41, v9, v38
	v_pk_mul_f32 v[12:13], v[38:39], v[12:13] op_sel_hi:[0,1]
	global_store_dwordx2 v[10:11], v[40:41], off offset:-4
	v_add_co_u32_e32 v10, vcc, 8, v10
	v_pk_fma_f32 v[8:9], v[8:9], v[14:15], v[12:13] op_sel_hi:[1,0,1] neg_lo:[0,0,1] neg_hi:[0,0,1]
	v_addc_co_u32_e32 v11, vcc, 0, v11, vcc
	s_cbranch_scc0 .LBB143_41
	s_branch .LBB143_39
.LBB143_42:                             ;   in Loop: Header=BB143_4 Depth=1
	s_or_b64 exec, exec, s[76:77]
	s_mov_b64 s[76:77], 0
.LBB143_43:                             ;   in Loop: Header=BB143_4 Depth=1
	s_andn2_b64 vcc, exec, s[76:77]
	s_cbranch_vccnz .LBB143_3
; %bb.44:                               ;   in Loop: Header=BB143_4 Depth=1
	s_andn2_b64 vcc, exec, s[40:41]
	s_mov_b64 s[76:77], -1
	s_cbranch_vccnz .LBB143_51
; %bb.45:                               ;   in Loop: Header=BB143_4 Depth=1
	s_and_saveexec_b64 s[76:77], s[0:1]
	s_cbranch_execz .LBB143_50
; %bb.46:                               ;   in Loop: Header=BB143_4 Depth=1
	s_lshl_b64 s[44:45], s[26:27], 3
	s_add_u32 s44, s54, s44
	s_addc_u32 s45, s55, s45
	v_mov_b32_e32 v1, s52
	v_add_co_u32_e32 v4, vcc, s53, v22
	s_add_u32 s48, s44, -8
	v_addc_co_u32_e32 v5, vcc, v23, v1, vcc
	s_addc_u32 s49, s45, -1
	s_mov_b64 s[78:79], 0
	v_mov_b32_e32 v1, v0
	s_branch .LBB143_48
.LBB143_47:                             ;   in Loop: Header=BB143_48 Depth=2
	v_add_u32_e32 v1, s4, v1
	v_cmp_le_i32_e32 vcc, s86, v1
	s_waitcnt vmcnt(0)
	global_store_dwordx2 v[6:7], v[8:9], off
	v_mov_b32_e32 v6, s61
	s_or_b64 s[78:79], vcc, s[78:79]
	v_add_co_u32_e32 v4, vcc, s60, v4
	v_addc_co_u32_e32 v5, vcc, v5, v6, vcc
	s_andn2_b64 exec, exec, s[78:79]
	s_cbranch_execz .LBB143_50
.LBB143_48:                             ;   Parent Loop BB143_4 Depth=1
                                        ; =>  This Loop Header: Depth=2
                                        ;       Child Loop BB143_49 Depth 3
	v_mad_i64_i32 v[6:7], s[44:45], v1, s20, 0
	v_lshlrev_b64 v[6:7], 3, v[6:7]
	v_mov_b32_e32 v8, s49
	v_add_co_u32_e32 v6, vcc, s48, v6
	v_addc_co_u32_e32 v7, vcc, v8, v7, vcc
	global_load_dwordx2 v[8:9], v[6:7], off
	s_andn2_b64 vcc, exec, s[30:31]
	v_pk_mov_b32 v[10:11], v[4:5], v[4:5] op_sel:[0,1]
	s_mov_b64 s[80:81], s[74:75]
	s_mov_b64 s[82:83], s[72:73]
	s_mov_b32 s44, s56
	s_cbranch_vccnz .LBB143_47
.LBB143_49:                             ;   Parent Loop BB143_4 Depth=1
                                        ;     Parent Loop BB143_48 Depth=2
                                        ; =>    This Inner Loop Header: Depth=3
	global_load_dwordx2 v[12:13], v[10:11], off offset:-4
	global_load_dword v14, v36, s[82:83]
	global_load_dword v38, v36, s[80:81]
	s_add_i32 s44, s44, -1
	s_add_u32 s82, s82, -4
	s_addc_u32 s83, s83, -1
	s_add_u32 s80, s80, -4
	s_addc_u32 s81, s81, -1
	s_cmp_eq_u32 s44, 0
	s_waitcnt vmcnt(1)
	v_mul_f32_e32 v40, v14, v12
	v_mul_f32_e32 v41, v14, v13
	s_waitcnt vmcnt(0)
	v_fmac_f32_e32 v40, v8, v38
	v_fmac_f32_e32 v41, v9, v38
	v_pk_mul_f32 v[12:13], v[38:39], v[12:13] op_sel_hi:[0,1]
	global_store_dwordx2 v[10:11], v[40:41], off offset:-4
	v_add_co_u32_e32 v10, vcc, -8, v10
	v_pk_fma_f32 v[8:9], v[8:9], v[14:15], v[12:13] op_sel_hi:[1,0,1] neg_lo:[0,0,1] neg_hi:[0,0,1]
	v_addc_co_u32_e32 v11, vcc, -1, v11, vcc
	s_cbranch_scc0 .LBB143_49
	s_branch .LBB143_47
.LBB143_50:                             ;   in Loop: Header=BB143_4 Depth=1
	s_or_b64 exec, exec, s[76:77]
	s_mov_b64 s[76:77], 0
.LBB143_51:                             ;   in Loop: Header=BB143_4 Depth=1
	s_andn2_b64 vcc, exec, s[76:77]
	s_cbranch_vccnz .LBB143_3
; %bb.52:                               ;   in Loop: Header=BB143_4 Depth=1
	s_andn2_b64 vcc, exec, s[42:43]
	s_mov_b64 s[72:73], -1
	s_cbranch_vccnz .LBB143_59
; %bb.53:                               ;   in Loop: Header=BB143_4 Depth=1
	s_and_saveexec_b64 s[72:73], s[2:3]
	s_cbranch_execz .LBB143_58
; %bb.54:                               ;   in Loop: Header=BB143_4 Depth=1
	s_lshl_b64 s[44:45], s[66:67], 3
	v_mov_b32_e32 v1, s52
	v_add_co_u32_e32 v4, vcc, s53, v24
	s_add_u32 s80, s54, s44
	v_addc_co_u32_e32 v5, vcc, v25, v1, vcc
	s_addc_u32 s81, s55, s45
	s_mov_b64 s[74:75], 0
	v_mov_b32_e32 v6, v0
	s_branch .LBB143_56
.LBB143_55:                             ;   in Loop: Header=BB143_56 Depth=2
	v_mov_b32_e32 v1, s81
	v_add_co_u32_e32 v8, vcc, s80, v8
	v_addc_co_u32_e32 v9, vcc, v1, v9, vcc
	v_add_u32_e32 v6, s4, v6
	v_cmp_le_i32_e32 vcc, s19, v6
	v_mov_b32_e32 v1, s65
	s_or_b64 s[74:75], vcc, s[74:75]
	v_add_co_u32_e32 v4, vcc, s64, v4
	v_addc_co_u32_e32 v5, vcc, v5, v1, vcc
	s_waitcnt vmcnt(0)
	global_store_dwordx2 v[8:9], v[10:11], off
	s_andn2_b64 exec, exec, s[74:75]
	s_cbranch_execz .LBB143_58
.LBB143_56:                             ;   Parent Loop BB143_4 Depth=1
                                        ; =>  This Loop Header: Depth=2
                                        ;       Child Loop BB143_57 Depth 3
	v_ashrrev_i32_e32 v7, 31, v6
	v_lshlrev_b64 v[8:9], 3, v[6:7]
	v_mov_b32_e32 v1, s55
	v_add_co_u32_e32 v10, vcc, s54, v8
	v_addc_co_u32_e32 v11, vcc, v1, v9, vcc
	global_load_dwordx2 v[10:11], v[10:11], off
	s_andn2_b64 vcc, exec, s[46:47]
	s_mov_b64 s[76:77], s[70:71]
	s_mov_b64 s[78:79], s[68:69]
	v_pk_mov_b32 v[12:13], v[4:5], v[4:5] op_sel:[0,1]
	s_mov_b32 s44, s18
	s_cbranch_vccnz .LBB143_55
.LBB143_57:                             ;   Parent Loop BB143_4 Depth=1
                                        ;     Parent Loop BB143_56 Depth=2
                                        ; =>    This Inner Loop Header: Depth=3
	v_mov_b32_e32 v1, s63
	v_add_co_u32_e32 v38, vcc, s62, v12
	global_load_dword v14, v36, s[76:77]
	v_addc_co_u32_e32 v39, vcc, v13, v1, vcc
	global_load_dwordx2 v[40:41], v[38:39], off
	global_load_dword v42, v36, s[78:79]
	s_add_i32 s44, s44, -1
	s_add_u32 s78, s78, 4
	s_addc_u32 s79, s79, 0
	s_add_u32 s76, s76, 4
	s_addc_u32 s77, s77, 0
	s_cmp_eq_u32 s44, 0
	s_waitcnt vmcnt(2)
	v_pk_mul_f32 v[44:45], v[10:11], v[14:15] op_sel_hi:[1,0]
	s_waitcnt vmcnt(1)
	v_mul_f32_e32 v46, v14, v40
	v_mul_f32_e32 v47, v14, v41
	s_waitcnt vmcnt(0)
	v_fmac_f32_e32 v46, v10, v42
	v_fmac_f32_e32 v47, v11, v42
	v_pk_fma_f32 v[10:11], v[42:43], v[40:41], v[44:45] op_sel_hi:[0,1,1] neg_lo:[0,0,1] neg_hi:[0,0,1]
	global_store_dwordx2 v[12:13], v[46:47], off
	v_pk_mov_b32 v[12:13], v[38:39], v[38:39] op_sel:[0,1]
	s_cbranch_scc0 .LBB143_57
	s_branch .LBB143_55
.LBB143_58:                             ;   in Loop: Header=BB143_4 Depth=1
	s_or_b64 exec, exec, s[72:73]
	s_mov_b64 s[72:73], 0
.LBB143_59:                             ;   in Loop: Header=BB143_4 Depth=1
	s_andn2_b64 vcc, exec, s[72:73]
	s_cbranch_vccnz .LBB143_3
; %bb.60:                               ;   in Loop: Header=BB143_4 Depth=1
	s_add_u32 s72, s5, s85
	s_addc_u32 s73, s21, s84
	v_mov_b32_e32 v1, s52
	v_add_co_u32_e32 v4, vcc, s53, v28
	v_readlane_b32 s44, v48, 0
	s_add_u32 s74, s57, s51
	v_addc_co_u32_e32 v5, vcc, v29, v1, vcc
	v_readlane_b32 s45, v48, 1
	s_addc_u32 s75, s92, s50
	s_andn2_b64 vcc, exec, s[44:45]
	s_mov_b64 s[76:77], -1
	s_cbranch_vccnz .LBB143_68
; %bb.61:                               ;   in Loop: Header=BB143_4 Depth=1
	s_and_saveexec_b64 s[76:77], s[2:3]
	s_cbranch_execz .LBB143_67
; %bb.62:                               ;   in Loop: Header=BB143_4 Depth=1
	s_lshl_b64 s[44:45], s[66:67], 3
	v_mov_b32_e32 v1, s52
	v_add_co_u32_e32 v6, vcc, s53, v26
	s_add_u32 s50, s54, s44
	v_addc_co_u32_e32 v1, vcc, v27, v1, vcc
	s_addc_u32 s51, s55, s45
	s_mov_b64 s[78:79], 0
	v_pk_mov_b32 v[8:9], v[4:5], v[4:5] op_sel:[0,1]
	v_mov_b32_e32 v10, v0
	s_branch .LBB143_64
.LBB143_63:                             ;   in Loop: Header=BB143_64 Depth=2
	v_mov_b32_e32 v7, s55
	v_add_co_u32_e32 v12, vcc, s54, v12
	v_addc_co_u32_e32 v13, vcc, v7, v13, vcc
	v_mov_b32_e32 v7, s65
	v_add_co_u32_e32 v6, vcc, s64, v6
	v_add_u32_e32 v10, s4, v10
	v_addc_co_u32_e32 v1, vcc, v1, v7, vcc
	v_cmp_le_i32_e32 vcc, s19, v10
	s_or_b64 s[78:79], vcc, s[78:79]
	v_add_co_u32_e32 v8, vcc, s64, v8
	v_addc_co_u32_e32 v9, vcc, v9, v7, vcc
	s_waitcnt vmcnt(0)
	global_store_dwordx2 v[12:13], v[14:15], off
	s_andn2_b64 exec, exec, s[78:79]
	s_cbranch_execz .LBB143_67
.LBB143_64:                             ;   Parent Loop BB143_4 Depth=1
                                        ; =>  This Loop Header: Depth=2
                                        ;       Child Loop BB143_66 Depth 3
	v_ashrrev_i32_e32 v11, 31, v10
	v_lshlrev_b64 v[12:13], 3, v[10:11]
	v_mov_b32_e32 v7, s51
	v_add_co_u32_e32 v14, vcc, s50, v12
	v_addc_co_u32_e32 v15, vcc, v7, v13, vcc
	global_load_dwordx2 v[14:15], v[14:15], off
	s_andn2_b64 vcc, exec, s[46:47]
	s_cbranch_vccnz .LBB143_63
; %bb.65:                               ;   in Loop: Header=BB143_64 Depth=2
	s_mov_b64 s[80:81], 0
	s_mov_b64 s[82:83], s[74:75]
	;; [unrolled: 1-line block ×3, first 2 shown]
	s_mov_b32 s48, s18
.LBB143_66:                             ;   Parent Loop BB143_4 Depth=1
                                        ;     Parent Loop BB143_64 Depth=2
                                        ; =>    This Inner Loop Header: Depth=3
	v_mov_b32_e32 v7, s81
	v_add_co_u32_e32 v42, vcc, s80, v6
	v_addc_co_u32_e32 v43, vcc, v1, v7, vcc
	global_load_dword v38, v36, s[84:85]
	global_load_dword v40, v36, s[82:83]
	s_add_i32 s48, s48, -1
	global_load_dwordx2 v[42:43], v[42:43], off
	v_add_co_u32_e32 v44, vcc, s80, v8
	s_sub_u32 s80, s80, s62
	s_subb_u32 s81, s81, s63
	s_add_u32 s84, s84, -4
	s_addc_u32 s85, s85, -1
	s_add_u32 s82, s82, -4
	v_addc_co_u32_e32 v45, vcc, v9, v7, vcc
	s_addc_u32 s83, s83, -1
	s_cmp_eq_u32 s48, 0
	s_waitcnt vmcnt(0)
	v_mul_f32_e32 v7, v40, v42
	v_mul_f32_e32 v11, v40, v43
	v_pk_mul_f32 v[42:43], v[38:39], v[42:43] op_sel_hi:[0,1]
	v_fma_f32 v46, v14, v38, -v7
	v_fma_f32 v47, v15, v38, -v11
	v_pk_fma_f32 v[14:15], v[14:15], v[40:41], v[42:43] op_sel_hi:[1,0,1]
	global_store_dwordx2 v[44:45], v[46:47], off offset:-4
	s_cbranch_scc0 .LBB143_66
	s_branch .LBB143_63
.LBB143_67:                             ;   in Loop: Header=BB143_4 Depth=1
	s_or_b64 exec, exec, s[76:77]
	s_mov_b64 s[76:77], 0
.LBB143_68:                             ;   in Loop: Header=BB143_4 Depth=1
	s_andn2_b64 vcc, exec, s[76:77]
	s_cbranch_vccnz .LBB143_3
; %bb.69:                               ;   in Loop: Header=BB143_4 Depth=1
	v_readlane_b32 s44, v48, 2
	v_readlane_b32 s45, v48, 3
	s_andn2_b64 vcc, exec, s[44:45]
	s_mov_b64 s[76:77], -1
	s_cbranch_vccnz .LBB143_76
; %bb.70:                               ;   in Loop: Header=BB143_4 Depth=1
	s_and_saveexec_b64 s[76:77], s[2:3]
	s_cbranch_execz .LBB143_75
; %bb.71:                               ;   in Loop: Header=BB143_4 Depth=1
	v_mov_b32_e32 v1, s52
	v_add_co_u32_e32 v6, vcc, s53, v30
	v_addc_co_u32_e32 v7, vcc, v31, v1, vcc
	s_mov_b64 s[78:79], 0
	v_mov_b32_e32 v8, v0
	s_branch .LBB143_73
.LBB143_72:                             ;   in Loop: Header=BB143_73 Depth=2
	v_add_u32_e32 v8, s4, v8
	v_cmp_le_i32_e32 vcc, s19, v8
	v_mov_b32_e32 v1, s65
	s_or_b64 s[78:79], vcc, s[78:79]
	v_add_co_u32_e32 v6, vcc, s64, v6
	v_addc_co_u32_e32 v7, vcc, v7, v1, vcc
	s_waitcnt vmcnt(0)
	global_store_dwordx2 v[10:11], v[12:13], off
	s_andn2_b64 exec, exec, s[78:79]
	s_cbranch_execz .LBB143_75
.LBB143_73:                             ;   Parent Loop BB143_4 Depth=1
                                        ; =>  This Loop Header: Depth=2
                                        ;       Child Loop BB143_74 Depth 3
	v_ashrrev_i32_e32 v9, 31, v8
	v_lshlrev_b64 v[10:11], 3, v[8:9]
	v_mov_b32_e32 v1, s55
	v_add_co_u32_e32 v10, vcc, s54, v10
	v_addc_co_u32_e32 v11, vcc, v1, v11, vcc
	global_load_dwordx2 v[12:13], v[10:11], off
	s_andn2_b64 vcc, exec, s[46:47]
	v_pk_mov_b32 v[14:15], v[6:7], v[6:7] op_sel:[0,1]
	s_mov_b32 s48, s18
	s_mov_b64 s[80:81], s[68:69]
	s_mov_b64 s[82:83], s[70:71]
	s_cbranch_vccnz .LBB143_72
.LBB143_74:                             ;   Parent Loop BB143_4 Depth=1
                                        ;     Parent Loop BB143_73 Depth=2
                                        ; =>    This Inner Loop Header: Depth=3
	global_load_dword v38, v36, s[82:83]
	global_load_dwordx2 v[40:41], v[14:15], off offset:-4
	global_load_dword v42, v36, s[80:81]
	s_add_u32 s82, s82, 4
	s_addc_u32 s83, s83, 0
	s_add_u32 s80, s80, 4
	v_mov_b32_e32 v1, s63
	s_addc_u32 s81, s81, 0
	s_add_i32 s48, s48, -1
	s_cmp_eq_u32 s48, 0
	s_waitcnt vmcnt(2)
	v_mul_f32_e32 v9, v12, v38
	v_mul_f32_e32 v37, v13, v38
	s_waitcnt vmcnt(1)
	v_pk_mul_f32 v[38:39], v[38:39], v[40:41] op_sel_hi:[0,1]
	s_waitcnt vmcnt(0)
	v_fma_f32 v40, v42, v40, -v9
	v_fma_f32 v41, v42, v41, -v37
	global_store_dwordx2 v[14:15], v[40:41], off offset:-4
	v_add_co_u32_e32 v14, vcc, s62, v14
	v_pk_fma_f32 v[12:13], v[12:13], v[42:43], v[38:39] op_sel_hi:[1,0,1]
	v_addc_co_u32_e32 v15, vcc, v15, v1, vcc
	s_cbranch_scc0 .LBB143_74
	s_branch .LBB143_72
.LBB143_75:                             ;   in Loop: Header=BB143_4 Depth=1
	s_or_b64 exec, exec, s[76:77]
	s_mov_b64 s[76:77], 0
.LBB143_76:                             ;   in Loop: Header=BB143_4 Depth=1
	s_andn2_b64 vcc, exec, s[76:77]
	s_cbranch_vccnz .LBB143_3
; %bb.77:                               ;   in Loop: Header=BB143_4 Depth=1
	v_readlane_b32 s44, v48, 4
	v_readlane_b32 s45, v48, 5
	s_andn2_b64 vcc, exec, s[44:45]
	s_mov_b64 s[76:77], -1
	s_cbranch_vccnz .LBB143_84
; %bb.78:                               ;   in Loop: Header=BB143_4 Depth=1
	s_and_saveexec_b64 s[76:77], s[2:3]
	s_cbranch_execz .LBB143_83
; %bb.79:                               ;   in Loop: Header=BB143_4 Depth=1
	s_mov_b64 s[78:79], 0
	v_mov_b32_e32 v6, v0
	s_branch .LBB143_81
.LBB143_80:                             ;   in Loop: Header=BB143_81 Depth=2
	v_add_u32_e32 v6, s4, v6
	v_cmp_le_i32_e32 vcc, s19, v6
	v_mov_b32_e32 v1, s65
	s_or_b64 s[78:79], vcc, s[78:79]
	v_add_co_u32_e32 v4, vcc, s64, v4
	v_addc_co_u32_e32 v5, vcc, v5, v1, vcc
	s_waitcnt vmcnt(0)
	global_store_dwordx2 v[8:9], v[10:11], off
	s_andn2_b64 exec, exec, s[78:79]
	s_cbranch_execz .LBB143_83
.LBB143_81:                             ;   Parent Loop BB143_4 Depth=1
                                        ; =>  This Loop Header: Depth=2
                                        ;       Child Loop BB143_82 Depth 3
	v_ashrrev_i32_e32 v7, 31, v6
	v_lshlrev_b64 v[8:9], 3, v[6:7]
	v_mov_b32_e32 v1, s55
	v_add_co_u32_e32 v8, vcc, s54, v8
	v_addc_co_u32_e32 v9, vcc, v1, v9, vcc
	global_load_dwordx2 v[10:11], v[8:9], off
	s_andn2_b64 vcc, exec, s[46:47]
	v_pk_mov_b32 v[12:13], v[4:5], v[4:5] op_sel:[0,1]
	s_mov_b64 s[80:81], s[74:75]
	s_mov_b64 s[82:83], s[72:73]
	s_mov_b32 s48, s93
	s_cbranch_vccnz .LBB143_80
.LBB143_82:                             ;   Parent Loop BB143_4 Depth=1
                                        ;     Parent Loop BB143_81 Depth=2
                                        ; =>    This Inner Loop Header: Depth=3
	global_load_dword v14, v36, s[80:81]
	global_load_dwordx2 v[38:39], v[12:13], off offset:-4
	global_load_dword v40, v36, s[82:83]
	s_add_i32 s48, s48, -1
	s_add_u32 s82, s82, -4
	s_addc_u32 s83, s83, -1
	s_add_u32 s80, s80, -4
	v_mov_b32_e32 v1, s95
	s_addc_u32 s81, s81, -1
	s_cmp_lt_u32 s48, 3
	s_waitcnt vmcnt(2)
	v_mul_f32_e32 v7, v10, v14
	v_mul_f32_e32 v37, v11, v14
	s_waitcnt vmcnt(1)
	v_pk_mul_f32 v[14:15], v[14:15], v[38:39] op_sel_hi:[0,1]
	s_waitcnt vmcnt(0)
	v_fma_f32 v38, v40, v38, -v7
	v_fma_f32 v39, v40, v39, -v37
	global_store_dwordx2 v[12:13], v[38:39], off offset:-4
	v_add_co_u32_e32 v12, vcc, s94, v12
	v_pk_fma_f32 v[10:11], v[10:11], v[40:41], v[14:15] op_sel_hi:[1,0,1]
	v_addc_co_u32_e32 v13, vcc, v13, v1, vcc
	s_cbranch_scc0 .LBB143_82
	s_branch .LBB143_80
.LBB143_83:                             ;   in Loop: Header=BB143_4 Depth=1
	s_or_b64 exec, exec, s[76:77]
	s_mov_b64 s[76:77], 0
.LBB143_84:                             ;   in Loop: Header=BB143_4 Depth=1
	s_andn2_b64 vcc, exec, s[76:77]
	s_cbranch_vccnz .LBB143_3
; %bb.85:                               ;   in Loop: Header=BB143_4 Depth=1
	v_readlane_b32 s44, v48, 6
	v_readlane_b32 s45, v48, 7
	s_andn2_b64 vcc, exec, s[44:45]
	s_mov_b64 s[76:77], -1
	s_cbranch_vccnz .LBB143_92
; %bb.86:                               ;   in Loop: Header=BB143_4 Depth=1
	s_and_saveexec_b64 s[76:77], s[2:3]
	s_cbranch_execz .LBB143_91
; %bb.87:                               ;   in Loop: Header=BB143_4 Depth=1
	s_lshl_b64 s[44:45], s[66:67], 3
	v_mov_b32_e32 v1, s52
	v_add_co_u32_e32 v4, vcc, s53, v32
	s_add_u32 s50, s54, s44
	v_addc_co_u32_e32 v5, vcc, v33, v1, vcc
	s_addc_u32 s51, s55, s45
	s_mov_b64 s[78:79], 0
	v_mov_b32_e32 v6, v0
	s_branch .LBB143_89
.LBB143_88:                             ;   in Loop: Header=BB143_89 Depth=2
	v_add_u32_e32 v6, s4, v6
	v_cmp_le_i32_e32 vcc, s19, v6
	v_mov_b32_e32 v1, s65
	s_or_b64 s[78:79], vcc, s[78:79]
	v_add_co_u32_e32 v4, vcc, s64, v4
	v_addc_co_u32_e32 v5, vcc, v5, v1, vcc
	s_waitcnt vmcnt(0)
	global_store_dwordx2 v[8:9], v[10:11], off
	s_andn2_b64 exec, exec, s[78:79]
	s_cbranch_execz .LBB143_91
.LBB143_89:                             ;   Parent Loop BB143_4 Depth=1
                                        ; =>  This Loop Header: Depth=2
                                        ;       Child Loop BB143_90 Depth 3
	v_ashrrev_i32_e32 v7, 31, v6
	v_lshlrev_b64 v[8:9], 3, v[6:7]
	v_mov_b32_e32 v1, s51
	v_add_co_u32_e32 v8, vcc, s50, v8
	v_addc_co_u32_e32 v9, vcc, v1, v9, vcc
	global_load_dwordx2 v[10:11], v[8:9], off
	s_andn2_b64 vcc, exec, s[46:47]
	v_pk_mov_b32 v[12:13], v[4:5], v[4:5] op_sel:[0,1]
	s_mov_b64 s[80:81], s[70:71]
	s_mov_b64 s[82:83], s[68:69]
	s_mov_b32 s48, s18
	s_cbranch_vccnz .LBB143_88
.LBB143_90:                             ;   Parent Loop BB143_4 Depth=1
                                        ;     Parent Loop BB143_89 Depth=2
                                        ; =>    This Inner Loop Header: Depth=3
	global_load_dwordx2 v[14:15], v[12:13], off offset:-4
	global_load_dword v38, v36, s[82:83]
	global_load_dword v40, v36, s[80:81]
	s_add_i32 s48, s48, -1
	s_add_u32 s82, s82, 4
	s_addc_u32 s83, s83, 0
	s_add_u32 s80, s80, 4
	v_mov_b32_e32 v1, s63
	s_addc_u32 s81, s81, 0
	s_cmp_eq_u32 s48, 0
	s_waitcnt vmcnt(1)
	v_mul_f32_e32 v42, v38, v14
	v_mul_f32_e32 v43, v38, v15
	s_waitcnt vmcnt(0)
	v_fmac_f32_e32 v42, v10, v40
	v_fmac_f32_e32 v43, v11, v40
	v_pk_mul_f32 v[14:15], v[40:41], v[14:15] op_sel_hi:[0,1]
	global_store_dwordx2 v[12:13], v[42:43], off offset:-4
	v_add_co_u32_e32 v12, vcc, s62, v12
	v_pk_fma_f32 v[10:11], v[10:11], v[38:39], v[14:15] op_sel_hi:[1,0,1] neg_lo:[0,0,1] neg_hi:[0,0,1]
	v_addc_co_u32_e32 v13, vcc, v13, v1, vcc
	s_cbranch_scc0 .LBB143_90
	s_branch .LBB143_88
.LBB143_91:                             ;   in Loop: Header=BB143_4 Depth=1
	s_or_b64 exec, exec, s[76:77]
	s_mov_b64 s[76:77], 0
.LBB143_92:                             ;   in Loop: Header=BB143_4 Depth=1
	s_andn2_b64 vcc, exec, s[76:77]
	s_cbranch_vccnz .LBB143_3
; %bb.93:                               ;   in Loop: Header=BB143_4 Depth=1
	s_mov_b64 s[68:69], exec
	v_readlane_b32 s44, v48, 8
	v_readlane_b32 s45, v48, 9
	s_and_b64 s[44:45], s[68:69], s[44:45]
	s_mov_b64 exec, s[44:45]
	s_cbranch_execz .LBB143_2
; %bb.94:                               ;   in Loop: Header=BB143_4 Depth=1
	s_lshl_b64 s[44:45], s[66:67], 3
	v_mov_b32_e32 v1, s52
	v_add_co_u32_e32 v4, vcc, s53, v34
	s_add_u32 s50, s54, s44
	v_addc_co_u32_e32 v5, vcc, v35, v1, vcc
	s_addc_u32 s51, s55, s45
	s_mov_b64 s[70:71], 0
	v_mov_b32_e32 v6, v0
	s_branch .LBB143_96
.LBB143_95:                             ;   in Loop: Header=BB143_96 Depth=2
	v_add_u32_e32 v6, s4, v6
	v_cmp_le_i32_e32 vcc, s19, v6
	v_mov_b32_e32 v1, s65
	s_or_b64 s[70:71], vcc, s[70:71]
	v_add_co_u32_e32 v4, vcc, s64, v4
	v_addc_co_u32_e32 v5, vcc, v5, v1, vcc
	s_waitcnt vmcnt(0)
	global_store_dwordx2 v[8:9], v[10:11], off
	s_andn2_b64 exec, exec, s[70:71]
	s_cbranch_execz .LBB143_2
.LBB143_96:                             ;   Parent Loop BB143_4 Depth=1
                                        ; =>  This Loop Header: Depth=2
                                        ;       Child Loop BB143_97 Depth 3
	v_ashrrev_i32_e32 v7, 31, v6
	v_lshlrev_b64 v[8:9], 3, v[6:7]
	v_mov_b32_e32 v1, s51
	v_add_co_u32_e32 v8, vcc, s50, v8
	v_addc_co_u32_e32 v9, vcc, v1, v9, vcc
	global_load_dwordx2 v[10:11], v[8:9], off
	s_andn2_b64 vcc, exec, s[46:47]
	v_pk_mov_b32 v[12:13], v[4:5], v[4:5] op_sel:[0,1]
	s_mov_b64 s[76:77], s[74:75]
	s_mov_b64 s[78:79], s[72:73]
	s_mov_b32 s48, s18
	s_cbranch_vccnz .LBB143_95
.LBB143_97:                             ;   Parent Loop BB143_4 Depth=1
                                        ;     Parent Loop BB143_96 Depth=2
                                        ; =>    This Inner Loop Header: Depth=3
	global_load_dwordx2 v[14:15], v[12:13], off offset:-4
	global_load_dword v38, v36, s[78:79]
	global_load_dword v40, v36, s[76:77]
	s_add_i32 s48, s48, -1
	s_add_u32 s78, s78, -4
	s_addc_u32 s79, s79, -1
	s_add_u32 s76, s76, -4
	v_mov_b32_e32 v1, s95
	s_addc_u32 s77, s77, -1
	s_cmp_eq_u32 s48, 0
	s_waitcnt vmcnt(1)
	v_mul_f32_e32 v42, v38, v14
	v_mul_f32_e32 v43, v38, v15
	s_waitcnt vmcnt(0)
	v_fmac_f32_e32 v42, v10, v40
	v_fmac_f32_e32 v43, v11, v40
	v_pk_mul_f32 v[14:15], v[40:41], v[14:15] op_sel_hi:[0,1]
	global_store_dwordx2 v[12:13], v[42:43], off offset:-4
	v_add_co_u32_e32 v12, vcc, s94, v12
	v_pk_fma_f32 v[10:11], v[10:11], v[38:39], v[14:15] op_sel_hi:[1,0,1] neg_lo:[0,0,1] neg_hi:[0,0,1]
	v_addc_co_u32_e32 v13, vcc, v13, v1, vcc
	s_cbranch_scc0 .LBB143_97
	s_branch .LBB143_95
.LBB143_98:
	s_endpgm
	.section	.rodata,"a",@progbits
	.p2align	6, 0x0
	.amdhsa_kernel _ZN9rocsolver6v33100L11lasr_kernelI19rocblas_complex_numIfEfPS3_iEEv13rocblas_side_14rocblas_pivot_15rocblas_direct_T2_S8_PT0_lSA_lT1_lS8_lS8_
		.amdhsa_group_segment_fixed_size 0
		.amdhsa_private_segment_fixed_size 0
		.amdhsa_kernarg_size 352
		.amdhsa_user_sgpr_count 6
		.amdhsa_user_sgpr_private_segment_buffer 1
		.amdhsa_user_sgpr_dispatch_ptr 0
		.amdhsa_user_sgpr_queue_ptr 0
		.amdhsa_user_sgpr_kernarg_segment_ptr 1
		.amdhsa_user_sgpr_dispatch_id 0
		.amdhsa_user_sgpr_flat_scratch_init 0
		.amdhsa_user_sgpr_kernarg_preload_length 0
		.amdhsa_user_sgpr_kernarg_preload_offset 0
		.amdhsa_user_sgpr_private_segment_size 0
		.amdhsa_uses_dynamic_stack 0
		.amdhsa_system_sgpr_private_segment_wavefront_offset 0
		.amdhsa_system_sgpr_workgroup_id_x 1
		.amdhsa_system_sgpr_workgroup_id_y 0
		.amdhsa_system_sgpr_workgroup_id_z 1
		.amdhsa_system_sgpr_workgroup_info 0
		.amdhsa_system_vgpr_workitem_id 0
		.amdhsa_next_free_vgpr 49
		.amdhsa_next_free_sgpr 96
		.amdhsa_accum_offset 52
		.amdhsa_reserve_vcc 1
		.amdhsa_reserve_flat_scratch 0
		.amdhsa_float_round_mode_32 0
		.amdhsa_float_round_mode_16_64 0
		.amdhsa_float_denorm_mode_32 3
		.amdhsa_float_denorm_mode_16_64 3
		.amdhsa_dx10_clamp 1
		.amdhsa_ieee_mode 1
		.amdhsa_fp16_overflow 0
		.amdhsa_tg_split 0
		.amdhsa_exception_fp_ieee_invalid_op 0
		.amdhsa_exception_fp_denorm_src 0
		.amdhsa_exception_fp_ieee_div_zero 0
		.amdhsa_exception_fp_ieee_overflow 0
		.amdhsa_exception_fp_ieee_underflow 0
		.amdhsa_exception_fp_ieee_inexact 0
		.amdhsa_exception_int_div_zero 0
	.end_amdhsa_kernel
	.section	.text._ZN9rocsolver6v33100L11lasr_kernelI19rocblas_complex_numIfEfPS3_iEEv13rocblas_side_14rocblas_pivot_15rocblas_direct_T2_S8_PT0_lSA_lT1_lS8_lS8_,"axG",@progbits,_ZN9rocsolver6v33100L11lasr_kernelI19rocblas_complex_numIfEfPS3_iEEv13rocblas_side_14rocblas_pivot_15rocblas_direct_T2_S8_PT0_lSA_lT1_lS8_lS8_,comdat
.Lfunc_end143:
	.size	_ZN9rocsolver6v33100L11lasr_kernelI19rocblas_complex_numIfEfPS3_iEEv13rocblas_side_14rocblas_pivot_15rocblas_direct_T2_S8_PT0_lSA_lT1_lS8_lS8_, .Lfunc_end143-_ZN9rocsolver6v33100L11lasr_kernelI19rocblas_complex_numIfEfPS3_iEEv13rocblas_side_14rocblas_pivot_15rocblas_direct_T2_S8_PT0_lSA_lT1_lS8_lS8_
                                        ; -- End function
	.section	.AMDGPU.csdata,"",@progbits
; Kernel info:
; codeLenInByte = 4668
; NumSgprs: 100
; NumVgprs: 49
; NumAgprs: 0
; TotalNumVgprs: 49
; ScratchSize: 0
; MemoryBound: 0
; FloatMode: 240
; IeeeMode: 1
; LDSByteSize: 0 bytes/workgroup (compile time only)
; SGPRBlocks: 12
; VGPRBlocks: 6
; NumSGPRsForWavesPerEU: 100
; NumVGPRsForWavesPerEU: 49
; AccumOffset: 52
; Occupancy: 8
; WaveLimiterHint : 0
; COMPUTE_PGM_RSRC2:SCRATCH_EN: 0
; COMPUTE_PGM_RSRC2:USER_SGPR: 6
; COMPUTE_PGM_RSRC2:TRAP_HANDLER: 0
; COMPUTE_PGM_RSRC2:TGID_X_EN: 1
; COMPUTE_PGM_RSRC2:TGID_Y_EN: 0
; COMPUTE_PGM_RSRC2:TGID_Z_EN: 1
; COMPUTE_PGM_RSRC2:TIDIG_COMP_CNT: 0
; COMPUTE_PGM_RSRC3_GFX90A:ACCUM_OFFSET: 12
; COMPUTE_PGM_RSRC3_GFX90A:TG_SPLIT: 0
	.section	.text._ZN9rocsolver6v33100L11swap_kernelI19rocblas_complex_numIfEiEEvT0_PT_S4_S6_S4_,"axG",@progbits,_ZN9rocsolver6v33100L11swap_kernelI19rocblas_complex_numIfEiEEvT0_PT_S4_S6_S4_,comdat
	.globl	_ZN9rocsolver6v33100L11swap_kernelI19rocblas_complex_numIfEiEEvT0_PT_S4_S6_S4_ ; -- Begin function _ZN9rocsolver6v33100L11swap_kernelI19rocblas_complex_numIfEiEEvT0_PT_S4_S6_S4_
	.p2align	8
	.type	_ZN9rocsolver6v33100L11swap_kernelI19rocblas_complex_numIfEiEEvT0_PT_S4_S6_S4_,@function
_ZN9rocsolver6v33100L11swap_kernelI19rocblas_complex_numIfEiEEvT0_PT_S4_S6_S4_: ; @_ZN9rocsolver6v33100L11swap_kernelI19rocblas_complex_numIfEiEEvT0_PT_S4_S6_S4_
; %bb.0:
	s_load_dword s16, s[4:5], 0x0
	s_waitcnt lgkmcnt(0)
	s_cmp_lt_i32 s16, 1
	s_cbranch_scc1 .LBB144_10
; %bb.1:
	s_load_dword s0, s[4:5], 0x28
	s_load_dword s1, s[4:5], 0x34
	s_load_dwordx2 s[2:3], s[4:5], 0x8
	s_load_dword s12, s[4:5], 0x10
	s_load_dwordx2 s[8:9], s[4:5], 0x18
	s_load_dword s10, s[4:5], 0x20
	s_waitcnt lgkmcnt(0)
	s_and_b32 s1, s1, 0xffff
	s_mul_i32 s6, s6, s1
	s_cmp_eq_u32 s12, 1
	s_mul_i32 s4, s0, s1
	s_cselect_b64 s[0:1], -1, 0
	s_cmp_eq_u32 s10, 1
	v_add_u32_e32 v0, s6, v0
	s_cselect_b64 s[6:7], -1, 0
	s_and_b64 s[14:15], s[0:1], s[6:7]
	v_cmp_gt_i32_e64 s[0:1], s16, v0
	s_mov_b64 s[6:7], -1
	s_and_b64 vcc, exec, s[14:15]
	s_cbranch_vccnz .LBB144_6
; %bb.2:
	s_and_saveexec_b64 s[6:7], s[0:1]
	s_cbranch_execz .LBB144_5
; %bb.3:
	v_mad_i64_i32 v[2:3], s[14:15], s10, v0, 0
	v_lshlrev_b64 v[2:3], 3, v[2:3]
	v_mov_b32_e32 v1, s9
	v_add_co_u32_e32 v2, vcc, s8, v2
	v_mad_i64_i32 v[4:5], s[14:15], s12, v0, 0
	v_addc_co_u32_e32 v3, vcc, v1, v3, vcc
	s_mul_hi_i32 s11, s10, s4
	s_mul_i32 s10, s10, s4
	v_lshlrev_b64 v[4:5], 3, v[4:5]
	s_mul_hi_i32 s13, s12, s4
	s_mul_i32 s12, s12, s4
	s_lshl_b64 s[10:11], s[10:11], 3
	v_mov_b32_e32 v1, s3
	v_add_co_u32_e32 v4, vcc, s2, v4
	s_lshl_b64 s[12:13], s[12:13], 3
	v_addc_co_u32_e32 v5, vcc, v1, v5, vcc
	s_mov_b64 s[14:15], 0
	v_mov_b32_e32 v1, s11
	v_mov_b32_e32 v6, s13
	;; [unrolled: 1-line block ×3, first 2 shown]
.LBB144_4:                              ; =>This Inner Loop Header: Depth=1
	global_load_dwordx2 v[8:9], v[4:5], off
	global_load_dwordx2 v[10:11], v[2:3], off
	v_add_u32_e32 v7, s4, v7
	v_cmp_le_i32_e32 vcc, s16, v7
	s_or_b64 s[14:15], vcc, s[14:15]
	s_waitcnt vmcnt(1)
	global_store_dwordx2 v[2:3], v[8:9], off
	s_waitcnt vmcnt(1)
	global_store_dwordx2 v[4:5], v[10:11], off
	v_add_co_u32_e32 v2, vcc, s10, v2
	v_addc_co_u32_e32 v3, vcc, v3, v1, vcc
	v_add_co_u32_e32 v4, vcc, s12, v4
	v_addc_co_u32_e32 v5, vcc, v5, v6, vcc
	s_andn2_b64 exec, exec, s[14:15]
	s_cbranch_execnz .LBB144_4
.LBB144_5:
	s_or_b64 exec, exec, s[6:7]
	s_mov_b64 s[6:7], 0
.LBB144_6:
	s_andn2_b64 vcc, exec, s[6:7]
	s_cbranch_vccnz .LBB144_10
; %bb.7:
	s_and_saveexec_b64 s[6:7], s[0:1]
	s_cbranch_execz .LBB144_10
; %bb.8:
	s_ashr_i32 s5, s4, 31
	v_ashrrev_i32_e32 v1, 31, v0
	s_lshl_b64 s[0:1], s[4:5], 3
	v_lshlrev_b64 v[2:3], 3, v[0:1]
	s_mov_b64 s[6:7], 0
	v_mov_b32_e32 v1, s9
	v_mov_b32_e32 v4, s3
	;; [unrolled: 1-line block ×3, first 2 shown]
.LBB144_9:                              ; =>This Inner Loop Header: Depth=1
	v_add_co_u32_e32 v6, vcc, s8, v2
	v_addc_co_u32_e32 v7, vcc, v1, v3, vcc
	v_add_co_u32_e32 v8, vcc, s2, v2
	v_addc_co_u32_e32 v9, vcc, v4, v3, vcc
	global_load_dwordx2 v[10:11], v[8:9], off
	global_load_dwordx2 v[12:13], v[6:7], off
	v_add_co_u32_e32 v2, vcc, s0, v2
	v_add_u32_e32 v0, s4, v0
	v_addc_co_u32_e32 v3, vcc, v3, v5, vcc
	v_cmp_le_i32_e32 vcc, s16, v0
	s_or_b64 s[6:7], vcc, s[6:7]
	s_waitcnt vmcnt(1)
	global_store_dwordx2 v[6:7], v[10:11], off
	s_waitcnt vmcnt(1)
	global_store_dwordx2 v[8:9], v[12:13], off
	s_andn2_b64 exec, exec, s[6:7]
	s_cbranch_execnz .LBB144_9
.LBB144_10:
	s_endpgm
	.section	.rodata,"a",@progbits
	.p2align	6, 0x0
	.amdhsa_kernel _ZN9rocsolver6v33100L11swap_kernelI19rocblas_complex_numIfEiEEvT0_PT_S4_S6_S4_
		.amdhsa_group_segment_fixed_size 0
		.amdhsa_private_segment_fixed_size 0
		.amdhsa_kernarg_size 296
		.amdhsa_user_sgpr_count 6
		.amdhsa_user_sgpr_private_segment_buffer 1
		.amdhsa_user_sgpr_dispatch_ptr 0
		.amdhsa_user_sgpr_queue_ptr 0
		.amdhsa_user_sgpr_kernarg_segment_ptr 1
		.amdhsa_user_sgpr_dispatch_id 0
		.amdhsa_user_sgpr_flat_scratch_init 0
		.amdhsa_user_sgpr_kernarg_preload_length 0
		.amdhsa_user_sgpr_kernarg_preload_offset 0
		.amdhsa_user_sgpr_private_segment_size 0
		.amdhsa_uses_dynamic_stack 0
		.amdhsa_system_sgpr_private_segment_wavefront_offset 0
		.amdhsa_system_sgpr_workgroup_id_x 1
		.amdhsa_system_sgpr_workgroup_id_y 0
		.amdhsa_system_sgpr_workgroup_id_z 0
		.amdhsa_system_sgpr_workgroup_info 0
		.amdhsa_system_vgpr_workitem_id 0
		.amdhsa_next_free_vgpr 14
		.amdhsa_next_free_sgpr 17
		.amdhsa_accum_offset 16
		.amdhsa_reserve_vcc 1
		.amdhsa_reserve_flat_scratch 0
		.amdhsa_float_round_mode_32 0
		.amdhsa_float_round_mode_16_64 0
		.amdhsa_float_denorm_mode_32 3
		.amdhsa_float_denorm_mode_16_64 3
		.amdhsa_dx10_clamp 1
		.amdhsa_ieee_mode 1
		.amdhsa_fp16_overflow 0
		.amdhsa_tg_split 0
		.amdhsa_exception_fp_ieee_invalid_op 0
		.amdhsa_exception_fp_denorm_src 0
		.amdhsa_exception_fp_ieee_div_zero 0
		.amdhsa_exception_fp_ieee_overflow 0
		.amdhsa_exception_fp_ieee_underflow 0
		.amdhsa_exception_fp_ieee_inexact 0
		.amdhsa_exception_int_div_zero 0
	.end_amdhsa_kernel
	.section	.text._ZN9rocsolver6v33100L11swap_kernelI19rocblas_complex_numIfEiEEvT0_PT_S4_S6_S4_,"axG",@progbits,_ZN9rocsolver6v33100L11swap_kernelI19rocblas_complex_numIfEiEEvT0_PT_S4_S6_S4_,comdat
.Lfunc_end144:
	.size	_ZN9rocsolver6v33100L11swap_kernelI19rocblas_complex_numIfEiEEvT0_PT_S4_S6_S4_, .Lfunc_end144-_ZN9rocsolver6v33100L11swap_kernelI19rocblas_complex_numIfEiEEvT0_PT_S4_S6_S4_
                                        ; -- End function
	.section	.AMDGPU.csdata,"",@progbits
; Kernel info:
; codeLenInByte = 460
; NumSgprs: 21
; NumVgprs: 14
; NumAgprs: 0
; TotalNumVgprs: 14
; ScratchSize: 0
; MemoryBound: 0
; FloatMode: 240
; IeeeMode: 1
; LDSByteSize: 0 bytes/workgroup (compile time only)
; SGPRBlocks: 2
; VGPRBlocks: 1
; NumSGPRsForWavesPerEU: 21
; NumVGPRsForWavesPerEU: 14
; AccumOffset: 16
; Occupancy: 8
; WaveLimiterHint : 0
; COMPUTE_PGM_RSRC2:SCRATCH_EN: 0
; COMPUTE_PGM_RSRC2:USER_SGPR: 6
; COMPUTE_PGM_RSRC2:TRAP_HANDLER: 0
; COMPUTE_PGM_RSRC2:TGID_X_EN: 1
; COMPUTE_PGM_RSRC2:TGID_Y_EN: 0
; COMPUTE_PGM_RSRC2:TGID_Z_EN: 0
; COMPUTE_PGM_RSRC2:TIDIG_COMP_CNT: 0
; COMPUTE_PGM_RSRC3_GFX90A:ACCUM_OFFSET: 3
; COMPUTE_PGM_RSRC3_GFX90A:TG_SPLIT: 0
	.section	.text._ZN9rocsolver6v33100L12steqr_kernelI19rocblas_complex_numIfEfPS3_EEviPT0_lS6_lT1_iilPiS6_iS5_S5_S5_,"axG",@progbits,_ZN9rocsolver6v33100L12steqr_kernelI19rocblas_complex_numIfEfPS3_EEviPT0_lS6_lT1_iilPiS6_iS5_S5_S5_,comdat
	.globl	_ZN9rocsolver6v33100L12steqr_kernelI19rocblas_complex_numIfEfPS3_EEviPT0_lS6_lT1_iilPiS6_iS5_S5_S5_ ; -- Begin function _ZN9rocsolver6v33100L12steqr_kernelI19rocblas_complex_numIfEfPS3_EEviPT0_lS6_lT1_iilPiS6_iS5_S5_S5_
	.p2align	8
	.type	_ZN9rocsolver6v33100L12steqr_kernelI19rocblas_complex_numIfEfPS3_EEviPT0_lS6_lT1_iilPiS6_iS5_S5_S5_,@function
_ZN9rocsolver6v33100L12steqr_kernelI19rocblas_complex_numIfEfPS3_EEviPT0_lS6_lT1_iilPiS6_iS5_S5_S5_: ; @_ZN9rocsolver6v33100L12steqr_kernelI19rocblas_complex_numIfEfPS3_EEviPT0_lS6_lT1_iilPiS6_iS5_S5_S5_
; %bb.0:
	s_load_dword s0, s[4:5], 0x6c
	s_load_dword s8, s[4:5], 0x60
	s_mov_b32 s38, s7
	s_waitcnt lgkmcnt(0)
	s_and_b32 s9, s0, 0xffff
	s_mul_i32 s6, s6, s9
	v_add_u32_e32 v0, s6, v0
	v_cmp_eq_u32_e64 s[0:1], 0, v0
	s_and_saveexec_b64 s[2:3], s[0:1]
	s_cbranch_execz .LBB145_2
; %bb.1:
	v_mov_b32_e32 v1, 0
	ds_write2_b32 v1, v1, v1 offset0:3 offset1:7
.LBB145_2:
	s_or_b64 exec, exec, s[2:3]
	s_load_dword s10, s[4:5], 0x0
	s_load_dwordx8 s[20:27], s[4:5], 0x8
	s_load_dwordx8 s[12:19], s[4:5], 0x28
	s_load_dwordx2 s[6:7], s[4:5], 0x48
	s_load_dwordx4 s[28:31], s[4:5], 0x50
	s_ashr_i32 s39, s38, 31
	s_waitcnt lgkmcnt(0)
	s_mul_i32 s2, s38, s23
	s_mul_hi_u32 s3, s38, s22
	s_add_i32 s2, s3, s2
	s_mul_i32 s3, s39, s22
	s_add_i32 s3, s2, s3
	s_mul_i32 s2, s38, s22
	v_mov_b32_e32 v38, 0
	s_lshl_b64 s[36:37], s[2:3], 2
	s_barrier
	ds_read2_b32 v[2:3], v38 offset0:3 offset1:7
	s_add_u32 s22, s20, s36
	s_mul_i32 s2, s38, s27
	s_mul_hi_u32 s3, s38, s26
	s_addc_u32 s23, s21, s37
	s_add_i32 s2, s3, s2
	s_mul_i32 s3, s39, s26
	s_add_i32 s43, s2, s3
	s_mul_i32 s2, s38, s17
	s_mul_hi_u32 s3, s38, s16
	s_add_i32 s2, s3, s2
	s_mul_i32 s3, s39, s16
	s_add_i32 s17, s2, s3
	s_waitcnt lgkmcnt(0)
	v_cmp_gt_i32_e32 vcc, s10, v2
	v_cmp_gt_i32_e64 s[2:3], s28, v3
	s_and_b64 s[2:3], vcc, s[2:3]
	s_mul_i32 s34, s8, s9
	s_mul_i32 s42, s38, s26
	s_ashr_i32 s27, s14, 31
	s_mov_b32 s26, s14
	s_mul_i32 s16, s38, s16
	v_readfirstlane_b32 s8, v2
	s_andn2_b64 vcc, exec, s[2:3]
	s_add_i32 s40, s10, -1
	s_cbranch_vccnz .LBB145_224
; %bb.3:
	s_lshl_b32 s9, s10, 1
	s_lshl_b64 s[2:3], s[42:43], 2
	s_add_u32 s14, s24, s2
	s_addc_u32 s33, s25, s3
	s_lshl_b64 s[2:3], s[16:17], 3
	s_lshl_b64 s[4:5], s[26:27], 3
	s_add_u32 s2, s2, s4
	s_addc_u32 s3, s3, s5
	s_add_u32 s90, s12, s2
	s_addc_u32 s91, s13, s3
	s_mul_hi_i32 s3, s9, s38
	s_mul_i32 s2, s9, s38
	s_lshl_b64 s[4:5], s[2:3], 2
	s_add_u32 s92, s6, s4
	s_addc_u32 s93, s7, s5
	s_ashr_i32 s11, s10, 31
	s_ashr_i32 s45, s15, 31
	s_add_u32 s46, s14, -4
	s_addc_u32 s47, s33, -1
	s_add_u32 s48, s92, -4
	s_addc_u32 s49, s93, -1
	s_add_u32 s94, s20, s36
	s_addc_u32 s95, s21, s37
	s_ashr_i32 s35, s34, 31
	s_lshl_b64 s[50:51], s[34:35], 2
	s_lshl_b64 s[52:53], s[10:11], 2
	s_add_u32 s4, s4, s52
	s_addc_u32 s5, s5, s53
	s_add_u32 s4, s4, s6
	s_addc_u32 s5, s5, s7
	s_add_u32 s4, s4, -8
	s_addc_u32 s5, s5, -1
	s_mov_b32 s44, s15
	s_add_u32 s11, s52, -4
	s_addc_u32 s62, s53, -1
	s_lshl_b64 s[56:57], s[44:45], 3
	s_lshl_b64 s[58:59], s[34:35], 3
	v_ashrrev_i32_e32 v1, 31, v0
	s_sub_u32 s35, 0, s56
	v_lshlrev_b64 v[2:3], 3, v[0:1]
	s_subb_u32 s63, 0, s57
                                        ; implicit-def: $vgpr62 : SGPR spill to VGPR lane
	v_mov_b32_e32 v4, s91
	v_add_co_u32_e32 v1, vcc, s90, v2
	s_add_u32 s64, s94, -4
	s_mov_b32 s82, 0x667f3bcd
	s_mov_b32 s84, 0.5
	v_mul_f32_e64 v39, s29, s29
	v_cmp_gt_i32_e64 s[2:3], s10, v0
	v_writelane_b32 v62, s4, 0
	v_addc_co_u32_e32 v40, vcc, v4, v3, vcc
	s_addc_u32 s65, s95, -1
	s_mov_b32 s61, 0
	s_mov_b32 s54, 0xf800000
	;; [unrolled: 1-line block ×3, first 2 shown]
	v_mov_b32_e32 v41, 0x260
	s_mov_b32 s83, 0x3ff6a09e
	s_mov_b32 s85, -0.5
	v_writelane_b32 v62, s5, 1
                                        ; implicit-def: $vgpr6_vgpr7
                                        ; implicit-def: $vgpr8_vgpr9
                                        ; implicit-def: $vgpr10_vgpr11
                                        ; implicit-def: $vgpr2_vgpr3
                                        ; implicit-def: $vgpr42
                                        ; implicit-def: $vgpr4_vgpr5
                                        ; implicit-def: $vgpr43
                                        ; implicit-def: $vgpr12_vgpr13
                                        ; implicit-def: $vgpr14_vgpr15
	s_branch .LBB145_7
.LBB145_4:                              ;   in Loop: Header=BB145_7 Depth=1
	s_or_b64 exec, exec, s[4:5]
.LBB145_5:                              ;   in Loop: Header=BB145_7 Depth=1
	s_barrier
.LBB145_6:                              ;   in Loop: Header=BB145_7 Depth=1
	ds_read2_b32 v[12:13], v38 offset0:3 offset1:7
	v_mov_b32_e32 v43, v44
	v_pk_mov_b32 v[14:15], v[22:23], v[22:23] op_sel:[0,1]
	s_waitcnt lgkmcnt(0)
	v_cmp_gt_i32_e32 vcc, s10, v12
	v_cmp_gt_i32_e64 s[4:5], s28, v13
	s_and_b64 s[4:5], vcc, s[4:5]
	v_readfirstlane_b32 s8, v12
	s_andn2_b64 vcc, exec, s[4:5]
	v_pk_mov_b32 v[12:13], v[20:21], v[20:21] op_sel:[0,1]
	s_cbranch_vccnz .LBB145_224
.LBB145_7:                              ; =>This Loop Header: Depth=1
                                        ;     Child Loop BB145_15 Depth 2
                                        ;     Child Loop BB145_28 Depth 2
                                        ;     Child Loop BB145_38 Depth 2
                                        ;     Child Loop BB145_46 Depth 2
                                        ;     Child Loop BB145_53 Depth 2
                                        ;       Child Loop BB145_61 Depth 3
                                        ;       Child Loop BB145_80 Depth 3
	;; [unrolled: 1-line block ×3, first 2 shown]
                                        ;         Child Loop BB145_127 Depth 4
                                        ;     Child Loop BB145_148 Depth 2
                                        ;       Child Loop BB145_156 Depth 3
                                        ;       Child Loop BB145_175 Depth 3
	;; [unrolled: 1-line block ×3, first 2 shown]
                                        ;         Child Loop BB145_222 Depth 4
                                        ;     Child Loop BB145_138 Depth 2
                                        ;     Child Loop BB145_145 Depth 2
	s_and_saveexec_b64 s[66:67], s[0:1]
	s_cbranch_execz .LBB145_31
; %bb.8:                                ;   in Loop: Header=BB145_7 Depth=1
	s_cmp_lt_i32 s8, 1
	s_cbranch_scc1 .LBB145_10
; %bb.9:                                ;   in Loop: Header=BB145_7 Depth=1
	s_mov_b32 s9, s61
	s_lshl_b64 s[4:5], s[8:9], 2
	s_add_u32 s4, s46, s4
	s_addc_u32 s5, s47, s5
	global_store_dword v38, v38, s[4:5]
.LBB145_10:                             ;   in Loop: Header=BB145_7 Depth=1
	s_mov_b64 s[6:7], -1
	s_mov_b64 s[4:5], 0
	s_cmp_lt_i32 s8, s40
	s_mov_b64 s[68:69], 0
	s_cbranch_scc1 .LBB145_12
; %bb.11:                               ;   in Loop: Header=BB145_7 Depth=1
	s_ashr_i32 s9, s8, 31
	s_mov_b64 s[6:7], 0
	s_mov_b64 s[68:69], -1
.LBB145_12:                             ;   in Loop: Header=BB145_7 Depth=1
	s_andn2_b64 vcc, exec, s[6:7]
	s_cbranch_vccnz .LBB145_17
; %bb.13:                               ;   in Loop: Header=BB145_7 Depth=1
	s_ashr_i32 s9, s8, 31
	s_lshl_b64 s[4:5], s[8:9], 2
	s_add_u32 s76, s14, s4
	s_addc_u32 s77, s33, s5
	s_add_u32 s74, s94, s4
	s_addc_u32 s75, s95, s5
	s_mov_b64 s[78:79], s[8:9]
	s_branch .LBB145_15
.LBB145_14:                             ;   in Loop: Header=BB145_15 Depth=2
	s_andn2_b64 vcc, exec, s[4:5]
	s_cbranch_vccz .LBB145_18
.LBB145_15:                             ;   Parent Loop BB145_7 Depth=1
                                        ; =>  This Inner Loop Header: Depth=2
	global_load_dwordx2 v[6:7], v38, s[74:75]
	global_load_dword v8, v38, s[76:77]
	s_mov_b64 s[70:71], s[76:77]
	s_mov_b64 s[72:73], s[78:79]
	s_mov_b64 s[80:81], -1
                                        ; implicit-def: $sgpr78_sgpr79
                                        ; implicit-def: $sgpr76_sgpr77
	s_waitcnt vmcnt(1)
	v_mul_f32_e64 v9, |v7|, s55
	v_cmp_lt_f32_e64 vcc, |v7|, s54
	v_mul_f32_e64 v10, |v6|, s55
	v_cndmask_b32_e64 v7, |v7|, v9, vcc
	v_cmp_lt_f32_e64 s[4:5], |v6|, s54
	v_sqrt_f32_e32 v9, v7
	v_cndmask_b32_e64 v6, |v6|, v10, s[4:5]
	v_sqrt_f32_e32 v10, v6
	v_add_u32_e32 v11, -1, v9
	v_fma_f32 v19, -v11, v9, v7
	v_add_u32_e32 v17, -1, v10
	v_add_u32_e32 v16, 1, v9
	v_fma_f32 v21, -v17, v10, v6
	v_cmp_ge_f32_e64 s[6:7], 0, v19
	v_add_u32_e32 v18, 1, v10
	v_fma_f32 v20, -v16, v9, v7
	v_cndmask_b32_e64 v9, v9, v11, s[6:7]
	v_cmp_ge_f32_e64 s[6:7], 0, v21
	v_fma_f32 v22, -v18, v10, v6
	v_cndmask_b32_e64 v10, v10, v17, s[6:7]
	v_cmp_lt_f32_e64 s[6:7], 0, v20
	v_cndmask_b32_e64 v9, v9, v16, s[6:7]
	v_cmp_lt_f32_e64 s[6:7], 0, v22
	v_cndmask_b32_e64 v10, v10, v18, s[6:7]
	v_mul_f32_e32 v11, 0x37800000, v9
	v_mul_f32_e32 v16, 0x37800000, v10
	v_cndmask_b32_e32 v9, v9, v11, vcc
	v_cmp_class_f32_e32 vcc, v7, v41
	v_cndmask_b32_e64 v10, v10, v16, s[4:5]
	v_cndmask_b32_e32 v7, v9, v7, vcc
	v_cmp_class_f32_e32 vcc, v6, v41
	v_cndmask_b32_e32 v6, v10, v6, vcc
	v_mul_f32_e32 v6, v6, v7
	v_mul_f32_e32 v6, s29, v6
	s_waitcnt vmcnt(0)
	v_cmp_nle_f32_e64 s[4:5], |v8|, v6
	s_and_b64 vcc, exec, s[4:5]
	s_mov_b64 s[4:5], -1
	s_cbranch_vccz .LBB145_14
; %bb.16:                               ;   in Loop: Header=BB145_15 Depth=2
	s_add_u32 s78, s72, 1
	s_addc_u32 s79, s73, 0
	s_add_u32 s76, s70, 4
	s_addc_u32 s77, s71, 0
	s_add_u32 s74, s74, 4
	s_addc_u32 s75, s75, 0
	s_cmp_ge_i32 s78, s40
	s_mov_b64 s[80:81], 0
	s_cselect_b64 s[4:5], -1, 0
	s_branch .LBB145_14
.LBB145_17:                             ;   in Loop: Header=BB145_7 Depth=1
	s_mov_b32 s41, s8
	s_mov_b64 s[6:7], s[8:9]
	s_and_b64 vcc, exec, s[68:69]
	s_cbranch_vccnz .LBB145_21
	s_branch .LBB145_22
.LBB145_18:                             ;   in Loop: Header=BB145_7 Depth=1
	s_xor_b64 s[6:7], s[80:81], -1
	s_mov_b64 s[4:5], -1
	s_and_b64 vcc, exec, s[6:7]
                                        ; implicit-def: $sgpr6_sgpr7
	s_cbranch_vccz .LBB145_20
; %bb.19:                               ;   in Loop: Header=BB145_7 Depth=1
	s_ashr_i32 s41, s40, 31
	s_mov_b64 s[68:69], -1
	s_mov_b64 s[4:5], 0
	s_mov_b64 s[6:7], s[40:41]
.LBB145_20:                             ;   in Loop: Header=BB145_7 Depth=1
	v_pk_mov_b32 v[6:7], s[72:73], s[72:73] op_sel:[0,1]
	v_pk_mov_b32 v[8:9], s[70:71], s[70:71] op_sel:[0,1]
	;; [unrolled: 1-line block ×3, first 2 shown]
	s_mov_b32 s41, s40
	s_and_b64 vcc, exec, s[68:69]
	s_cbranch_vccz .LBB145_22
.LBB145_21:                             ;   in Loop: Header=BB145_7 Depth=1
	v_mov_b32_e32 v16, s41
	ds_write_b32 v38, v16 offset:4
.LBB145_22:                             ;   in Loop: Header=BB145_7 Depth=1
	s_andn2_b64 vcc, exec, s[4:5]
	v_pk_mov_b32 v[16:17], s[8:9], s[8:9] op_sel:[0,1]
	v_pk_mov_b32 v[18:19], s[6:7], s[6:7] op_sel:[0,1]
	v_mov_b32_e32 v20, s41
	s_cbranch_vccnz .LBB145_24
; %bb.23:                               ;   in Loop: Header=BB145_7 Depth=1
	v_pk_mov_b32 v[16:17], v[10:11], v[10:11] op_sel:[0,1]
	v_pk_mov_b32 v[18:19], v[6:7], v[6:7] op_sel:[0,1]
	v_mov_b32_e32 v20, v6
	ds_write_b32 v38, v6 offset:4
	global_store_dword v[8:9], v38, off
.LBB145_24:                             ;   in Loop: Header=BB145_7 Depth=1
	v_lshlrev_b64 v[18:19], 2, v[18:19]
	v_mov_b32_e32 v21, s23
	v_add_co_u32_e32 v22, vcc, s22, v18
	v_addc_co_u32_e32 v23, vcc, v21, v19, vcc
	v_lshlrev_b64 v[18:19], 2, v[16:17]
	v_mov_b32_e32 v16, s23
	v_add_co_u32_e32 v24, vcc, s22, v18
	v_addc_co_u32_e32 v25, vcc, v16, v19, vcc
	global_load_dword v16, v[22:23], off
	global_load_dword v17, v[24:25], off
	v_mov_b32_e32 v21, s8
	ds_write2_b32 v38, v21, v20 offset1:5
	ds_write_b32 v38, v20 offset:32
	v_add_u32_e32 v21, 1, v20
	v_mov_b32_e32 v22, s8
	ds_write2_b32 v38, v21, v22 offset0:3 offset1:4
	s_waitcnt vmcnt(0)
	v_cmp_lt_f32_e64 s[6:7], |v16|, |v17|
	s_and_saveexec_b64 s[4:5], s[6:7]
	s_cbranch_execz .LBB145_26
; %bb.25:                               ;   in Loop: Header=BB145_7 Depth=1
	v_mov_b32_e32 v17, s8
	ds_write2_b32 v38, v20, v17 offset1:5
.LBB145_26:                             ;   in Loop: Header=BB145_7 Depth=1
	s_or_b64 exec, exec, s[4:5]
	v_and_b32_e32 v21, 0x7fffffff, v16
	v_cmp_lt_i32_e32 vcc, s8, v20
	s_and_saveexec_b64 s[4:5], vcc
	s_cbranch_execz .LBB145_30
; %bb.27:                               ;   in Loop: Header=BB145_7 Depth=1
	v_mov_b32_e32 v17, s95
	v_add_co_u32_e32 v16, vcc, s94, v18
	v_addc_co_u32_e32 v17, vcc, v17, v19, vcc
	v_mov_b32_e32 v22, s33
	v_add_co_u32_e32 v18, vcc, s14, v18
	v_addc_co_u32_e32 v19, vcc, v22, v19, vcc
	s_mov_b64 s[6:7], 0
.LBB145_28:                             ;   Parent Loop BB145_7 Depth=1
                                        ; =>  This Inner Loop Header: Depth=2
	global_load_dword v22, v[16:17], off
	global_load_dword v23, v[18:19], off
	v_add_co_u32_e32 v16, vcc, 4, v16
	v_addc_co_u32_e32 v17, vcc, 0, v17, vcc
	v_add_co_u32_e32 v18, vcc, 4, v18
	s_add_i32 s8, s8, 1
	v_addc_co_u32_e32 v19, vcc, 0, v19, vcc
	v_cmp_ge_i32_e32 vcc, s8, v20
	s_or_b64 s[6:7], vcc, s[6:7]
	s_waitcnt vmcnt(0)
	v_max3_f32 v21, v21, |v22|, |v23|
	s_andn2_b64 exec, exec, s[6:7]
	s_cbranch_execnz .LBB145_28
; %bb.29:                               ;   in Loop: Header=BB145_7 Depth=1
	s_or_b64 exec, exec, s[6:7]
.LBB145_30:                             ;   in Loop: Header=BB145_7 Depth=1
	s_or_b64 exec, exec, s[4:5]
	ds_write_b32 v38, v21 offset:24
.LBB145_31:                             ;   in Loop: Header=BB145_7 Depth=1
	s_or_b64 exec, exec, s[66:67]
	s_waitcnt lgkmcnt(0)
	s_barrier
	ds_read2_b32 v[16:17], v38 offset0:5 offset1:6
	ds_read_b32 v18, v38
	s_waitcnt lgkmcnt(1)
	v_readfirstlane_b32 s4, v16
	s_waitcnt lgkmcnt(0)
	v_readfirstlane_b32 s5, v18
	v_readfirstlane_b32 s8, v17
	s_cmp_eq_u32 s4, s5
	s_cselect_b64 s[4:5], -1, 0
	v_cmp_eq_f32_e64 s[6:7], s8, 0
	s_or_b64 s[4:5], s[4:5], s[6:7]
	s_and_b64 vcc, exec, s[4:5]
	s_cbranch_vccnz .LBB145_129
; %bb.32:                               ;   in Loop: Header=BB145_7 Depth=1
	v_mov_b32_e32 v16, s31
	v_cmp_ngt_f32_e32 vcc, s8, v16
	s_mov_b64 s[4:5], -1
	s_cbranch_vccz .LBB145_41
; %bb.33:                               ;   in Loop: Header=BB145_7 Depth=1
	v_mov_b32_e32 v16, s30
	v_cmp_nlt_f32_e32 vcc, s8, v16
	s_cbranch_vccnz .LBB145_40
; %bb.34:                               ;   in Loop: Header=BB145_7 Depth=1
	v_mov_b32_e32 v18, s8
	v_div_scale_f32 v19, s[4:5], s30, s30, v18
	v_rcp_f32_e32 v20, v19
	v_mov_b32_e32 v21, s30
	v_div_scale_f32 v21, vcc, s8, v21, s8
	v_fma_f32 v22, -v19, v20, 1.0
	v_fmac_f32_e32 v20, v22, v20
	v_mul_f32_e32 v22, v21, v20
	ds_read2_b32 v[16:17], v38 offset0:4 offset1:8
	v_fma_f32 v23, -v19, v22, v21
	v_fmac_f32_e32 v22, v23, v20
	v_fma_f32 v19, -v19, v22, v21
	v_div_fmas_f32 v19, v19, v20, v22
	v_div_fixup_f32 v22, v19, s30, v18
	s_and_saveexec_b64 s[4:5], s[0:1]
	s_cbranch_execz .LBB145_36
; %bb.35:                               ;   in Loop: Header=BB145_7 Depth=1
	s_waitcnt lgkmcnt(0)
	v_ashrrev_i32_e32 v19, 31, v17
	v_mov_b32_e32 v18, v17
	v_lshlrev_b64 v[18:19], 2, v[18:19]
	v_mov_b32_e32 v20, s23
	v_add_co_u32_e32 v18, vcc, s22, v18
	v_addc_co_u32_e32 v19, vcc, v20, v19, vcc
	global_load_dword v20, v[18:19], off
	s_waitcnt vmcnt(0)
	v_mul_f32_e32 v20, v22, v20
	global_store_dword v[18:19], v20, off
.LBB145_36:                             ;   in Loop: Header=BB145_7 Depth=1
	s_or_b64 exec, exec, s[4:5]
	s_waitcnt lgkmcnt(0)
	v_add_u32_e32 v18, v16, v0
	v_cmp_lt_i32_e32 vcc, v18, v17
	s_and_saveexec_b64 s[4:5], vcc
	s_cbranch_execz .LBB145_39
; %bb.37:                               ;   in Loop: Header=BB145_7 Depth=1
	v_ashrrev_i32_e32 v19, 31, v18
	v_lshlrev_b64 v[20:21], 2, v[18:19]
	s_mov_b64 s[6:7], 0
.LBB145_38:                             ;   Parent Loop BB145_7 Depth=1
                                        ; =>  This Inner Loop Header: Depth=2
	v_mov_b32_e32 v16, s23
	v_add_co_u32_e32 v24, vcc, s22, v20
	v_addc_co_u32_e32 v25, vcc, v16, v21, vcc
	global_load_dword v16, v[24:25], off
	v_mov_b32_e32 v19, s33
	v_add_co_u32_e32 v26, vcc, s14, v20
	v_addc_co_u32_e32 v27, vcc, v19, v21, vcc
	v_mov_b32_e32 v19, s51
	v_add_co_u32_e32 v20, vcc, s50, v20
	v_add_u32_e32 v18, s34, v18
	v_addc_co_u32_e32 v21, vcc, v21, v19, vcc
	v_cmp_ge_i32_e32 vcc, v18, v17
	s_or_b64 s[6:7], vcc, s[6:7]
	s_waitcnt vmcnt(0)
	v_mul_f32_e32 v16, v22, v16
	global_store_dword v[24:25], v16, off
	global_load_dword v16, v[26:27], off
	s_waitcnt vmcnt(0)
	v_mul_f32_e32 v16, v22, v16
	global_store_dword v[26:27], v16, off
	s_andn2_b64 exec, exec, s[6:7]
	s_cbranch_execnz .LBB145_38
.LBB145_39:                             ;   in Loop: Header=BB145_7 Depth=1
	s_or_b64 exec, exec, s[4:5]
.LBB145_40:                             ;   in Loop: Header=BB145_7 Depth=1
	s_mov_b64 s[4:5], 0
.LBB145_41:                             ;   in Loop: Header=BB145_7 Depth=1
	s_andn2_b64 vcc, exec, s[4:5]
	s_cbranch_vccnz .LBB145_48
; %bb.42:                               ;   in Loop: Header=BB145_7 Depth=1
	v_mov_b32_e32 v18, s8
	v_div_scale_f32 v19, s[4:5], s31, s31, v18
	v_rcp_f32_e32 v20, v19
	v_mov_b32_e32 v21, s31
	v_div_scale_f32 v21, vcc, s8, v21, s8
	v_fma_f32 v22, -v19, v20, 1.0
	v_fmac_f32_e32 v20, v22, v20
	v_mul_f32_e32 v22, v21, v20
	ds_read2_b32 v[16:17], v38 offset0:4 offset1:8
	v_fma_f32 v23, -v19, v22, v21
	v_fmac_f32_e32 v22, v23, v20
	v_fma_f32 v19, -v19, v22, v21
	v_div_fmas_f32 v19, v19, v20, v22
	v_div_fixup_f32 v22, v19, s31, v18
	s_and_saveexec_b64 s[4:5], s[0:1]
	s_cbranch_execz .LBB145_44
; %bb.43:                               ;   in Loop: Header=BB145_7 Depth=1
	s_waitcnt lgkmcnt(0)
	v_ashrrev_i32_e32 v19, 31, v17
	v_mov_b32_e32 v18, v17
	v_lshlrev_b64 v[18:19], 2, v[18:19]
	v_mov_b32_e32 v20, s23
	v_add_co_u32_e32 v18, vcc, s22, v18
	v_addc_co_u32_e32 v19, vcc, v20, v19, vcc
	global_load_dword v20, v[18:19], off
	s_waitcnt vmcnt(0)
	v_mul_f32_e32 v20, v22, v20
	global_store_dword v[18:19], v20, off
.LBB145_44:                             ;   in Loop: Header=BB145_7 Depth=1
	s_or_b64 exec, exec, s[4:5]
	s_waitcnt lgkmcnt(0)
	v_add_u32_e32 v18, v16, v0
	v_cmp_lt_i32_e32 vcc, v18, v17
	s_and_saveexec_b64 s[4:5], vcc
	s_cbranch_execz .LBB145_47
; %bb.45:                               ;   in Loop: Header=BB145_7 Depth=1
	v_ashrrev_i32_e32 v19, 31, v18
	v_lshlrev_b64 v[20:21], 2, v[18:19]
	s_mov_b64 s[6:7], 0
.LBB145_46:                             ;   Parent Loop BB145_7 Depth=1
                                        ; =>  This Inner Loop Header: Depth=2
	v_mov_b32_e32 v16, s23
	v_add_co_u32_e32 v24, vcc, s22, v20
	v_addc_co_u32_e32 v25, vcc, v16, v21, vcc
	global_load_dword v16, v[24:25], off
	v_mov_b32_e32 v19, s33
	v_add_co_u32_e32 v26, vcc, s14, v20
	v_addc_co_u32_e32 v27, vcc, v19, v21, vcc
	v_mov_b32_e32 v19, s51
	v_add_co_u32_e32 v20, vcc, s50, v20
	v_add_u32_e32 v18, s34, v18
	v_addc_co_u32_e32 v21, vcc, v21, v19, vcc
	v_cmp_ge_i32_e32 vcc, v18, v17
	s_or_b64 s[6:7], vcc, s[6:7]
	s_waitcnt vmcnt(0)
	v_mul_f32_e32 v16, v22, v16
	global_store_dword v[24:25], v16, off
	global_load_dword v16, v[26:27], off
	s_waitcnt vmcnt(0)
	v_mul_f32_e32 v16, v22, v16
	global_store_dword v[26:27], v16, off
	s_andn2_b64 exec, exec, s[6:7]
	s_cbranch_execnz .LBB145_46
.LBB145_47:                             ;   in Loop: Header=BB145_7 Depth=1
	s_or_b64 exec, exec, s[4:5]
.LBB145_48:                             ;   in Loop: Header=BB145_7 Depth=1
	s_barrier
	ds_read2_b32 v[16:17], v38 offset1:5
	ds_read_b32 v19, v38 offset:28
	s_waitcnt lgkmcnt(1)
	v_mov_b32_e32 v18, v17
	s_waitcnt lgkmcnt(0)
	v_cmp_gt_i32_e64 s[4:5], s28, v19
	v_cmp_lt_i32_e32 vcc, v17, v16
	v_cndmask_b32_e64 v17, 0, 1, s[4:5]
	v_cmp_ne_u32_e64 s[4:5], 1, v17
	s_cbranch_vccnz .LBB145_130
; %bb.49:                               ;   in Loop: Header=BB145_7 Depth=1
	s_and_b64 vcc, exec, s[4:5]
	v_pk_mov_b32 v[22:23], v[14:15], v[14:15] op_sel:[0,1]
	v_pk_mov_b32 v[20:21], v[12:13], v[12:13] op_sel:[0,1]
	v_mov_b32_e32 v44, v43
	v_mov_b32_e32 v33, v19
	;; [unrolled: 1-line block ×4, first 2 shown]
	s_cbranch_vccz .LBB145_53
.LBB145_50:                             ;   in Loop: Header=BB145_7 Depth=1
	s_cbranch_execz .LBB145_131
	s_branch .LBB145_133
.LBB145_51:                             ;   in Loop: Header=BB145_53 Depth=2
	s_or_b64 exec, exec, s[8:9]
	s_barrier
	ds_read_b32 v24, v38
.LBB145_52:                             ;   in Loop: Header=BB145_53 Depth=2
	ds_read2_b32 v[32:33], v38 offset0:5 offset1:7
	s_waitcnt lgkmcnt(0)
	v_cmp_le_i32_e32 vcc, v24, v32
	v_cmp_gt_i32_e64 s[6:7], s28, v33
	s_and_b64 s[6:7], vcc, s[6:7]
	s_andn2_b64 vcc, exec, s[6:7]
	s_cbranch_vccnz .LBB145_50
.LBB145_53:                             ;   Parent Loop BB145_7 Depth=1
                                        ; =>  This Loop Header: Depth=2
                                        ;       Child Loop BB145_61 Depth 3
                                        ;       Child Loop BB145_80 Depth 3
	;; [unrolled: 1-line block ×3, first 2 shown]
                                        ;         Child Loop BB145_127 Depth 4
	s_and_saveexec_b64 s[66:67], s[0:1]
	s_cbranch_execz .LBB145_122
; %bb.54:                               ;   in Loop: Header=BB145_53 Depth=2
	v_cmp_lt_i32_e32 vcc, v24, v32
	s_mov_b64 s[6:7], 0
	s_cbranch_vccnz .LBB145_58
; %bb.55:                               ;   in Loop: Header=BB145_53 Depth=2
	v_ashrrev_i32_e32 v25, 31, v24
	s_mov_b64 s[8:9], -1
	v_pk_mov_b32 v[26:27], v[24:25], v[24:25] op_sel:[0,1]
	v_mov_b32_e32 v28, v24
	s_cbranch_execz .LBB145_59
; %bb.56:                               ;   in Loop: Header=BB145_53 Depth=2
	s_and_b64 vcc, exec, s[8:9]
	s_cbranch_vccz .LBB145_64
.LBB145_57:                             ;   in Loop: Header=BB145_53 Depth=2
	ds_write2_b32 v38, v28, v24 offset0:1 offset1:4
	s_cbranch_execz .LBB145_65
	s_branch .LBB145_66
.LBB145_58:                             ;   in Loop: Header=BB145_53 Depth=2
                                        ; implicit-def: $vgpr26_vgpr27
	s_mov_b64 s[8:9], 0
	v_mov_b32_e32 v28, v24
.LBB145_59:                             ;   in Loop: Header=BB145_53 Depth=2
	v_ashrrev_i32_e32 v25, 31, v24
	v_lshlrev_b64 v[20:21], 2, v[24:25]
	v_mov_b32_e32 v17, s33
	v_add_co_u32_e32 v26, vcc, s14, v20
	v_addc_co_u32_e32 v27, vcc, v17, v21, vcc
	v_mov_b32_e32 v17, s95
	v_add_co_u32_e32 v22, vcc, s94, v20
	v_addc_co_u32_e32 v23, vcc, v17, v21, vcc
	v_mov_b32_e32 v17, v24
	s_branch .LBB145_61
.LBB145_60:                             ;   in Loop: Header=BB145_61 Depth=3
	v_add_co_u32_e32 v26, vcc, 4, v20
	v_addc_co_u32_e32 v27, vcc, 0, v21, vcc
	v_add_u32_e32 v17, 1, v44
	v_add_co_u32_e32 v22, vcc, 4, v22
	v_addc_co_u32_e32 v23, vcc, 0, v23, vcc
	s_mov_b64 s[6:7], 0
	v_cmp_ge_i32_e64 s[8:9], v17, v32
	s_andn2_b64 vcc, exec, s[8:9]
	s_cbranch_vccz .LBB145_63
.LBB145_61:                             ;   Parent Loop BB145_7 Depth=1
                                        ;     Parent Loop BB145_53 Depth=2
                                        ; =>    This Inner Loop Header: Depth=3
	v_pk_mov_b32 v[20:21], v[26:27], v[26:27] op_sel:[0,1]
	global_load_dwordx2 v[26:27], v[22:23], off
	global_load_dword v28, v[20:21], off
	v_mov_b32_e32 v44, v17
	s_waitcnt vmcnt(1)
	v_mul_f32_e32 v17, v26, v27
	s_waitcnt vmcnt(0)
	v_mul_f32_e32 v26, v28, v28
	v_mul_f32_e64 v17, v39, |v17|
	v_cmp_le_f32_e64 s[6:7], |v26|, v17
	s_and_b64 vcc, exec, s[6:7]
	s_cbranch_vccz .LBB145_60
; %bb.62:                               ;   in Loop: Header=BB145_53 Depth=2
	s_mov_b64 s[6:7], -1
                                        ; implicit-def: $vgpr17
                                        ; implicit-def: $vgpr26_vgpr27
                                        ; implicit-def: $vgpr22_vgpr23
.LBB145_63:                             ;   in Loop: Header=BB145_53 Depth=2
	s_xor_b64 s[8:9], s[6:7], -1
	s_mov_b64 s[6:7], -1
	v_pk_mov_b32 v[22:23], v[24:25], v[24:25] op_sel:[0,1]
	v_mov_b32_e32 v28, v32
	v_pk_mov_b32 v[26:27], v[24:25], v[24:25] op_sel:[0,1]
	s_and_b64 vcc, exec, s[8:9]
	s_cbranch_vccnz .LBB145_57
.LBB145_64:                             ;   in Loop: Header=BB145_53 Depth=2
                                        ; implicit-def: $vgpr28
                                        ; implicit-def: $vgpr26_vgpr27
	s_andn2_b64 vcc, exec, s[6:7]
	s_cbranch_vccnz .LBB145_66
.LBB145_65:                             ;   in Loop: Header=BB145_53 Depth=2
	v_pk_mov_b32 v[26:27], v[22:23], v[22:23] op_sel:[0,1]
	v_mov_b32_e32 v28, v44
	ds_write2_b32 v38, v44, v24 offset0:1 offset1:4
	global_store_dword v[20:21], v38, off
.LBB145_66:                             ;   in Loop: Header=BB145_53 Depth=2
	v_lshlrev_b64 v[30:31], 2, v[26:27]
	v_mov_b32_e32 v17, s23
	v_add_co_u32_e32 v26, vcc, s22, v30
	v_addc_co_u32_e32 v27, vcc, v17, v31, vcc
	global_load_dword v32, v[26:27], off
	v_cmp_ne_u32_e32 vcc, v28, v24
	v_add_u32_e32 v17, 1, v24
	s_waitcnt vmcnt(0)
	ds_write_b32 v38, v32 offset:8
	s_and_saveexec_b64 s[6:7], vcc
	s_xor_b64 s[68:69], exec, s[6:7]
	s_cbranch_execz .LBB145_119
; %bb.67:                               ;   in Loop: Header=BB145_53 Depth=2
	v_cmp_ne_u32_e32 vcc, v28, v17
	s_and_saveexec_b64 s[6:7], vcc
	s_xor_b64 s[70:71], exec, s[6:7]
	s_cbranch_execz .LBB145_95
; %bb.68:                               ;   in Loop: Header=BB145_53 Depth=2
	v_mov_b32_e32 v25, s33
	v_add_co_u32_e32 v30, vcc, s14, v30
	v_addc_co_u32_e32 v31, vcc, v25, v31, vcc
	global_load_dword v17, v[26:27], off offset:4
	global_load_dword v25, v[30:31], off
	v_ashrrev_i32_e32 v29, 31, v28
	v_lshlrev_b64 v[36:37], 2, v[28:29]
	v_mov_b32_e32 v35, s23
	v_add_co_u32_e32 v34, vcc, s22, v36
	v_addc_co_u32_e32 v35, vcc, v35, v37, vcc
	global_load_dword v45, v[34:35], off
	v_add_u32_e32 v33, 1, v33
	ds_write2_b32 v38, v38, v33 offset0:2 offset1:7
	s_waitcnt vmcnt(2)
	v_sub_f32_e32 v17, v17, v32
	s_waitcnt vmcnt(1)
	v_add_f32_e32 v29, v25, v25
	v_div_scale_f32 v46, s[6:7], v29, v29, v17
	v_rcp_f32_e32 v47, v46
	v_div_scale_f32 v48, vcc, v17, v29, v17
	v_cmp_gt_i32_e64 s[6:7], v28, v24
	v_fma_f32 v49, -v46, v47, 1.0
	v_fmac_f32_e32 v47, v49, v47
	v_mul_f32_e32 v49, v48, v47
	v_fma_f32 v50, -v46, v49, v48
	v_fmac_f32_e32 v49, v50, v47
	v_fma_f32 v46, -v46, v49, v48
	v_div_fmas_f32 v46, v46, v47, v49
	v_div_fixup_f32 v17, v46, v29, v17
	v_fma_f32 v29, v17, v17, 1.0
	v_mul_f32_e32 v46, 0x4f800000, v29
	v_cmp_gt_f32_e32 vcc, s54, v29
	v_cndmask_b32_e32 v29, v29, v46, vcc
	v_sqrt_f32_e32 v46, v29
	v_add_u32_e32 v33, -1, v46
	v_add_u32_e32 v47, 1, v46
	v_fma_f32 v48, -v33, v46, v29
	v_fma_f32 v49, -v47, v46, v29
	v_cmp_ge_f32_e64 s[8:9], 0, v48
	v_cndmask_b32_e64 v33, v46, v33, s[8:9]
	v_cmp_lt_f32_e64 s[8:9], 0, v49
	v_cndmask_b32_e64 v33, v33, v47, s[8:9]
	v_mul_f32_e32 v46, 0x37800000, v33
	v_cndmask_b32_e32 v33, v33, v46, vcc
	v_cmp_class_f32_e32 vcc, v29, v41
	v_cndmask_b32_e32 v29, v33, v29, vcc
	v_cmp_nle_f32_e32 vcc, 0, v17
	v_cndmask_b32_e64 v29, |v29|, -|v29|, vcc
	v_add_f32_e32 v17, v17, v29
	v_div_scale_f32 v29, s[8:9], v17, v17, v25
	v_rcp_f32_e32 v33, v29
	v_div_scale_f32 v47, vcc, v25, v17, v25
	s_waitcnt vmcnt(0)
	v_sub_f32_e32 v46, v45, v32
	v_fma_f32 v48, -v29, v33, 1.0
	v_fmac_f32_e32 v33, v48, v33
	v_mul_f32_e32 v48, v47, v33
	v_fma_f32 v49, -v29, v48, v47
	v_fmac_f32_e32 v48, v49, v33
	v_fma_f32 v29, -v29, v48, v47
	v_div_fmas_f32 v29, v29, v33, v48
	v_div_fixup_f32 v17, v29, v17, v25
	v_add_f32_e32 v17, v46, v17
	v_mov_b32_e32 v25, 0
	s_and_saveexec_b64 s[8:9], s[6:7]
	s_cbranch_execz .LBB145_94
; %bb.69:                               ;   in Loop: Header=BB145_53 Depth=2
	v_mov_b32_e32 v25, s47
	v_add_co_u32_e32 v32, vcc, s46, v36
	v_addc_co_u32_e32 v33, vcc, v25, v37, vcc
	global_load_dword v33, v[32:33], off
	v_mov_b32_e32 v29, 1.0
	v_mov_b32_e32 v46, 0
	s_waitcnt vmcnt(0)
	v_cmp_neq_f32_e32 vcc, 0, v33
	s_and_saveexec_b64 s[72:73], vcc
	s_cbranch_execz .LBB145_77
; %bb.70:                               ;   in Loop: Header=BB145_53 Depth=2
	v_cmp_neq_f32_e32 vcc, 0, v17
	v_mov_b32_e32 v46, 1.0
	v_mov_b32_e32 v29, 0
	s_and_saveexec_b64 s[74:75], vcc
	s_cbranch_execz .LBB145_76
; %bb.71:                               ;   in Loop: Header=BB145_53 Depth=2
	v_cmp_ngt_f32_e64 s[6:7], |v33|, |v17|
                                        ; implicit-def: $vgpr46
                                        ; implicit-def: $vgpr29
	s_and_saveexec_b64 s[76:77], s[6:7]
	s_xor_b64 s[76:77], exec, s[76:77]
	s_cbranch_execz .LBB145_73
; %bb.72:                               ;   in Loop: Header=BB145_53 Depth=2
	v_div_scale_f32 v25, s[6:7], v17, v17, -v33
	v_rcp_f32_e32 v29, v25
	v_div_scale_f32 v32, vcc, -v33, v17, -v33
	v_fma_f32 v46, -v25, v29, 1.0
	v_fmac_f32_e32 v29, v46, v29
	v_mul_f32_e32 v46, v32, v29
	v_fma_f32 v47, -v25, v46, v32
	v_fmac_f32_e32 v46, v47, v29
	v_fma_f32 v25, -v25, v46, v32
	v_div_fmas_f32 v25, v25, v29, v46
	v_div_fixup_f32 v17, v25, v17, -v33
	v_fma_f32 v25, v17, v17, 1.0
	v_mul_f32_e32 v29, 0x4f800000, v25
	v_cmp_gt_f32_e32 vcc, s54, v25
	v_cndmask_b32_e32 v25, v25, v29, vcc
	v_sqrt_f32_e32 v29, v25
	v_add_u32_e32 v32, -1, v29
	v_fma_f32 v46, -v32, v29, v25
	v_cmp_ge_f32_e64 s[6:7], 0, v46
	v_add_u32_e32 v46, 1, v29
	v_cndmask_b32_e64 v32, v29, v32, s[6:7]
	v_fma_f32 v29, -v46, v29, v25
	v_cmp_lt_f32_e64 s[6:7], 0, v29
	v_cndmask_b32_e64 v29, v32, v46, s[6:7]
	v_mul_f32_e32 v32, 0x37800000, v29
	v_cndmask_b32_e32 v29, v29, v32, vcc
	v_cmp_class_f32_e32 vcc, v25, v41
	v_cndmask_b32_e32 v25, v29, v25, vcc
	v_div_scale_f32 v29, s[6:7], v25, v25, 1.0
	v_rcp_f32_e32 v32, v29
	v_fma_f32 v46, -v29, v32, 1.0
	v_fmac_f32_e32 v32, v46, v32
	v_div_scale_f32 v46, vcc, 1.0, v25, 1.0
	v_mul_f32_e32 v47, v46, v32
	v_fma_f32 v48, -v29, v47, v46
	v_fmac_f32_e32 v47, v48, v32
	v_fma_f32 v29, -v29, v47, v46
	v_div_fmas_f32 v29, v29, v32, v47
	v_div_fixup_f32 v29, v29, v25, 1.0
	v_mul_f32_e32 v46, v17, v29
                                        ; implicit-def: $vgpr17
.LBB145_73:                             ;   in Loop: Header=BB145_53 Depth=2
	s_andn2_saveexec_b64 s[76:77], s[76:77]
	s_cbranch_execz .LBB145_75
; %bb.74:                               ;   in Loop: Header=BB145_53 Depth=2
	v_div_scale_f32 v25, s[6:7], v33, v33, -v17
	v_rcp_f32_e32 v29, v25
	v_div_scale_f32 v32, vcc, -v17, v33, -v17
	v_fma_f32 v46, -v25, v29, 1.0
	v_fmac_f32_e32 v29, v46, v29
	v_mul_f32_e32 v46, v32, v29
	v_fma_f32 v47, -v25, v46, v32
	v_fmac_f32_e32 v46, v47, v29
	v_fma_f32 v25, -v25, v46, v32
	v_div_fmas_f32 v25, v25, v29, v46
	v_div_fixup_f32 v17, v25, v33, -v17
	v_fma_f32 v25, v17, v17, 1.0
	v_mul_f32_e32 v29, 0x4f800000, v25
	v_cmp_gt_f32_e32 vcc, s54, v25
	v_cndmask_b32_e32 v25, v25, v29, vcc
	v_sqrt_f32_e32 v29, v25
	v_add_u32_e32 v32, -1, v29
	v_fma_f32 v46, -v32, v29, v25
	v_cmp_ge_f32_e64 s[6:7], 0, v46
	v_add_u32_e32 v46, 1, v29
	v_cndmask_b32_e64 v32, v29, v32, s[6:7]
	v_fma_f32 v29, -v46, v29, v25
	v_cmp_lt_f32_e64 s[6:7], 0, v29
	v_cndmask_b32_e64 v29, v32, v46, s[6:7]
	v_mul_f32_e32 v32, 0x37800000, v29
	v_cndmask_b32_e32 v29, v29, v32, vcc
	v_cmp_class_f32_e32 vcc, v25, v41
	v_cndmask_b32_e32 v25, v29, v25, vcc
	v_div_scale_f32 v29, s[6:7], v25, v25, 1.0
	v_rcp_f32_e32 v32, v29
	v_fma_f32 v46, -v29, v32, 1.0
	v_fmac_f32_e32 v32, v46, v32
	v_div_scale_f32 v46, vcc, 1.0, v25, 1.0
	v_mul_f32_e32 v47, v46, v32
	v_fma_f32 v48, -v29, v47, v46
	v_fmac_f32_e32 v47, v48, v32
	v_fma_f32 v29, -v29, v47, v46
	v_div_fmas_f32 v29, v29, v32, v47
	v_div_fixup_f32 v46, v29, v25, 1.0
	v_mul_f32_e32 v29, v17, v46
.LBB145_75:                             ;   in Loop: Header=BB145_53 Depth=2
	s_or_b64 exec, exec, s[76:77]
.LBB145_76:                             ;   in Loop: Header=BB145_53 Depth=2
	s_or_b64 exec, exec, s[74:75]
.LBB145_77:                             ;   in Loop: Header=BB145_53 Depth=2
	s_or_b64 exec, exec, s[72:73]
	global_load_dword v17, v[34:35], off offset:-4
	v_mov_b32_e32 v47, s49
	v_add_co_u32_e32 v36, vcc, s48, v36
	v_addc_co_u32_e32 v37, vcc, v47, v37, vcc
	v_add_f32_e32 v25, v29, v29
	v_mov_b32_e32 v49, s53
	v_add_co_u32_e32 v48, vcc, s52, v36
	v_add_u32_e32 v32, -1, v28
	v_addc_co_u32_e32 v49, vcc, v37, v49, vcc
	v_cmp_gt_i32_e32 vcc, v32, v24
	s_waitcnt vmcnt(0)
	v_sub_f32_e32 v17, v17, v45
	v_mul_f32_e32 v17, v46, v17
	v_fma_f32 v17, v33, v25, -v17
	v_mul_f32_e64 v25, v17, -v46
	v_fma_f32 v45, v17, -v46, v45
	v_fma_f32 v17, v29, v17, -v33
	ds_write_b32 v38, v25 offset:8
	global_store_dword v[34:35], v45, off
	global_store_dword v[36:37], v29, off
	global_store_dword v[48:49], v46, off offset:-4
	s_and_saveexec_b64 s[72:73], vcc
	s_cbranch_execz .LBB145_93
; %bb.78:                               ;   in Loop: Header=BB145_53 Depth=2
	v_ashrrev_i32_e32 v33, 31, v32
	v_readlane_b32 s80, v62, 0
	v_xor_b32_e32 v45, 0x80000000, v46
	v_lshlrev_b64 v[32:33], 2, v[32:33]
	s_mov_b32 s41, -1
	s_mov_b64 s[74:75], 0
	s_mov_b64 s[76:77], s[46:47]
	;; [unrolled: 1-line block ×3, first 2 shown]
	v_readlane_b32 s81, v62, 1
	s_mov_b64 s[82:83], s[48:49]
	s_branch .LBB145_80
.LBB145_79:                             ;   in Loop: Header=BB145_80 Depth=3
	v_mov_b32_e32 v17, s79
	v_add_co_u32_e32 v34, vcc, s78, v32
	v_addc_co_u32_e32 v35, vcc, v17, v33, vcc
	global_load_dwordx2 v[48:49], v[34:35], off offset:-4
	v_mul_f32_e32 v17, v29, v36
	v_mov_b32_e32 v36, s83
	v_add_co_u32_e32 v50, vcc, s82, v32
	s_add_u32 s82, s82, -4
	v_addc_co_u32_e32 v51, vcc, v36, v33, vcc
	s_addc_u32 s83, s83, -1
	v_add_co_u32_e32 v52, vcc, s80, v32
	s_add_u32 s80, s80, -4
	v_mov_b32_e32 v47, s81
	s_addc_u32 s81, s81, -1
	s_add_i32 s41, s41, -1
	v_addc_co_u32_e32 v53, vcc, v47, v33, vcc
	v_add_u32_e32 v36, s41, v28
	s_add_u32 s78, s78, -4
	v_cmp_le_i32_e32 vcc, v36, v24
	s_addc_u32 s79, s79, -1
	v_add_f32_e32 v29, v37, v37
	s_add_u32 s76, s76, -4
	s_addc_u32 s77, s77, -1
	v_xor_b32_e32 v45, 0x80000000, v46
	s_or_b64 s[74:75], vcc, s[74:75]
	s_waitcnt vmcnt(0)
	v_sub_f32_e32 v36, v49, v25
	v_sub_f32_e32 v25, v48, v36
	v_mul_f32_e32 v25, v46, v25
	v_fma_f32 v29, v17, v29, -v25
	v_mul_f32_e64 v25, v29, -v46
	v_fma_f32 v36, v29, -v46, v36
	v_fma_f32 v17, v37, v29, -v17
	v_mov_b32_e32 v29, v37
	global_store_dword v[34:35], v36, off
	global_store_dword v[50:51], v37, off
	;; [unrolled: 1-line block ×3, first 2 shown]
	s_andn2_b64 exec, exec, s[74:75]
	s_cbranch_execz .LBB145_92
.LBB145_80:                             ;   Parent Loop BB145_7 Depth=1
                                        ;     Parent Loop BB145_53 Depth=2
                                        ; =>    This Inner Loop Header: Depth=3
	v_mov_b32_e32 v35, s77
	v_add_co_u32_e32 v34, vcc, s76, v32
	v_addc_co_u32_e32 v35, vcc, v35, v33, vcc
	global_load_dword v36, v[34:35], off
	v_mov_b32_e32 v37, 1.0
	v_mov_b32_e32 v46, 0
	s_waitcnt vmcnt(0)
	v_mul_f32_e32 v45, v45, v36
	v_cmp_neq_f32_e32 vcc, 0, v45
	s_and_saveexec_b64 s[84:85], vcc
	s_cbranch_execz .LBB145_90
; %bb.81:                               ;   in Loop: Header=BB145_80 Depth=3
	v_cmp_neq_f32_e32 vcc, 0, v17
                                        ; implicit-def: $vgpr46
                                        ; implicit-def: $vgpr37
	s_and_saveexec_b64 s[6:7], vcc
	s_xor_b64 s[86:87], exec, s[6:7]
	s_cbranch_execz .LBB145_87
; %bb.82:                               ;   in Loop: Header=BB145_80 Depth=3
	v_cmp_ngt_f32_e64 s[6:7], |v45|, |v17|
                                        ; implicit-def: $vgpr46
                                        ; implicit-def: $vgpr37
	s_and_saveexec_b64 s[88:89], s[6:7]
	s_xor_b64 s[88:89], exec, s[88:89]
	s_cbranch_execz .LBB145_84
; %bb.83:                               ;   in Loop: Header=BB145_80 Depth=3
	v_div_scale_f32 v37, s[6:7], v17, v17, -v45
	v_rcp_f32_e32 v46, v37
	v_div_scale_f32 v47, vcc, -v45, v17, -v45
	v_fma_f32 v48, -v37, v46, 1.0
	v_fmac_f32_e32 v46, v48, v46
	v_mul_f32_e32 v48, v47, v46
	v_fma_f32 v49, -v37, v48, v47
	v_fmac_f32_e32 v48, v49, v46
	v_fma_f32 v37, -v37, v48, v47
	v_div_fmas_f32 v37, v37, v46, v48
	v_div_fixup_f32 v46, v37, v17, -v45
	v_fma_f32 v37, v46, v46, 1.0
	v_mul_f32_e32 v47, 0x4f800000, v37
	v_cmp_gt_f32_e32 vcc, s54, v37
	v_cndmask_b32_e32 v37, v37, v47, vcc
	v_sqrt_f32_e32 v47, v37
	v_add_u32_e32 v48, -1, v47
	v_fma_f32 v49, -v48, v47, v37
	v_cmp_ge_f32_e64 s[6:7], 0, v49
	v_add_u32_e32 v49, 1, v47
	v_cndmask_b32_e64 v48, v47, v48, s[6:7]
	v_fma_f32 v47, -v49, v47, v37
	v_cmp_lt_f32_e64 s[6:7], 0, v47
	v_cndmask_b32_e64 v47, v48, v49, s[6:7]
	v_mul_f32_e32 v48, 0x37800000, v47
	v_cndmask_b32_e32 v47, v47, v48, vcc
	v_cmp_class_f32_e32 vcc, v37, v41
	v_cndmask_b32_e32 v37, v47, v37, vcc
	v_div_scale_f32 v47, s[6:7], v37, v37, 1.0
	v_rcp_f32_e32 v48, v47
	v_fma_f32 v49, -v47, v48, 1.0
	v_fmac_f32_e32 v48, v49, v48
	v_div_scale_f32 v49, vcc, 1.0, v37, 1.0
	v_mul_f32_e32 v50, v49, v48
	v_fma_f32 v51, -v47, v50, v49
	v_fmac_f32_e32 v50, v51, v48
	v_fma_f32 v47, -v47, v50, v49
	v_div_fmas_f32 v47, v47, v48, v50
	v_div_fixup_f32 v37, v47, v37, 1.0
	v_mul_f32_e32 v46, v46, v37
.LBB145_84:                             ;   in Loop: Header=BB145_80 Depth=3
	s_andn2_saveexec_b64 s[88:89], s[88:89]
	s_cbranch_execz .LBB145_86
; %bb.85:                               ;   in Loop: Header=BB145_80 Depth=3
	v_div_scale_f32 v37, s[6:7], v45, v45, -v17
	v_rcp_f32_e32 v46, v37
	v_div_scale_f32 v47, vcc, -v17, v45, -v17
	v_fma_f32 v48, -v37, v46, 1.0
	v_fmac_f32_e32 v46, v48, v46
	v_mul_f32_e32 v48, v47, v46
	v_fma_f32 v49, -v37, v48, v47
	v_fmac_f32_e32 v48, v49, v46
	v_fma_f32 v37, -v37, v48, v47
	v_div_fmas_f32 v37, v37, v46, v48
	v_div_fixup_f32 v37, v37, v45, -v17
	v_fma_f32 v46, v37, v37, 1.0
	v_mul_f32_e32 v47, 0x4f800000, v46
	v_cmp_gt_f32_e32 vcc, s54, v46
	v_cndmask_b32_e32 v46, v46, v47, vcc
	v_sqrt_f32_e32 v47, v46
	v_add_u32_e32 v48, -1, v47
	v_fma_f32 v49, -v48, v47, v46
	v_cmp_ge_f32_e64 s[6:7], 0, v49
	v_add_u32_e32 v49, 1, v47
	v_cndmask_b32_e64 v48, v47, v48, s[6:7]
	v_fma_f32 v47, -v49, v47, v46
	v_cmp_lt_f32_e64 s[6:7], 0, v47
	v_cndmask_b32_e64 v47, v48, v49, s[6:7]
	v_mul_f32_e32 v48, 0x37800000, v47
	v_cndmask_b32_e32 v47, v47, v48, vcc
	v_cmp_class_f32_e32 vcc, v46, v41
	v_cndmask_b32_e32 v46, v47, v46, vcc
	v_div_scale_f32 v47, s[6:7], v46, v46, 1.0
	v_rcp_f32_e32 v48, v47
	v_fma_f32 v49, -v47, v48, 1.0
	v_fmac_f32_e32 v48, v49, v48
	v_div_scale_f32 v49, vcc, 1.0, v46, 1.0
	v_mul_f32_e32 v50, v49, v48
	v_fma_f32 v51, -v47, v50, v49
	v_fmac_f32_e32 v50, v51, v48
	v_fma_f32 v47, -v47, v50, v49
	v_div_fmas_f32 v47, v47, v48, v50
	v_div_fixup_f32 v46, v47, v46, 1.0
	v_mul_f32_e32 v37, v37, v46
.LBB145_86:                             ;   in Loop: Header=BB145_80 Depth=3
	s_or_b64 exec, exec, s[88:89]
	v_mul_f32_e32 v45, v45, v46
	v_fma_f32 v17, v17, v37, -v45
                                        ; implicit-def: $vgpr45
.LBB145_87:                             ;   in Loop: Header=BB145_80 Depth=3
	s_andn2_saveexec_b64 s[6:7], s[86:87]
; %bb.88:                               ;   in Loop: Header=BB145_80 Depth=3
	v_xor_b32_e32 v17, 0x80000000, v45
	v_mov_b32_e32 v46, 1.0
	v_mov_b32_e32 v37, 0
; %bb.89:                               ;   in Loop: Header=BB145_80 Depth=3
	s_or_b64 exec, exec, s[6:7]
.LBB145_90:                             ;   in Loop: Header=BB145_80 Depth=3
	s_or_b64 exec, exec, s[84:85]
	s_cmp_eq_u32 s41, 0
	s_cbranch_scc1 .LBB145_79
; %bb.91:                               ;   in Loop: Header=BB145_80 Depth=3
	global_store_dword v[34:35], v17, off offset:4
	s_branch .LBB145_79
.LBB145_92:                             ;   in Loop: Header=BB145_53 Depth=2
	s_or_b64 exec, exec, s[74:75]
	s_mov_b32 s82, 0x667f3bcd
	s_mov_b32 s84, 0.5
	s_mov_b32 s83, 0x3ff6a09e
	s_mov_b32 s85, -0.5
	ds_write_b32 v38, v25 offset:8
.LBB145_93:                             ;   in Loop: Header=BB145_53 Depth=2
	s_or_b64 exec, exec, s[72:73]
	global_load_dword v32, v[26:27], off
.LBB145_94:                             ;   in Loop: Header=BB145_53 Depth=2
	s_or_b64 exec, exec, s[8:9]
	s_waitcnt vmcnt(0)
	v_sub_f32_e32 v24, v32, v25
	global_store_dword v[26:27], v24, off
	global_store_dword v[30:31], v17, off
                                        ; implicit-def: $vgpr30_vgpr31
                                        ; implicit-def: $vgpr26_vgpr27
                                        ; implicit-def: $vgpr24
                                        ; implicit-def: $vgpr32
.LBB145_95:                             ;   in Loop: Header=BB145_53 Depth=2
	s_andn2_saveexec_b64 s[70:71], s[70:71]
	s_cbranch_execz .LBB145_128
; %bb.96:                               ;   in Loop: Header=BB145_53 Depth=2
	v_mov_b32_e32 v17, s33
	v_add_co_u32_e32 v28, vcc, s14, v30
	v_addc_co_u32_e32 v29, vcc, v17, v31, vcc
	global_load_dword v33, v[26:27], off offset:4
	global_load_dword v35, v[28:29], off
                                        ; implicit-def: $vgpr34
	s_waitcnt vmcnt(1)
	v_sub_f32_e32 v25, v32, v33
	s_waitcnt vmcnt(0)
	v_add_f32_e32 v17, v35, v35
	v_and_b32_e32 v36, 0x7fffffff, v17
	v_cmp_ngt_f32_e64 s[6:7], |v25|, |v17|
	s_and_saveexec_b64 s[8:9], s[6:7]
	s_xor_b64 s[8:9], exec, s[8:9]
	s_cbranch_execz .LBB145_102
; %bb.97:                               ;   in Loop: Header=BB145_53 Depth=2
	v_cmp_nlt_f32_e64 s[6:7], |v25|, |v17|
                                        ; implicit-def: $vgpr34
	s_and_saveexec_b64 s[72:73], s[6:7]
	s_xor_b64 s[6:7], exec, s[72:73]
; %bb.98:                               ;   in Loop: Header=BB145_53 Depth=2
	v_cvt_f64_f32_e32 v[36:37], v36
	v_mul_f64 v[36:37], v[36:37], s[82:83]
	v_cvt_f32_f64_e32 v34, v[36:37]
                                        ; implicit-def: $vgpr36
; %bb.99:                               ;   in Loop: Header=BB145_53 Depth=2
	s_andn2_saveexec_b64 s[72:73], s[6:7]
	s_cbranch_execz .LBB145_101
; %bb.100:                              ;   in Loop: Header=BB145_53 Depth=2
	v_and_b32_e32 v34, 0x7fffffff, v25
	v_div_scale_f32 v37, s[6:7], v36, v36, v34
	v_rcp_f32_e32 v45, v37
	v_div_scale_f32 v34, vcc, v34, v36, v34
	v_fma_f32 v36, -v37, v45, 1.0
	v_fmac_f32_e32 v45, v36, v45
	v_mul_f32_e32 v36, v34, v45
	v_fma_f32 v46, -v37, v36, v34
	v_fmac_f32_e32 v36, v46, v45
	v_fma_f32 v34, -v37, v36, v34
	v_div_fmas_f32 v34, v34, v45, v36
	v_div_fixup_f32 v34, v34, |v17|, |v25|
	v_fma_f32 v34, v34, v34, 1.0
	v_mul_f32_e32 v36, 0x4f800000, v34
	v_cmp_gt_f32_e32 vcc, s54, v34
	v_cndmask_b32_e32 v34, v34, v36, vcc
	v_sqrt_f32_e32 v36, v34
	v_add_u32_e32 v37, -1, v36
	v_fma_f32 v45, -v37, v36, v34
	v_cmp_ge_f32_e64 s[6:7], 0, v45
	v_add_u32_e32 v45, 1, v36
	v_cndmask_b32_e64 v37, v36, v37, s[6:7]
	v_fma_f32 v36, -v45, v36, v34
	v_cmp_lt_f32_e64 s[6:7], 0, v36
	v_cndmask_b32_e64 v36, v37, v45, s[6:7]
	v_mul_f32_e32 v37, 0x37800000, v36
	v_cndmask_b32_e32 v36, v36, v37, vcc
	v_cmp_class_f32_e32 vcc, v34, v41
	v_cndmask_b32_e32 v34, v36, v34, vcc
	v_mul_f32_e64 v34, |v17|, v34
.LBB145_101:                            ;   in Loop: Header=BB145_53 Depth=2
	s_or_b64 exec, exec, s[72:73]
                                        ; implicit-def: $vgpr36
.LBB145_102:                            ;   in Loop: Header=BB145_53 Depth=2
	s_andn2_saveexec_b64 s[8:9], s[8:9]
	s_cbranch_execz .LBB145_104
; %bb.103:                              ;   in Loop: Header=BB145_53 Depth=2
	v_and_b32_e32 v34, 0x7fffffff, v25
	v_div_scale_f32 v37, s[6:7], v34, v34, v36
	v_rcp_f32_e32 v45, v37
	v_div_scale_f32 v34, vcc, v36, v34, v36
	v_fma_f32 v36, -v37, v45, 1.0
	v_fmac_f32_e32 v45, v36, v45
	v_mul_f32_e32 v36, v34, v45
	v_fma_f32 v46, -v37, v36, v34
	v_fmac_f32_e32 v36, v46, v45
	v_fma_f32 v34, -v37, v36, v34
	v_div_fmas_f32 v34, v34, v45, v36
	v_div_fixup_f32 v34, v34, |v25|, |v17|
	v_fma_f32 v34, v34, v34, 1.0
	v_mul_f32_e32 v36, 0x4f800000, v34
	v_cmp_gt_f32_e32 vcc, s54, v34
	v_cndmask_b32_e32 v34, v34, v36, vcc
	v_sqrt_f32_e32 v36, v34
	v_add_u32_e32 v37, -1, v36
	v_fma_f32 v45, -v37, v36, v34
	v_cmp_ge_f32_e64 s[6:7], 0, v45
	v_add_u32_e32 v45, 1, v36
	v_cndmask_b32_e64 v37, v36, v37, s[6:7]
	v_fma_f32 v36, -v45, v36, v34
	v_cmp_lt_f32_e64 s[6:7], 0, v36
	v_cndmask_b32_e64 v36, v37, v45, s[6:7]
	v_mul_f32_e32 v37, 0x37800000, v36
	v_cndmask_b32_e32 v36, v36, v37, vcc
	v_cmp_class_f32_e32 vcc, v34, v41
	v_cndmask_b32_e32 v34, v36, v34, vcc
	v_mul_f32_e64 v34, |v25|, v34
.LBB145_104:                            ;   in Loop: Header=BB145_53 Depth=2
	s_or_b64 exec, exec, s[8:9]
	v_add_f32_e32 v45, v32, v33
	v_cmp_gt_f32_e64 vcc, |v32|, |v33|
	v_cndmask_b32_e32 v37, v32, v33, vcc
	v_cndmask_b32_e32 v46, v33, v32, vcc
	v_cmp_ngt_f32_e32 vcc, 0, v45
                                        ; implicit-def: $vgpr36
                                        ; implicit-def: $vgpr32_vgpr33
	s_and_saveexec_b64 s[6:7], vcc
	s_xor_b64 s[6:7], exec, s[6:7]
	s_cbranch_execz .LBB145_110
; %bb.105:                              ;   in Loop: Header=BB145_53 Depth=2
	v_cmp_nlt_f32_e32 vcc, 0, v45
                                        ; implicit-def: $sgpr41
                                        ; implicit-def: $vgpr32_vgpr33
	s_and_saveexec_b64 s[8:9], vcc
	s_xor_b64 s[8:9], exec, s[8:9]
; %bb.106:                              ;   in Loop: Header=BB145_53 Depth=2
	v_pk_mul_f32 v[32:33], v[34:35], s[84:85] op_sel_hi:[0,1]
	s_mov_b32 s41, 1
                                        ; implicit-def: $vgpr45
                                        ; implicit-def: $vgpr46
                                        ; implicit-def: $vgpr37
                                        ; implicit-def: $vgpr35
; %bb.107:                              ;   in Loop: Header=BB145_53 Depth=2
	s_or_saveexec_b64 s[8:9], s[8:9]
	v_mov_b32_e32 v36, s41
	s_xor_b64 exec, exec, s[8:9]
	s_cbranch_execz .LBB145_109
; %bb.108:                              ;   in Loop: Header=BB145_53 Depth=2
	v_add_f32_e32 v32, v45, v34
	v_mul_f32_e32 v32, 0.5, v32
	v_cvt_f64_f32_e32 v[46:47], v46
	v_cvt_f64_f32_e32 v[48:49], v32
	v_div_scale_f64 v[50:51], s[72:73], v[48:49], v[48:49], v[46:47]
	v_rcp_f64_e32 v[52:53], v[50:51]
	v_cvt_f64_f32_e32 v[36:37], v37
	v_fma_f64 v[54:55], -v[50:51], v[52:53], 1.0
	v_fmac_f64_e32 v[52:53], v[52:53], v[54:55]
	v_fma_f64 v[54:55], -v[50:51], v[52:53], 1.0
	v_fmac_f64_e32 v[52:53], v[52:53], v[54:55]
	v_div_scale_f64 v[54:55], vcc, v[46:47], v[48:49], v[46:47]
	v_mul_f64 v[56:57], v[54:55], v[52:53]
	v_fma_f64 v[50:51], -v[50:51], v[56:57], v[54:55]
	v_cvt_f64_f32_e32 v[54:55], v35
	v_div_scale_f64 v[58:59], s[72:73], v[48:49], v[48:49], v[54:55]
	v_rcp_f64_e32 v[60:61], v[58:59]
	v_div_fmas_f64 v[50:51], v[50:51], v[52:53], v[56:57]
	v_div_fixup_f64 v[46:47], v[50:51], v[48:49], v[46:47]
	v_fma_f64 v[50:51], -v[58:59], v[60:61], 1.0
	v_fmac_f64_e32 v[60:61], v[60:61], v[50:51]
	v_fma_f64 v[50:51], -v[58:59], v[60:61], 1.0
	v_fmac_f64_e32 v[60:61], v[60:61], v[50:51]
	v_div_scale_f64 v[50:51], vcc, v[54:55], v[48:49], v[54:55]
	v_mul_f64 v[52:53], v[50:51], v[60:61]
	v_fma_f64 v[50:51], -v[58:59], v[52:53], v[50:51]
	s_nop 1
	v_div_fmas_f64 v[50:51], v[50:51], v[60:61], v[52:53]
	v_div_fixup_f64 v[48:49], v[50:51], v[48:49], v[54:55]
	v_mul_f64 v[48:49], v[48:49], v[54:55]
	v_fma_f64 v[36:37], v[46:47], v[36:37], -v[48:49]
	v_cvt_f32_f64_e32 v33, v[36:37]
	v_mov_b32_e32 v36, 1
.LBB145_109:                            ;   in Loop: Header=BB145_53 Depth=2
	s_or_b64 exec, exec, s[8:9]
                                        ; implicit-def: $vgpr45
                                        ; implicit-def: $vgpr46
                                        ; implicit-def: $vgpr37
                                        ; implicit-def: $vgpr35
.LBB145_110:                            ;   in Loop: Header=BB145_53 Depth=2
	s_andn2_saveexec_b64 s[6:7], s[6:7]
	s_cbranch_execz .LBB145_112
; %bb.111:                              ;   in Loop: Header=BB145_53 Depth=2
	v_sub_f32_e32 v32, v45, v34
	v_mul_f32_e32 v32, 0.5, v32
	v_cvt_f64_f32_e32 v[46:47], v46
	v_cvt_f64_f32_e32 v[48:49], v32
	v_div_scale_f64 v[50:51], s[8:9], v[48:49], v[48:49], v[46:47]
	v_rcp_f64_e32 v[52:53], v[50:51]
	v_cvt_f64_f32_e32 v[36:37], v37
	v_fma_f64 v[54:55], -v[50:51], v[52:53], 1.0
	v_fmac_f64_e32 v[52:53], v[52:53], v[54:55]
	v_fma_f64 v[54:55], -v[50:51], v[52:53], 1.0
	v_fmac_f64_e32 v[52:53], v[52:53], v[54:55]
	v_div_scale_f64 v[54:55], vcc, v[46:47], v[48:49], v[46:47]
	v_mul_f64 v[56:57], v[54:55], v[52:53]
	v_fma_f64 v[50:51], -v[50:51], v[56:57], v[54:55]
	v_cvt_f64_f32_e32 v[54:55], v35
	v_div_scale_f64 v[58:59], s[8:9], v[48:49], v[48:49], v[54:55]
	v_rcp_f64_e32 v[60:61], v[58:59]
	v_div_fmas_f64 v[50:51], v[50:51], v[52:53], v[56:57]
	v_div_fixup_f64 v[46:47], v[50:51], v[48:49], v[46:47]
	v_fma_f64 v[50:51], -v[58:59], v[60:61], 1.0
	v_fmac_f64_e32 v[60:61], v[60:61], v[50:51]
	v_fma_f64 v[50:51], -v[58:59], v[60:61], 1.0
	v_fmac_f64_e32 v[60:61], v[60:61], v[50:51]
	v_div_scale_f64 v[50:51], vcc, v[54:55], v[48:49], v[54:55]
	v_mul_f64 v[52:53], v[50:51], v[60:61]
	v_fma_f64 v[50:51], -v[58:59], v[52:53], v[50:51]
	s_nop 1
	v_div_fmas_f64 v[50:51], v[50:51], v[60:61], v[52:53]
	v_div_fixup_f64 v[48:49], v[50:51], v[48:49], v[54:55]
	v_mul_f64 v[48:49], v[48:49], v[54:55]
	v_fma_f64 v[36:37], v[46:47], v[36:37], -v[48:49]
	v_cvt_f32_f64_e32 v33, v[36:37]
	v_mov_b32_e32 v36, -1
.LBB145_112:                            ;   in Loop: Header=BB145_53 Depth=2
	s_or_b64 exec, exec, s[6:7]
	v_cmp_nle_f32_e64 s[6:7], 0, v25
	v_cndmask_b32_e64 v34, v34, -v34, s[6:7]
	v_add_f32_e32 v25, v25, v34
	v_cmp_ngt_f32_e64 s[8:9], |v25|, |v17|
                                        ; implicit-def: $vgpr34
                                        ; implicit-def: $vgpr35
	s_and_saveexec_b64 s[72:73], s[8:9]
	s_xor_b64 s[72:73], exec, s[72:73]
	s_cbranch_execz .LBB145_116
; %bb.113:                              ;   in Loop: Header=BB145_53 Depth=2
	v_cmp_neq_f32_e32 vcc, 0, v17
	v_mov_b32_e32 v34, 1.0
	v_mov_b32_e32 v35, 0
	s_and_saveexec_b64 s[74:75], vcc
	s_cbranch_execz .LBB145_115
; %bb.114:                              ;   in Loop: Header=BB145_53 Depth=2
	v_div_scale_f32 v34, s[8:9], v17, v17, -v25
	v_rcp_f32_e32 v35, v34
	v_div_scale_f32 v37, vcc, -v25, v17, -v25
	v_fma_f32 v45, -v34, v35, 1.0
	v_fmac_f32_e32 v35, v45, v35
	v_mul_f32_e32 v45, v37, v35
	v_fma_f32 v46, -v34, v45, v37
	v_fmac_f32_e32 v45, v46, v35
	v_fma_f32 v34, -v34, v45, v37
	v_div_fmas_f32 v34, v34, v35, v45
	v_div_fixup_f32 v17, v34, v17, -v25
	v_fma_f32 v25, v17, v17, 1.0
	v_mul_f32_e32 v34, 0x4f800000, v25
	v_cmp_gt_f32_e32 vcc, s54, v25
	v_cndmask_b32_e32 v25, v25, v34, vcc
	v_sqrt_f32_e32 v34, v25
	v_add_u32_e32 v35, -1, v34
	v_fma_f32 v37, -v35, v34, v25
	v_cmp_ge_f32_e64 s[8:9], 0, v37
	v_add_u32_e32 v37, 1, v34
	v_cndmask_b32_e64 v35, v34, v35, s[8:9]
	v_fma_f32 v34, -v37, v34, v25
	v_cmp_lt_f32_e64 s[8:9], 0, v34
	v_cndmask_b32_e64 v34, v35, v37, s[8:9]
	v_mul_f32_e32 v35, 0x37800000, v34
	v_cndmask_b32_e32 v34, v34, v35, vcc
	v_cmp_class_f32_e32 vcc, v25, v41
	v_cndmask_b32_e32 v25, v34, v25, vcc
	v_div_scale_f32 v34, s[8:9], v25, v25, 1.0
	v_rcp_f32_e32 v35, v34
	v_fma_f32 v37, -v34, v35, 1.0
	v_fmac_f32_e32 v35, v37, v35
	v_div_scale_f32 v37, vcc, 1.0, v25, 1.0
	v_mul_f32_e32 v45, v37, v35
	v_fma_f32 v46, -v34, v45, v37
	v_fmac_f32_e32 v45, v46, v35
	v_fma_f32 v34, -v34, v45, v37
	v_div_fmas_f32 v34, v34, v35, v45
	v_div_fixup_f32 v34, v34, v25, 1.0
	v_mul_f32_e32 v35, v17, v34
.LBB145_115:                            ;   in Loop: Header=BB145_53 Depth=2
	s_or_b64 exec, exec, s[74:75]
                                        ; implicit-def: $vgpr25
                                        ; implicit-def: $vgpr17
.LBB145_116:                            ;   in Loop: Header=BB145_53 Depth=2
	s_andn2_saveexec_b64 s[72:73], s[72:73]
	s_cbranch_execz .LBB145_118
; %bb.117:                              ;   in Loop: Header=BB145_53 Depth=2
	v_div_scale_f32 v34, s[8:9], v25, v25, -v17
	v_rcp_f32_e32 v35, v34
	v_div_scale_f32 v37, vcc, -v17, v25, -v17
	v_fma_f32 v45, -v34, v35, 1.0
	v_fmac_f32_e32 v35, v45, v35
	v_mul_f32_e32 v45, v37, v35
	v_fma_f32 v46, -v34, v45, v37
	v_fmac_f32_e32 v45, v46, v35
	v_fma_f32 v34, -v34, v45, v37
	v_div_fmas_f32 v34, v34, v35, v45
	v_div_fixup_f32 v17, v34, v25, -v17
	v_fma_f32 v25, v17, v17, 1.0
	v_mul_f32_e32 v34, 0x4f800000, v25
	v_cmp_gt_f32_e32 vcc, s54, v25
	v_cndmask_b32_e32 v25, v25, v34, vcc
	v_sqrt_f32_e32 v34, v25
	v_add_u32_e32 v35, -1, v34
	v_fma_f32 v37, -v35, v34, v25
	v_cmp_ge_f32_e64 s[8:9], 0, v37
	v_add_u32_e32 v37, 1, v34
	v_cndmask_b32_e64 v35, v34, v35, s[8:9]
	v_fma_f32 v34, -v37, v34, v25
	v_cmp_lt_f32_e64 s[8:9], 0, v34
	v_cndmask_b32_e64 v34, v35, v37, s[8:9]
	v_mul_f32_e32 v35, 0x37800000, v34
	v_cndmask_b32_e32 v34, v34, v35, vcc
	v_cmp_class_f32_e32 vcc, v25, v41
	v_cndmask_b32_e32 v25, v34, v25, vcc
	v_div_scale_f32 v34, s[8:9], v25, v25, 1.0
	v_rcp_f32_e32 v35, v34
	v_fma_f32 v37, -v34, v35, 1.0
	v_fmac_f32_e32 v35, v37, v35
	v_div_scale_f32 v37, vcc, 1.0, v25, 1.0
	v_mul_f32_e32 v45, v37, v35
	v_fma_f32 v46, -v34, v45, v37
	v_fmac_f32_e32 v45, v46, v35
	v_fma_f32 v34, -v34, v45, v37
	v_div_fmas_f32 v34, v34, v35, v45
	v_div_fixup_f32 v35, v34, v25, 1.0
	v_mul_f32_e32 v34, v17, v35
.LBB145_118:                            ;   in Loop: Header=BB145_53 Depth=2
	s_or_b64 exec, exec, s[72:73]
	v_cndmask_b32_e64 v17, 1, -1, s[6:7]
	v_cmp_eq_u32_e32 vcc, v36, v17
	v_cndmask_b32_e32 v17, v35, v34, vcc
	v_cndmask_b32_e64 v25, v34, -v35, vcc
	v_mov_b32_e32 v34, s93
	v_add_co_u32_e32 v30, vcc, s92, v30
	v_addc_co_u32_e32 v31, vcc, v34, v31, vcc
	global_store_dword v[30:31], v25, off
	v_mov_b32_e32 v25, s53
	v_add_co_u32_e32 v30, vcc, s52, v30
	v_addc_co_u32_e32 v31, vcc, v31, v25, vcc
	global_store_dword v[30:31], v17, off offset:-4
	global_store_dwordx2 v[26:27], v[32:33], off
	global_store_dword v[28:29], v38, off
	v_add_u32_e32 v17, 2, v24
	ds_write_b32 v38, v17
	s_or_b64 exec, exec, s[70:71]
                                        ; implicit-def: $vgpr17
.LBB145_119:                            ;   in Loop: Header=BB145_53 Depth=2
	s_andn2_saveexec_b64 s[6:7], s[68:69]
	s_cbranch_execz .LBB145_121
.LBB145_120:                            ;   in Loop: Header=BB145_53 Depth=2
	ds_write_b32 v38, v17
.LBB145_121:                            ;   in Loop: Header=BB145_53 Depth=2
	s_or_b64 exec, exec, s[6:7]
.LBB145_122:                            ;   in Loop: Header=BB145_53 Depth=2
	s_or_b64 exec, exec, s[66:67]
	s_waitcnt lgkmcnt(0)
	s_barrier
	ds_read_b64 v[24:25], v38
	s_waitcnt lgkmcnt(0)
	v_readfirstlane_b32 s6, v25
	v_cmp_eq_u32_e32 vcc, s6, v24
	v_mov_b32_e32 v24, s6
	s_cbranch_vccnz .LBB145_52
; %bb.123:                              ;   in Loop: Header=BB145_53 Depth=2
	s_and_saveexec_b64 s[8:9], s[2:3]
	s_cbranch_execz .LBB145_51
; %bb.124:                              ;   in Loop: Header=BB145_53 Depth=2
	ds_read_b32 v24, v38 offset:16
	v_mov_b32_e32 v28, v0
	s_waitcnt lgkmcnt(0)
	v_readfirstlane_b32 s7, v24
	s_mul_i32 s66, s7, s15
	s_ashr_i32 s67, s66, 31
	s_lshl_b64 s[68:69], s[66:67], 3
	s_add_u32 s41, s90, s68
	s_addc_u32 s70, s91, s69
	s_sub_i32 s71, s6, s7
	s_mul_hi_i32 s7, s71, s44
	s_mul_i32 s6, s71, s44
	s_lshl_b64 s[6:7], s[6:7], 3
	s_add_u32 s72, s41, s6
	s_addc_u32 s73, s70, s7
	s_cmp_gt_i32 s71, 0
	v_ashrrev_i32_e32 v25, 31, v24
	s_cselect_b64 s[66:67], -1, 0
	s_add_i32 s60, s71, -1
	v_lshlrev_b64 v[24:25], 2, v[24:25]
	s_lshl_b64 s[6:7], s[60:61], 2
	v_mov_b32_e32 v17, s7
	v_add_co_u32_e32 v24, vcc, s6, v24
	s_mul_i32 s6, s57, s60
	s_mul_hi_u32 s7, s56, s60
	v_addc_co_u32_e32 v17, vcc, v25, v17, vcc
	s_add_i32 s7, s7, s6
	s_mul_i32 s6, s56, s60
	v_mov_b32_e32 v25, s93
	v_add_co_u32_e32 v24, vcc, s92, v24
	s_add_u32 s6, s6, s68
	v_addc_co_u32_e32 v25, vcc, v25, v17, vcc
	s_addc_u32 s7, s7, s69
	v_mov_b32_e32 v17, s7
	v_add_co_u32_e32 v26, vcc, s6, v1
	v_addc_co_u32_e32 v27, vcc, v40, v17, vcc
	s_mov_b64 s[68:69], 0
	s_branch .LBB145_126
.LBB145_125:                            ;   in Loop: Header=BB145_126 Depth=3
	v_add_u32_e32 v28, s34, v28
	v_cmp_le_i32_e32 vcc, s10, v28
	v_mov_b32_e32 v17, s59
	s_or_b64 s[68:69], vcc, s[68:69]
	v_add_co_u32_e32 v26, vcc, s58, v26
	v_addc_co_u32_e32 v27, vcc, v27, v17, vcc
	s_waitcnt vmcnt(0)
	global_store_dwordx2 v[32:33], v[30:31], off
	s_andn2_b64 exec, exec, s[68:69]
	s_cbranch_execz .LBB145_51
.LBB145_126:                            ;   Parent Loop BB145_7 Depth=1
                                        ;     Parent Loop BB145_53 Depth=2
                                        ; =>    This Loop Header: Depth=3
                                        ;         Child Loop BB145_127 Depth 4
	v_ashrrev_i32_e32 v29, 31, v28
	v_lshlrev_b64 v[32:33], 3, v[28:29]
	v_mov_b32_e32 v17, s73
	v_add_co_u32_e32 v30, vcc, s72, v32
	v_addc_co_u32_e32 v31, vcc, v17, v33, vcc
	global_load_dwordx2 v[30:31], v[30:31], off
	v_mov_b32_e32 v17, s70
	v_add_co_u32_e32 v32, vcc, s41, v32
	v_addc_co_u32_e32 v33, vcc, v17, v33, vcc
	s_andn2_b64 vcc, exec, s[66:67]
	v_pk_mov_b32 v[34:35], v[26:27], v[26:27] op_sel:[0,1]
	v_pk_mov_b32 v[36:37], v[24:25], v[24:25] op_sel:[0,1]
	s_mov_b32 s6, s71
	s_cbranch_vccnz .LBB145_125
.LBB145_127:                            ;   Parent Loop BB145_7 Depth=1
                                        ;     Parent Loop BB145_53 Depth=2
                                        ;       Parent Loop BB145_126 Depth=3
                                        ; =>      This Inner Loop Header: Depth=4
	v_mov_b32_e32 v17, s62
	v_add_co_u32_e32 v48, vcc, s11, v36
	v_addc_co_u32_e32 v49, vcc, v37, v17, vcc
	global_load_dwordx2 v[46:47], v[34:35], off
	s_nop 0
	global_load_dword v48, v[48:49], off
	s_nop 0
	global_load_dword v50, v[36:37], off
	s_mul_i32 s75, s6, s45
	s_mul_hi_u32 s76, s6, s44
	s_mul_i32 s74, s6, s44
	v_mov_b32_e32 v17, s63
	v_add_co_u32_e32 v34, vcc, s35, v34
	s_add_i32 s75, s76, s75
	v_addc_co_u32_e32 v35, vcc, v35, v17, vcc
	s_lshl_b64 s[74:75], s[74:75], 3
	s_add_i32 s60, s6, -1
	v_add_co_u32_e64 v36, s[6:7], -4, v36
	v_mov_b32_e32 v17, s75
	v_add_co_u32_e32 v52, vcc, s74, v32
	v_addc_co_u32_e64 v37, s[6:7], -1, v37, s[6:7]
	v_addc_co_u32_e32 v53, vcc, v33, v17, vcc
	s_mov_b32 s6, s60
	s_cmp_eq_u32 s60, 0
	s_waitcnt vmcnt(1)
	v_mul_f32_e32 v17, v48, v46
	s_waitcnt vmcnt(0)
	v_pk_mul_f32 v[54:55], v[50:51], v[46:47] op_sel_hi:[0,1]
	v_mul_f32_e32 v29, v48, v47
	v_fma_f32 v46, v30, v50, -v17
	v_fma_f32 v47, v31, v50, -v29
	v_pk_fma_f32 v[30:31], v[30:31], v[48:49], v[54:55] op_sel_hi:[1,0,1]
	global_store_dwordx2 v[52:53], v[46:47], off
	s_cbranch_scc0 .LBB145_127
	s_branch .LBB145_125
.LBB145_128:                            ;   in Loop: Header=BB145_53 Depth=2
	s_or_b64 exec, exec, s[70:71]
                                        ; implicit-def: $vgpr17
	s_andn2_saveexec_b64 s[6:7], s[68:69]
	s_cbranch_execnz .LBB145_120
	s_branch .LBB145_121
.LBB145_129:                            ;   in Loop: Header=BB145_7 Depth=1
	v_pk_mov_b32 v[22:23], v[14:15], v[14:15] op_sel:[0,1]
	v_pk_mov_b32 v[20:21], v[12:13], v[12:13] op_sel:[0,1]
	v_mov_b32_e32 v44, v43
	s_branch .LBB145_6
.LBB145_130:                            ;   in Loop: Header=BB145_7 Depth=1
                                        ; implicit-def: $vgpr22_vgpr23
                                        ; implicit-def: $vgpr20_vgpr21
                                        ; implicit-def: $vgpr44
.LBB145_131:                            ;   in Loop: Header=BB145_7 Depth=1
	s_and_b64 vcc, exec, s[4:5]
	s_cbranch_vccz .LBB145_148
.LBB145_132:                            ;   in Loop: Header=BB145_7 Depth=1
	v_mov_b32_e32 v44, v43
	v_pk_mov_b32 v[20:21], v[12:13], v[12:13] op_sel:[0,1]
	v_pk_mov_b32 v[22:23], v[14:15], v[14:15] op_sel:[0,1]
.LBB145_133:                            ;   in Loop: Header=BB145_7 Depth=1
	s_barrier
	ds_read_b32 v18, v38 offset:24
	s_waitcnt lgkmcnt(0)
	v_cmp_nlt_f32_e32 vcc, s31, v18
	s_cbranch_vccnz .LBB145_140
; %bb.134:                              ;   in Loop: Header=BB145_7 Depth=1
	v_div_scale_f32 v14, s[4:5], v18, v18, s31
	v_rcp_f32_e32 v15, v14
	ds_read2_b32 v[12:13], v38 offset0:4 offset1:8
	v_fma_f32 v16, -v14, v15, 1.0
	v_fmac_f32_e32 v15, v16, v15
	v_div_scale_f32 v16, vcc, s31, v18, s31
	v_mul_f32_e32 v17, v16, v15
	v_fma_f32 v19, -v14, v17, v16
	v_fmac_f32_e32 v17, v19, v15
	v_fma_f32 v14, -v14, v17, v16
	v_div_fmas_f32 v14, v14, v15, v17
	v_div_fixup_f32 v19, v14, v18, s31
	s_and_saveexec_b64 s[4:5], s[0:1]
	s_cbranch_execz .LBB145_136
; %bb.135:                              ;   in Loop: Header=BB145_7 Depth=1
	s_waitcnt lgkmcnt(0)
	v_ashrrev_i32_e32 v15, 31, v13
	v_mov_b32_e32 v14, v13
	v_lshlrev_b64 v[14:15], 2, v[14:15]
	v_mov_b32_e32 v16, s23
	v_add_co_u32_e32 v14, vcc, s22, v14
	v_addc_co_u32_e32 v15, vcc, v16, v15, vcc
	global_load_dword v16, v[14:15], off
	s_waitcnt vmcnt(0)
	v_mul_f32_e32 v16, v19, v16
	global_store_dword v[14:15], v16, off
.LBB145_136:                            ;   in Loop: Header=BB145_7 Depth=1
	s_or_b64 exec, exec, s[4:5]
	s_waitcnt lgkmcnt(0)
	v_add_u32_e32 v14, v12, v0
	v_cmp_lt_i32_e32 vcc, v14, v13
	s_and_saveexec_b64 s[4:5], vcc
	s_cbranch_execz .LBB145_139
; %bb.137:                              ;   in Loop: Header=BB145_7 Depth=1
	v_ashrrev_i32_e32 v15, 31, v14
	v_lshlrev_b64 v[16:17], 2, v[14:15]
	s_mov_b64 s[6:7], 0
.LBB145_138:                            ;   Parent Loop BB145_7 Depth=1
                                        ; =>  This Inner Loop Header: Depth=2
	v_mov_b32_e32 v12, s23
	v_add_co_u32_e32 v24, vcc, s22, v16
	v_addc_co_u32_e32 v25, vcc, v12, v17, vcc
	global_load_dword v12, v[24:25], off
	v_mov_b32_e32 v15, s33
	v_add_co_u32_e32 v26, vcc, s14, v16
	v_addc_co_u32_e32 v27, vcc, v15, v17, vcc
	v_mov_b32_e32 v15, s51
	v_add_co_u32_e32 v16, vcc, s50, v16
	v_add_u32_e32 v14, s34, v14
	v_addc_co_u32_e32 v17, vcc, v17, v15, vcc
	v_cmp_ge_i32_e32 vcc, v14, v13
	s_or_b64 s[6:7], vcc, s[6:7]
	s_waitcnt vmcnt(0)
	v_mul_f32_e32 v12, v19, v12
	global_store_dword v[24:25], v12, off
	global_load_dword v12, v[26:27], off
	s_waitcnt vmcnt(0)
	v_mul_f32_e32 v12, v19, v12
	global_store_dword v[26:27], v12, off
	s_andn2_b64 exec, exec, s[6:7]
	s_cbranch_execnz .LBB145_138
.LBB145_139:                            ;   in Loop: Header=BB145_7 Depth=1
	s_or_b64 exec, exec, s[4:5]
.LBB145_140:                            ;   in Loop: Header=BB145_7 Depth=1
	v_cmp_ngt_f32_e32 vcc, s30, v18
	s_cbranch_vccnz .LBB145_5
; %bb.141:                              ;   in Loop: Header=BB145_7 Depth=1
	v_div_scale_f32 v14, s[4:5], v18, v18, s30
	v_rcp_f32_e32 v15, v14
	ds_read2_b32 v[12:13], v38 offset0:4 offset1:8
	v_fma_f32 v16, -v14, v15, 1.0
	v_fmac_f32_e32 v15, v16, v15
	v_div_scale_f32 v16, vcc, s30, v18, s30
	v_mul_f32_e32 v17, v16, v15
	v_fma_f32 v19, -v14, v17, v16
	v_fmac_f32_e32 v17, v19, v15
	v_fma_f32 v14, -v14, v17, v16
	v_div_fmas_f32 v14, v14, v15, v17
	v_div_fixup_f32 v18, v14, v18, s30
	s_and_saveexec_b64 s[4:5], s[0:1]
	s_cbranch_execz .LBB145_143
; %bb.142:                              ;   in Loop: Header=BB145_7 Depth=1
	s_waitcnt lgkmcnt(0)
	v_ashrrev_i32_e32 v15, 31, v13
	v_mov_b32_e32 v14, v13
	v_lshlrev_b64 v[14:15], 2, v[14:15]
	v_mov_b32_e32 v16, s23
	v_add_co_u32_e32 v14, vcc, s22, v14
	v_addc_co_u32_e32 v15, vcc, v16, v15, vcc
	global_load_dword v16, v[14:15], off
	s_waitcnt vmcnt(0)
	v_mul_f32_e32 v16, v18, v16
	global_store_dword v[14:15], v16, off
.LBB145_143:                            ;   in Loop: Header=BB145_7 Depth=1
	s_or_b64 exec, exec, s[4:5]
	s_waitcnt lgkmcnt(0)
	v_add_u32_e32 v14, v12, v0
	v_cmp_lt_i32_e32 vcc, v14, v13
	s_and_saveexec_b64 s[4:5], vcc
	s_cbranch_execz .LBB145_4
; %bb.144:                              ;   in Loop: Header=BB145_7 Depth=1
	v_ashrrev_i32_e32 v15, 31, v14
	v_lshlrev_b64 v[16:17], 2, v[14:15]
	s_mov_b64 s[6:7], 0
.LBB145_145:                            ;   Parent Loop BB145_7 Depth=1
                                        ; =>  This Inner Loop Header: Depth=2
	v_mov_b32_e32 v12, s23
	v_add_co_u32_e32 v24, vcc, s22, v16
	v_addc_co_u32_e32 v25, vcc, v12, v17, vcc
	global_load_dword v12, v[24:25], off
	v_mov_b32_e32 v15, s33
	v_add_co_u32_e32 v26, vcc, s14, v16
	v_addc_co_u32_e32 v27, vcc, v15, v17, vcc
	v_mov_b32_e32 v15, s51
	v_add_co_u32_e32 v16, vcc, s50, v16
	v_add_u32_e32 v14, s34, v14
	v_addc_co_u32_e32 v17, vcc, v17, v15, vcc
	v_cmp_ge_i32_e32 vcc, v14, v13
	s_or_b64 s[6:7], vcc, s[6:7]
	s_waitcnt vmcnt(0)
	v_mul_f32_e32 v12, v18, v12
	global_store_dword v[24:25], v12, off
	global_load_dword v12, v[26:27], off
	s_waitcnt vmcnt(0)
	v_mul_f32_e32 v12, v18, v12
	global_store_dword v[26:27], v12, off
	s_andn2_b64 exec, exec, s[6:7]
	s_cbranch_execnz .LBB145_145
	s_branch .LBB145_4
.LBB145_146:                            ;   in Loop: Header=BB145_148 Depth=2
	s_or_b64 exec, exec, s[4:5]
	s_barrier
	ds_read_b32 v16, v38
.LBB145_147:                            ;   in Loop: Header=BB145_148 Depth=2
	ds_read2_b32 v[18:19], v38 offset0:5 offset1:7
	s_waitcnt lgkmcnt(0)
	v_cmp_ge_i32_e32 vcc, v16, v18
	v_cmp_gt_i32_e64 s[4:5], s28, v19
	s_and_b64 s[4:5], vcc, s[4:5]
	s_andn2_b64 vcc, exec, s[4:5]
	s_cbranch_vccnz .LBB145_132
.LBB145_148:                            ;   Parent Loop BB145_7 Depth=1
                                        ; =>  This Loop Header: Depth=2
                                        ;       Child Loop BB145_156 Depth 3
                                        ;       Child Loop BB145_175 Depth 3
	;; [unrolled: 1-line block ×3, first 2 shown]
                                        ;         Child Loop BB145_222 Depth 4
	s_and_saveexec_b64 s[8:9], s[0:1]
	s_cbranch_execz .LBB145_217
; %bb.149:                              ;   in Loop: Header=BB145_148 Depth=2
	v_cmp_gt_i32_e32 vcc, v16, v18
	s_mov_b64 s[4:5], 0
	s_cbranch_vccnz .LBB145_153
; %bb.150:                              ;   in Loop: Header=BB145_148 Depth=2
	v_ashrrev_i32_e32 v17, 31, v16
	s_mov_b64 s[6:7], -1
	v_pk_mov_b32 v[20:21], v[16:17], v[16:17] op_sel:[0,1]
	v_mov_b32_e32 v22, v16
	s_cbranch_execz .LBB145_154
; %bb.151:                              ;   in Loop: Header=BB145_148 Depth=2
	s_and_b64 vcc, exec, s[6:7]
	s_cbranch_vccz .LBB145_159
.LBB145_152:                            ;   in Loop: Header=BB145_148 Depth=2
	ds_write2_b32 v38, v22, v16 offset0:1 offset1:4
	s_cbranch_execz .LBB145_160
	s_branch .LBB145_161
.LBB145_153:                            ;   in Loop: Header=BB145_148 Depth=2
                                        ; implicit-def: $vgpr20_vgpr21
	s_mov_b64 s[6:7], 0
	v_mov_b32_e32 v22, v16
.LBB145_154:                            ;   in Loop: Header=BB145_148 Depth=2
	v_ashrrev_i32_e32 v17, 31, v16
	v_lshlrev_b64 v[2:3], 2, v[16:17]
	v_mov_b32_e32 v5, s65
	v_add_co_u32_e32 v4, vcc, s64, v2
	v_addc_co_u32_e32 v5, vcc, v5, v3, vcc
	v_mov_b32_e32 v21, s33
	v_add_co_u32_e32 v20, vcc, s14, v2
	v_addc_co_u32_e32 v21, vcc, v21, v3, vcc
	v_mov_b32_e32 v22, v16
	s_branch .LBB145_156
.LBB145_155:                            ;   in Loop: Header=BB145_156 Depth=3
	v_add_u32_e32 v22, -1, v42
	v_add_co_u32_e32 v4, vcc, -4, v4
	v_addc_co_u32_e32 v5, vcc, -1, v5, vcc
	s_mov_b64 s[4:5], 0
	v_cmp_le_i32_e64 s[6:7], v22, v18
	s_andn2_b64 vcc, exec, s[6:7]
	v_pk_mov_b32 v[20:21], v[2:3], v[2:3] op_sel:[0,1]
	s_cbranch_vccz .LBB145_158
.LBB145_156:                            ;   Parent Loop BB145_7 Depth=1
                                        ;     Parent Loop BB145_148 Depth=2
                                        ; =>    This Inner Loop Header: Depth=3
	global_load_dword v23, v[20:21], off offset:-4
	global_load_dwordx2 v[24:25], v[4:5], off
	v_add_co_u32_e32 v2, vcc, -4, v20
	v_addc_co_u32_e32 v3, vcc, -1, v21, vcc
	v_mov_b32_e32 v42, v22
	s_waitcnt vmcnt(1)
	v_mul_f32_e32 v20, v23, v23
	s_waitcnt vmcnt(0)
	v_mul_f32_e32 v21, v25, v24
	v_mul_f32_e64 v21, v39, |v21|
	v_cmp_le_f32_e64 s[4:5], |v20|, v21
	s_and_b64 vcc, exec, s[4:5]
	s_cbranch_vccz .LBB145_155
; %bb.157:                              ;   in Loop: Header=BB145_148 Depth=2
	s_mov_b64 s[4:5], -1
                                        ; implicit-def: $vgpr22
                                        ; implicit-def: $vgpr4_vgpr5
	v_pk_mov_b32 v[20:21], v[2:3], v[2:3] op_sel:[0,1]
.LBB145_158:                            ;   in Loop: Header=BB145_148 Depth=2
	s_xor_b64 s[6:7], s[4:5], -1
	s_mov_b64 s[4:5], -1
	v_pk_mov_b32 v[4:5], v[16:17], v[16:17] op_sel:[0,1]
	v_mov_b32_e32 v22, v18
	v_pk_mov_b32 v[20:21], v[16:17], v[16:17] op_sel:[0,1]
	s_and_b64 vcc, exec, s[6:7]
	s_cbranch_vccnz .LBB145_152
.LBB145_159:                            ;   in Loop: Header=BB145_148 Depth=2
                                        ; implicit-def: $vgpr22
                                        ; implicit-def: $vgpr20_vgpr21
	s_andn2_b64 vcc, exec, s[4:5]
	s_cbranch_vccnz .LBB145_161
.LBB145_160:                            ;   in Loop: Header=BB145_148 Depth=2
	v_pk_mov_b32 v[20:21], v[4:5], v[4:5] op_sel:[0,1]
	v_mov_b32_e32 v22, v42
	ds_write2_b32 v38, v42, v16 offset0:1 offset1:4
	global_store_dword v[2:3], v38, off
.LBB145_161:                            ;   in Loop: Header=BB145_148 Depth=2
	v_lshlrev_b64 v[24:25], 2, v[20:21]
	v_mov_b32_e32 v17, s23
	v_add_co_u32_e32 v20, vcc, s22, v24
	v_addc_co_u32_e32 v21, vcc, v17, v25, vcc
	global_load_dword v31, v[20:21], off
	v_cmp_ne_u32_e32 vcc, v22, v16
	v_add_u32_e32 v17, -1, v16
	s_waitcnt vmcnt(0)
	ds_write_b32 v38, v31 offset:8
	s_and_saveexec_b64 s[4:5], vcc
	s_xor_b64 s[66:67], exec, s[4:5]
	s_cbranch_execz .LBB145_214
; %bb.162:                              ;   in Loop: Header=BB145_148 Depth=2
	v_cmp_ne_u32_e32 vcc, v22, v17
	s_and_saveexec_b64 s[4:5], vcc
	s_xor_b64 s[68:69], exec, s[4:5]
	s_cbranch_execz .LBB145_190
; %bb.163:                              ;   in Loop: Header=BB145_148 Depth=2
	v_mov_b32_e32 v18, s47
	v_add_co_u32_e32 v24, vcc, s46, v24
	v_addc_co_u32_e32 v25, vcc, v18, v25, vcc
	global_load_dword v17, v[20:21], off offset:-4
	global_load_dword v18, v[24:25], off
	v_ashrrev_i32_e32 v23, 31, v22
	v_lshlrev_b64 v[28:29], 2, v[22:23]
	v_mov_b32_e32 v27, s23
	v_add_co_u32_e32 v26, vcc, s22, v28
	v_addc_co_u32_e32 v27, vcc, v27, v29, vcc
	global_load_dword v32, v[26:27], off
	v_add_u32_e32 v19, 1, v19
	ds_write2_b32 v38, v38, v19 offset0:2 offset1:7
	s_waitcnt vmcnt(2)
	v_sub_f32_e32 v17, v17, v31
	s_waitcnt vmcnt(1)
	v_add_f32_e32 v23, v18, v18
	v_div_scale_f32 v30, s[4:5], v23, v23, v17
	v_rcp_f32_e32 v33, v30
	v_div_scale_f32 v34, vcc, v17, v23, v17
	v_cmp_lt_i32_e64 s[4:5], v22, v16
	v_fma_f32 v35, -v30, v33, 1.0
	v_fmac_f32_e32 v33, v35, v33
	v_mul_f32_e32 v35, v34, v33
	v_fma_f32 v36, -v30, v35, v34
	v_fmac_f32_e32 v35, v36, v33
	v_fma_f32 v30, -v30, v35, v34
	v_div_fmas_f32 v30, v30, v33, v35
	v_div_fixup_f32 v17, v30, v23, v17
	v_fma_f32 v23, v17, v17, 1.0
	v_mul_f32_e32 v30, 0x4f800000, v23
	v_cmp_gt_f32_e32 vcc, s54, v23
	v_cndmask_b32_e32 v23, v23, v30, vcc
	v_sqrt_f32_e32 v30, v23
	v_add_u32_e32 v19, -1, v30
	v_add_u32_e32 v33, 1, v30
	v_fma_f32 v34, -v19, v30, v23
	v_fma_f32 v35, -v33, v30, v23
	v_cmp_ge_f32_e64 s[6:7], 0, v34
	v_cndmask_b32_e64 v19, v30, v19, s[6:7]
	v_cmp_lt_f32_e64 s[6:7], 0, v35
	v_cndmask_b32_e64 v19, v19, v33, s[6:7]
	v_mul_f32_e32 v30, 0x37800000, v19
	v_cndmask_b32_e32 v19, v19, v30, vcc
	v_cmp_class_f32_e32 vcc, v23, v41
	v_cndmask_b32_e32 v19, v19, v23, vcc
	v_cmp_nle_f32_e32 vcc, 0, v17
	v_cndmask_b32_e64 v19, |v19|, -|v19|, vcc
	v_add_f32_e32 v17, v17, v19
	v_div_scale_f32 v19, s[6:7], v17, v17, v18
	v_rcp_f32_e32 v23, v19
	v_div_scale_f32 v33, vcc, v18, v17, v18
	s_waitcnt vmcnt(0)
	v_sub_f32_e32 v30, v32, v31
	v_fma_f32 v34, -v19, v23, 1.0
	v_fmac_f32_e32 v23, v34, v23
	v_mul_f32_e32 v34, v33, v23
	v_fma_f32 v35, -v19, v34, v33
	v_fmac_f32_e32 v34, v35, v23
	v_fma_f32 v19, -v19, v34, v33
	v_div_fmas_f32 v19, v19, v23, v34
	v_div_fixup_f32 v17, v19, v17, v18
	v_add_f32_e32 v17, v30, v17
	v_mov_b32_e32 v30, 0
	s_and_saveexec_b64 s[6:7], s[4:5]
	s_cbranch_execz .LBB145_189
; %bb.164:                              ;   in Loop: Header=BB145_148 Depth=2
	v_mov_b32_e32 v19, s33
	v_add_co_u32_e32 v18, vcc, s14, v28
	v_addc_co_u32_e32 v19, vcc, v19, v29, vcc
	global_load_dword v19, v[18:19], off
	v_mov_b32_e32 v23, 1.0
	v_mov_b32_e32 v31, 0
	s_waitcnt vmcnt(0)
	v_cmp_neq_f32_e32 vcc, 0, v19
	s_and_saveexec_b64 s[70:71], vcc
	s_cbranch_execz .LBB145_172
; %bb.165:                              ;   in Loop: Header=BB145_148 Depth=2
	v_cmp_neq_f32_e32 vcc, 0, v17
	v_mov_b32_e32 v31, 1.0
	v_mov_b32_e32 v23, 0
	s_and_saveexec_b64 s[72:73], vcc
	s_cbranch_execz .LBB145_171
; %bb.166:                              ;   in Loop: Header=BB145_148 Depth=2
	v_cmp_ngt_f32_e64 s[4:5], |v19|, |v17|
                                        ; implicit-def: $vgpr31
                                        ; implicit-def: $vgpr23
	s_and_saveexec_b64 s[74:75], s[4:5]
	s_xor_b64 s[74:75], exec, s[74:75]
	s_cbranch_execz .LBB145_168
; %bb.167:                              ;   in Loop: Header=BB145_148 Depth=2
	v_div_scale_f32 v18, s[4:5], v17, v17, -v19
	v_rcp_f32_e32 v23, v18
	v_div_scale_f32 v30, vcc, -v19, v17, -v19
	v_fma_f32 v31, -v18, v23, 1.0
	v_fmac_f32_e32 v23, v31, v23
	v_mul_f32_e32 v31, v30, v23
	v_fma_f32 v33, -v18, v31, v30
	v_fmac_f32_e32 v31, v33, v23
	v_fma_f32 v18, -v18, v31, v30
	v_div_fmas_f32 v18, v18, v23, v31
	v_div_fixup_f32 v17, v18, v17, -v19
	v_fma_f32 v18, v17, v17, 1.0
	v_mul_f32_e32 v23, 0x4f800000, v18
	v_cmp_gt_f32_e32 vcc, s54, v18
	v_cndmask_b32_e32 v18, v18, v23, vcc
	v_sqrt_f32_e32 v23, v18
	v_add_u32_e32 v30, -1, v23
	v_fma_f32 v31, -v30, v23, v18
	v_cmp_ge_f32_e64 s[4:5], 0, v31
	v_add_u32_e32 v31, 1, v23
	v_cndmask_b32_e64 v30, v23, v30, s[4:5]
	v_fma_f32 v23, -v31, v23, v18
	v_cmp_lt_f32_e64 s[4:5], 0, v23
	v_cndmask_b32_e64 v23, v30, v31, s[4:5]
	v_mul_f32_e32 v30, 0x37800000, v23
	v_cndmask_b32_e32 v23, v23, v30, vcc
	v_cmp_class_f32_e32 vcc, v18, v41
	v_cndmask_b32_e32 v18, v23, v18, vcc
	v_div_scale_f32 v23, s[4:5], v18, v18, 1.0
	v_rcp_f32_e32 v30, v23
	v_fma_f32 v31, -v23, v30, 1.0
	v_fmac_f32_e32 v30, v31, v30
	v_div_scale_f32 v31, vcc, 1.0, v18, 1.0
	v_mul_f32_e32 v33, v31, v30
	v_fma_f32 v34, -v23, v33, v31
	v_fmac_f32_e32 v33, v34, v30
	v_fma_f32 v23, -v23, v33, v31
	v_div_fmas_f32 v23, v23, v30, v33
	v_div_fixup_f32 v23, v23, v18, 1.0
	v_mul_f32_e32 v31, v17, v23
                                        ; implicit-def: $vgpr17
.LBB145_168:                            ;   in Loop: Header=BB145_148 Depth=2
	s_andn2_saveexec_b64 s[74:75], s[74:75]
	s_cbranch_execz .LBB145_170
; %bb.169:                              ;   in Loop: Header=BB145_148 Depth=2
	v_div_scale_f32 v18, s[4:5], v19, v19, -v17
	v_rcp_f32_e32 v23, v18
	v_div_scale_f32 v30, vcc, -v17, v19, -v17
	v_fma_f32 v31, -v18, v23, 1.0
	v_fmac_f32_e32 v23, v31, v23
	v_mul_f32_e32 v31, v30, v23
	v_fma_f32 v33, -v18, v31, v30
	v_fmac_f32_e32 v31, v33, v23
	v_fma_f32 v18, -v18, v31, v30
	v_div_fmas_f32 v18, v18, v23, v31
	v_div_fixup_f32 v17, v18, v19, -v17
	v_fma_f32 v18, v17, v17, 1.0
	v_mul_f32_e32 v23, 0x4f800000, v18
	v_cmp_gt_f32_e32 vcc, s54, v18
	v_cndmask_b32_e32 v18, v18, v23, vcc
	v_sqrt_f32_e32 v23, v18
	v_add_u32_e32 v30, -1, v23
	v_fma_f32 v31, -v30, v23, v18
	v_cmp_ge_f32_e64 s[4:5], 0, v31
	v_add_u32_e32 v31, 1, v23
	v_cndmask_b32_e64 v30, v23, v30, s[4:5]
	v_fma_f32 v23, -v31, v23, v18
	v_cmp_lt_f32_e64 s[4:5], 0, v23
	v_cndmask_b32_e64 v23, v30, v31, s[4:5]
	v_mul_f32_e32 v30, 0x37800000, v23
	v_cndmask_b32_e32 v23, v23, v30, vcc
	v_cmp_class_f32_e32 vcc, v18, v41
	v_cndmask_b32_e32 v18, v23, v18, vcc
	v_div_scale_f32 v23, s[4:5], v18, v18, 1.0
	v_rcp_f32_e32 v30, v23
	v_fma_f32 v31, -v23, v30, 1.0
	v_fmac_f32_e32 v30, v31, v30
	v_div_scale_f32 v31, vcc, 1.0, v18, 1.0
	v_mul_f32_e32 v33, v31, v30
	v_fma_f32 v34, -v23, v33, v31
	v_fmac_f32_e32 v33, v34, v30
	v_fma_f32 v23, -v23, v33, v31
	v_div_fmas_f32 v23, v23, v30, v33
	v_div_fixup_f32 v31, v23, v18, 1.0
	v_mul_f32_e32 v23, v17, v31
.LBB145_170:                            ;   in Loop: Header=BB145_148 Depth=2
	s_or_b64 exec, exec, s[74:75]
.LBB145_171:                            ;   in Loop: Header=BB145_148 Depth=2
	s_or_b64 exec, exec, s[72:73]
.LBB145_172:                            ;   in Loop: Header=BB145_148 Depth=2
	s_or_b64 exec, exec, s[70:71]
	global_load_dword v17, v[26:27], off offset:4
	v_mov_b32_e32 v33, s93
	v_add_co_u32_e32 v28, vcc, s92, v28
	v_addc_co_u32_e32 v29, vcc, v33, v29, vcc
	v_add_f32_e32 v30, v23, v23
	v_mov_b32_e32 v35, s53
	v_add_co_u32_e32 v36, vcc, s52, v28
	v_add_u32_e32 v18, 1, v22
	v_addc_co_u32_e32 v37, vcc, v29, v35, vcc
	v_xor_b32_e32 v34, 0x80000000, v31
	v_cmp_lt_i32_e32 vcc, v18, v16
	s_waitcnt vmcnt(0)
	v_sub_f32_e32 v17, v17, v32
	v_mul_f32_e32 v17, v31, v17
	v_fma_f32 v17, v19, v30, -v17
	v_mul_f32_e64 v30, v17, -v31
	v_fma_f32 v31, v17, -v31, v32
	v_fma_f32 v17, v23, v17, -v19
	ds_write_b32 v38, v30 offset:8
	global_store_dword v[26:27], v31, off
	global_store_dword v[28:29], v23, off
	global_store_dword v[36:37], v34, off offset:-4
	s_and_saveexec_b64 s[70:71], vcc
	s_cbranch_execz .LBB145_188
; %bb.173:                              ;   in Loop: Header=BB145_148 Depth=2
	v_ashrrev_i32_e32 v19, 31, v18
	v_lshlrev_b64 v[28:29], 2, v[18:19]
	v_mov_b32_e32 v19, s93
	v_add_co_u32_e32 v18, vcc, s92, v28
	v_addc_co_u32_e32 v19, vcc, v19, v29, vcc
	v_mov_b32_e32 v27, s47
	v_add_co_u32_e32 v26, vcc, s46, v28
	v_addc_co_u32_e32 v27, vcc, v27, v29, vcc
	;; [unrolled: 3-line block ×3, first 2 shown]
	s_mov_b32 s41, 1
	s_mov_b64 s[72:73], 0
	s_branch .LBB145_175
.LBB145_174:                            ;   in Loop: Header=BB145_175 Depth=3
	global_load_dwordx2 v[36:37], v[28:29], off
	v_add_co_u32_e32 v26, vcc, 4, v26
	v_addc_co_u32_e32 v27, vcc, 0, v27, vcc
	v_add_co_u32_e32 v44, vcc, 4, v28
	v_addc_co_u32_e32 v45, vcc, 0, v29, vcc
	v_mul_f32_e32 v17, v23, v31
	v_mov_b32_e32 v31, s62
	s_add_i32 s41, s41, 1
	v_add_co_u32_e32 v46, vcc, s11, v18
	v_addc_co_u32_e32 v47, vcc, v19, v31, vcc
	v_add_u32_e32 v31, s41, v22
	v_cmp_ge_i32_e32 vcc, v31, v16
	v_add_f32_e32 v23, v33, v33
	v_xor_b32_e32 v34, 0x80000000, v35
	s_or_b64 s[72:73], vcc, s[72:73]
	s_waitcnt vmcnt(0)
	v_sub_f32_e32 v31, v36, v30
	v_sub_f32_e32 v30, v37, v31
	v_mul_f32_e32 v30, v35, v30
	v_fma_f32 v23, v17, v23, -v30
	v_fma_f32 v31, v23, -v35, v31
	global_store_dword v[28:29], v31, off
	global_store_dword v[18:19], v33, off
	;; [unrolled: 1-line block ×3, first 2 shown]
	v_add_co_u32_e32 v18, vcc, 4, v18
	v_mul_f32_e64 v30, v23, -v35
	v_fma_f32 v17, v33, v23, -v17
	v_addc_co_u32_e32 v19, vcc, 0, v19, vcc
	v_pk_mov_b32 v[28:29], v[44:45], v[44:45] op_sel:[0,1]
	v_mov_b32_e32 v23, v33
	s_andn2_b64 exec, exec, s[72:73]
	s_cbranch_execz .LBB145_187
.LBB145_175:                            ;   Parent Loop BB145_7 Depth=1
                                        ;     Parent Loop BB145_148 Depth=2
                                        ; =>    This Inner Loop Header: Depth=3
	global_load_dword v31, v[26:27], off offset:4
	v_mov_b32_e32 v33, 1.0
	v_mov_b32_e32 v35, 0
	s_waitcnt vmcnt(0)
	v_mul_f32_e32 v32, v34, v31
	v_cmp_neq_f32_e32 vcc, 0, v32
	s_and_saveexec_b64 s[74:75], vcc
	s_cbranch_execz .LBB145_185
; %bb.176:                              ;   in Loop: Header=BB145_175 Depth=3
	v_cmp_neq_f32_e32 vcc, 0, v17
                                        ; implicit-def: $vgpr35
                                        ; implicit-def: $vgpr33
	s_and_saveexec_b64 s[4:5], vcc
	s_xor_b64 s[76:77], exec, s[4:5]
	s_cbranch_execz .LBB145_182
; %bb.177:                              ;   in Loop: Header=BB145_175 Depth=3
	v_cmp_ngt_f32_e64 s[4:5], |v32|, |v17|
                                        ; implicit-def: $vgpr35
                                        ; implicit-def: $vgpr33
	s_and_saveexec_b64 s[78:79], s[4:5]
	s_xor_b64 s[78:79], exec, s[78:79]
	s_cbranch_execz .LBB145_179
; %bb.178:                              ;   in Loop: Header=BB145_175 Depth=3
	v_div_scale_f32 v33, s[4:5], v17, v17, -v32
	v_rcp_f32_e32 v34, v33
	v_div_scale_f32 v35, vcc, -v32, v17, -v32
	v_fma_f32 v36, -v33, v34, 1.0
	v_fmac_f32_e32 v34, v36, v34
	v_mul_f32_e32 v36, v35, v34
	v_fma_f32 v37, -v33, v36, v35
	v_fmac_f32_e32 v36, v37, v34
	v_fma_f32 v33, -v33, v36, v35
	v_div_fmas_f32 v33, v33, v34, v36
	v_div_fixup_f32 v34, v33, v17, -v32
	v_fma_f32 v33, v34, v34, 1.0
	v_mul_f32_e32 v35, 0x4f800000, v33
	v_cmp_gt_f32_e32 vcc, s54, v33
	v_cndmask_b32_e32 v33, v33, v35, vcc
	v_sqrt_f32_e32 v35, v33
	v_add_u32_e32 v36, -1, v35
	v_fma_f32 v37, -v36, v35, v33
	v_cmp_ge_f32_e64 s[4:5], 0, v37
	v_add_u32_e32 v37, 1, v35
	v_cndmask_b32_e64 v36, v35, v36, s[4:5]
	v_fma_f32 v35, -v37, v35, v33
	v_cmp_lt_f32_e64 s[4:5], 0, v35
	v_cndmask_b32_e64 v35, v36, v37, s[4:5]
	v_mul_f32_e32 v36, 0x37800000, v35
	v_cndmask_b32_e32 v35, v35, v36, vcc
	v_cmp_class_f32_e32 vcc, v33, v41
	v_cndmask_b32_e32 v33, v35, v33, vcc
	v_div_scale_f32 v35, s[4:5], v33, v33, 1.0
	v_rcp_f32_e32 v36, v35
	v_fma_f32 v37, -v35, v36, 1.0
	v_fmac_f32_e32 v36, v37, v36
	v_div_scale_f32 v37, vcc, 1.0, v33, 1.0
	v_mul_f32_e32 v44, v37, v36
	v_fma_f32 v45, -v35, v44, v37
	v_fmac_f32_e32 v44, v45, v36
	v_fma_f32 v35, -v35, v44, v37
	v_div_fmas_f32 v35, v35, v36, v44
	v_div_fixup_f32 v33, v35, v33, 1.0
	v_mul_f32_e32 v35, v34, v33
.LBB145_179:                            ;   in Loop: Header=BB145_175 Depth=3
	s_andn2_saveexec_b64 s[78:79], s[78:79]
	s_cbranch_execz .LBB145_181
; %bb.180:                              ;   in Loop: Header=BB145_175 Depth=3
	v_div_scale_f32 v33, s[4:5], v32, v32, -v17
	v_rcp_f32_e32 v34, v33
	v_div_scale_f32 v35, vcc, -v17, v32, -v17
	v_fma_f32 v36, -v33, v34, 1.0
	v_fmac_f32_e32 v34, v36, v34
	v_mul_f32_e32 v36, v35, v34
	v_fma_f32 v37, -v33, v36, v35
	v_fmac_f32_e32 v36, v37, v34
	v_fma_f32 v33, -v33, v36, v35
	v_div_fmas_f32 v33, v33, v34, v36
	v_div_fixup_f32 v33, v33, v32, -v17
	v_fma_f32 v34, v33, v33, 1.0
	v_mul_f32_e32 v35, 0x4f800000, v34
	v_cmp_gt_f32_e32 vcc, s54, v34
	v_cndmask_b32_e32 v34, v34, v35, vcc
	v_sqrt_f32_e32 v35, v34
	v_add_u32_e32 v36, -1, v35
	v_fma_f32 v37, -v36, v35, v34
	v_cmp_ge_f32_e64 s[4:5], 0, v37
	v_add_u32_e32 v37, 1, v35
	v_cndmask_b32_e64 v36, v35, v36, s[4:5]
	v_fma_f32 v35, -v37, v35, v34
	v_cmp_lt_f32_e64 s[4:5], 0, v35
	v_cndmask_b32_e64 v35, v36, v37, s[4:5]
	v_mul_f32_e32 v36, 0x37800000, v35
	v_cndmask_b32_e32 v35, v35, v36, vcc
	v_cmp_class_f32_e32 vcc, v34, v41
	v_cndmask_b32_e32 v34, v35, v34, vcc
	v_div_scale_f32 v35, s[4:5], v34, v34, 1.0
	v_rcp_f32_e32 v36, v35
	v_fma_f32 v37, -v35, v36, 1.0
	v_fmac_f32_e32 v36, v37, v36
	v_div_scale_f32 v37, vcc, 1.0, v34, 1.0
	v_mul_f32_e32 v44, v37, v36
	v_fma_f32 v45, -v35, v44, v37
	v_fmac_f32_e32 v44, v45, v36
	v_fma_f32 v35, -v35, v44, v37
	v_div_fmas_f32 v35, v35, v36, v44
	v_div_fixup_f32 v35, v35, v34, 1.0
	v_mul_f32_e32 v33, v33, v35
.LBB145_181:                            ;   in Loop: Header=BB145_175 Depth=3
	s_or_b64 exec, exec, s[78:79]
	v_mul_f32_e32 v32, v32, v35
	v_fma_f32 v17, v17, v33, -v32
                                        ; implicit-def: $vgpr32
.LBB145_182:                            ;   in Loop: Header=BB145_175 Depth=3
	s_andn2_saveexec_b64 s[4:5], s[76:77]
; %bb.183:                              ;   in Loop: Header=BB145_175 Depth=3
	v_xor_b32_e32 v17, 0x80000000, v32
	v_mov_b32_e32 v35, 1.0
	v_mov_b32_e32 v33, 0
; %bb.184:                              ;   in Loop: Header=BB145_175 Depth=3
	s_or_b64 exec, exec, s[4:5]
.LBB145_185:                            ;   in Loop: Header=BB145_175 Depth=3
	s_or_b64 exec, exec, s[74:75]
	s_cmp_eq_u32 s41, 0
	s_cbranch_scc1 .LBB145_174
; %bb.186:                              ;   in Loop: Header=BB145_175 Depth=3
	global_store_dword v[26:27], v17, off
	s_branch .LBB145_174
.LBB145_187:                            ;   in Loop: Header=BB145_148 Depth=2
	s_or_b64 exec, exec, s[72:73]
	ds_write_b32 v38, v30 offset:8
.LBB145_188:                            ;   in Loop: Header=BB145_148 Depth=2
	s_or_b64 exec, exec, s[70:71]
	global_load_dword v31, v[20:21], off
.LBB145_189:                            ;   in Loop: Header=BB145_148 Depth=2
	s_or_b64 exec, exec, s[6:7]
	s_waitcnt vmcnt(0)
	v_sub_f32_e32 v16, v31, v30
	global_store_dword v[20:21], v16, off
	global_store_dword v[24:25], v17, off
                                        ; implicit-def: $vgpr20_vgpr21
                                        ; implicit-def: $vgpr24_vgpr25
                                        ; implicit-def: $vgpr16
                                        ; implicit-def: $vgpr31
                                        ; implicit-def: $vgpr22
.LBB145_190:                            ;   in Loop: Header=BB145_148 Depth=2
	s_andn2_saveexec_b64 s[68:69], s[68:69]
	s_cbranch_execz .LBB145_223
; %bb.191:                              ;   in Loop: Header=BB145_148 Depth=2
	v_ashrrev_i32_e32 v23, 31, v22
	v_lshlrev_b64 v[18:19], 2, v[22:23]
	v_mov_b32_e32 v17, s23
	v_add_co_u32_e32 v22, vcc, s22, v18
	v_addc_co_u32_e32 v23, vcc, v17, v19, vcc
	v_mov_b32_e32 v17, s33
	v_add_co_u32_e32 v26, vcc, s14, v18
	v_addc_co_u32_e32 v27, vcc, v17, v19, vcc
	global_load_dword v22, v[22:23], off
	s_nop 0
	global_load_dword v28, v[26:27], off
                                        ; implicit-def: $vgpr26
	s_waitcnt vmcnt(1)
	v_sub_f32_e32 v27, v22, v31
	s_waitcnt vmcnt(0)
	v_add_f32_e32 v17, v28, v28
	v_and_b32_e32 v23, 0x7fffffff, v17
	v_cmp_ngt_f32_e64 s[4:5], |v27|, |v17|
	s_and_saveexec_b64 s[6:7], s[4:5]
	s_xor_b64 s[6:7], exec, s[6:7]
	s_cbranch_execz .LBB145_197
; %bb.192:                              ;   in Loop: Header=BB145_148 Depth=2
	v_cmp_nlt_f32_e64 s[4:5], |v27|, |v17|
                                        ; implicit-def: $vgpr26
	s_and_saveexec_b64 s[70:71], s[4:5]
	s_xor_b64 s[4:5], exec, s[70:71]
; %bb.193:                              ;   in Loop: Header=BB145_148 Depth=2
	v_cvt_f64_f32_e32 v[32:33], v23
	v_mul_f64 v[32:33], v[32:33], s[82:83]
	v_cvt_f32_f64_e32 v26, v[32:33]
                                        ; implicit-def: $vgpr23
; %bb.194:                              ;   in Loop: Header=BB145_148 Depth=2
	s_andn2_saveexec_b64 s[70:71], s[4:5]
	s_cbranch_execz .LBB145_196
; %bb.195:                              ;   in Loop: Header=BB145_148 Depth=2
	v_and_b32_e32 v26, 0x7fffffff, v27
	v_div_scale_f32 v29, s[4:5], v23, v23, v26
	v_rcp_f32_e32 v30, v29
	v_div_scale_f32 v23, vcc, v26, v23, v26
	v_fma_f32 v26, -v29, v30, 1.0
	v_fmac_f32_e32 v30, v26, v30
	v_mul_f32_e32 v26, v23, v30
	v_fma_f32 v32, -v29, v26, v23
	v_fmac_f32_e32 v26, v32, v30
	v_fma_f32 v23, -v29, v26, v23
	v_div_fmas_f32 v23, v23, v30, v26
	v_div_fixup_f32 v23, v23, |v17|, |v27|
	v_fma_f32 v23, v23, v23, 1.0
	v_mul_f32_e32 v26, 0x4f800000, v23
	v_cmp_gt_f32_e32 vcc, s54, v23
	v_cndmask_b32_e32 v23, v23, v26, vcc
	v_sqrt_f32_e32 v26, v23
	v_add_u32_e32 v29, -1, v26
	v_fma_f32 v30, -v29, v26, v23
	v_cmp_ge_f32_e64 s[4:5], 0, v30
	v_add_u32_e32 v30, 1, v26
	v_cndmask_b32_e64 v29, v26, v29, s[4:5]
	v_fma_f32 v26, -v30, v26, v23
	v_cmp_lt_f32_e64 s[4:5], 0, v26
	v_cndmask_b32_e64 v26, v29, v30, s[4:5]
	v_mul_f32_e32 v29, 0x37800000, v26
	v_cndmask_b32_e32 v26, v26, v29, vcc
	v_cmp_class_f32_e32 vcc, v23, v41
	v_cndmask_b32_e32 v23, v26, v23, vcc
	v_mul_f32_e64 v26, |v17|, v23
.LBB145_196:                            ;   in Loop: Header=BB145_148 Depth=2
	s_or_b64 exec, exec, s[70:71]
                                        ; implicit-def: $vgpr23
.LBB145_197:                            ;   in Loop: Header=BB145_148 Depth=2
	s_andn2_saveexec_b64 s[6:7], s[6:7]
	s_cbranch_execz .LBB145_199
; %bb.198:                              ;   in Loop: Header=BB145_148 Depth=2
	v_and_b32_e32 v26, 0x7fffffff, v27
	v_div_scale_f32 v29, s[4:5], v26, v26, v23
	v_rcp_f32_e32 v30, v29
	v_div_scale_f32 v23, vcc, v23, v26, v23
	v_fma_f32 v26, -v29, v30, 1.0
	v_fmac_f32_e32 v30, v26, v30
	v_mul_f32_e32 v26, v23, v30
	v_fma_f32 v32, -v29, v26, v23
	v_fmac_f32_e32 v26, v32, v30
	v_fma_f32 v23, -v29, v26, v23
	v_div_fmas_f32 v23, v23, v30, v26
	v_div_fixup_f32 v23, v23, |v27|, |v17|
	v_fma_f32 v23, v23, v23, 1.0
	v_mul_f32_e32 v26, 0x4f800000, v23
	v_cmp_gt_f32_e32 vcc, s54, v23
	v_cndmask_b32_e32 v23, v23, v26, vcc
	v_sqrt_f32_e32 v26, v23
	v_add_u32_e32 v29, -1, v26
	v_fma_f32 v30, -v29, v26, v23
	v_cmp_ge_f32_e64 s[4:5], 0, v30
	v_add_u32_e32 v30, 1, v26
	v_cndmask_b32_e64 v29, v26, v29, s[4:5]
	v_fma_f32 v26, -v30, v26, v23
	v_cmp_lt_f32_e64 s[4:5], 0, v26
	v_cndmask_b32_e64 v26, v29, v30, s[4:5]
	v_mul_f32_e32 v29, 0x37800000, v26
	v_cndmask_b32_e32 v26, v26, v29, vcc
	v_cmp_class_f32_e32 vcc, v23, v41
	v_cndmask_b32_e32 v23, v26, v23, vcc
	v_mul_f32_e64 v26, |v27|, v23
.LBB145_199:                            ;   in Loop: Header=BB145_148 Depth=2
	s_or_b64 exec, exec, s[6:7]
	v_add_f32_e32 v32, v31, v22
	v_cmp_gt_f32_e64 vcc, |v22|, |v31|
	v_cndmask_b32_e32 v30, v22, v31, vcc
	v_cndmask_b32_e32 v31, v31, v22, vcc
	v_cmp_ngt_f32_e32 vcc, 0, v32
                                        ; implicit-def: $vgpr29
                                        ; implicit-def: $vgpr22_vgpr23
	s_and_saveexec_b64 s[4:5], vcc
	s_xor_b64 s[4:5], exec, s[4:5]
	s_cbranch_execz .LBB145_205
; %bb.200:                              ;   in Loop: Header=BB145_148 Depth=2
	v_cmp_nlt_f32_e32 vcc, 0, v32
                                        ; implicit-def: $sgpr41
                                        ; implicit-def: $vgpr22_vgpr23
	s_and_saveexec_b64 s[6:7], vcc
	s_xor_b64 s[6:7], exec, s[6:7]
; %bb.201:                              ;   in Loop: Header=BB145_148 Depth=2
	v_pk_mul_f32 v[22:23], v[26:27], s[84:85] op_sel_hi:[0,1]
	s_mov_b32 s41, 1
                                        ; implicit-def: $vgpr32
                                        ; implicit-def: $vgpr31
                                        ; implicit-def: $vgpr30
                                        ; implicit-def: $vgpr28
; %bb.202:                              ;   in Loop: Header=BB145_148 Depth=2
	s_or_saveexec_b64 s[6:7], s[6:7]
	v_mov_b32_e32 v29, s41
	s_xor_b64 exec, exec, s[6:7]
	s_cbranch_execz .LBB145_204
; %bb.203:                              ;   in Loop: Header=BB145_148 Depth=2
	v_add_f32_e32 v22, v32, v26
	v_mul_f32_e32 v22, 0.5, v22
	v_cvt_f64_f32_e32 v[32:33], v31
	v_cvt_f64_f32_e32 v[34:35], v22
	v_div_scale_f64 v[36:37], s[70:71], v[34:35], v[34:35], v[32:33]
	v_rcp_f64_e32 v[44:45], v[36:37]
	v_cvt_f64_f32_e32 v[28:29], v28
	v_cvt_f64_f32_e32 v[30:31], v30
	v_fma_f64 v[46:47], -v[36:37], v[44:45], 1.0
	v_fmac_f64_e32 v[44:45], v[44:45], v[46:47]
	v_fma_f64 v[46:47], -v[36:37], v[44:45], 1.0
	v_fmac_f64_e32 v[44:45], v[44:45], v[46:47]
	v_div_scale_f64 v[46:47], vcc, v[32:33], v[34:35], v[32:33]
	v_mul_f64 v[48:49], v[46:47], v[44:45]
	v_fma_f64 v[36:37], -v[36:37], v[48:49], v[46:47]
	v_div_scale_f64 v[46:47], s[70:71], v[34:35], v[34:35], v[28:29]
	v_rcp_f64_e32 v[50:51], v[46:47]
	v_div_fmas_f64 v[36:37], v[36:37], v[44:45], v[48:49]
	v_div_fixup_f64 v[32:33], v[36:37], v[34:35], v[32:33]
	v_fma_f64 v[36:37], -v[46:47], v[50:51], 1.0
	v_fmac_f64_e32 v[50:51], v[50:51], v[36:37]
	v_fma_f64 v[36:37], -v[46:47], v[50:51], 1.0
	v_fmac_f64_e32 v[50:51], v[50:51], v[36:37]
	v_div_scale_f64 v[36:37], vcc, v[28:29], v[34:35], v[28:29]
	v_mul_f64 v[44:45], v[36:37], v[50:51]
	v_fma_f64 v[36:37], -v[46:47], v[44:45], v[36:37]
	s_nop 1
	v_div_fmas_f64 v[36:37], v[36:37], v[50:51], v[44:45]
	v_div_fixup_f64 v[34:35], v[36:37], v[34:35], v[28:29]
	v_mul_f64 v[28:29], v[34:35], v[28:29]
	v_fma_f64 v[28:29], v[32:33], v[30:31], -v[28:29]
	v_cvt_f32_f64_e32 v23, v[28:29]
	v_mov_b32_e32 v29, 1
.LBB145_204:                            ;   in Loop: Header=BB145_148 Depth=2
	s_or_b64 exec, exec, s[6:7]
                                        ; implicit-def: $vgpr32
                                        ; implicit-def: $vgpr31
                                        ; implicit-def: $vgpr30
                                        ; implicit-def: $vgpr28
.LBB145_205:                            ;   in Loop: Header=BB145_148 Depth=2
	s_andn2_saveexec_b64 s[4:5], s[4:5]
	s_cbranch_execz .LBB145_207
; %bb.206:                              ;   in Loop: Header=BB145_148 Depth=2
	v_sub_f32_e32 v22, v32, v26
	v_mul_f32_e32 v22, 0.5, v22
	v_cvt_f64_f32_e32 v[32:33], v31
	v_cvt_f64_f32_e32 v[34:35], v22
	v_div_scale_f64 v[36:37], s[6:7], v[34:35], v[34:35], v[32:33]
	v_rcp_f64_e32 v[44:45], v[36:37]
	v_cvt_f64_f32_e32 v[28:29], v28
	v_cvt_f64_f32_e32 v[30:31], v30
	v_fma_f64 v[46:47], -v[36:37], v[44:45], 1.0
	v_fmac_f64_e32 v[44:45], v[44:45], v[46:47]
	v_fma_f64 v[46:47], -v[36:37], v[44:45], 1.0
	v_fmac_f64_e32 v[44:45], v[44:45], v[46:47]
	v_div_scale_f64 v[46:47], vcc, v[32:33], v[34:35], v[32:33]
	v_mul_f64 v[48:49], v[46:47], v[44:45]
	v_fma_f64 v[36:37], -v[36:37], v[48:49], v[46:47]
	v_div_scale_f64 v[46:47], s[6:7], v[34:35], v[34:35], v[28:29]
	v_rcp_f64_e32 v[50:51], v[46:47]
	v_div_fmas_f64 v[36:37], v[36:37], v[44:45], v[48:49]
	v_div_fixup_f64 v[32:33], v[36:37], v[34:35], v[32:33]
	v_fma_f64 v[36:37], -v[46:47], v[50:51], 1.0
	v_fmac_f64_e32 v[50:51], v[50:51], v[36:37]
	v_fma_f64 v[36:37], -v[46:47], v[50:51], 1.0
	v_fmac_f64_e32 v[50:51], v[50:51], v[36:37]
	v_div_scale_f64 v[36:37], vcc, v[28:29], v[34:35], v[28:29]
	v_mul_f64 v[44:45], v[36:37], v[50:51]
	v_fma_f64 v[36:37], -v[46:47], v[44:45], v[36:37]
	s_nop 1
	v_div_fmas_f64 v[36:37], v[36:37], v[50:51], v[44:45]
	v_div_fixup_f64 v[34:35], v[36:37], v[34:35], v[28:29]
	v_mul_f64 v[28:29], v[34:35], v[28:29]
	v_fma_f64 v[28:29], v[32:33], v[30:31], -v[28:29]
	v_cvt_f32_f64_e32 v23, v[28:29]
	v_mov_b32_e32 v29, -1
.LBB145_207:                            ;   in Loop: Header=BB145_148 Depth=2
	s_or_b64 exec, exec, s[4:5]
	v_cmp_nle_f32_e64 s[4:5], 0, v27
	v_cndmask_b32_e64 v26, v26, -v26, s[4:5]
	v_add_f32_e32 v26, v27, v26
	v_cmp_ngt_f32_e64 s[6:7], |v26|, |v17|
                                        ; implicit-def: $vgpr27
                                        ; implicit-def: $vgpr28
	s_and_saveexec_b64 s[70:71], s[6:7]
	s_xor_b64 s[70:71], exec, s[70:71]
	s_cbranch_execz .LBB145_211
; %bb.208:                              ;   in Loop: Header=BB145_148 Depth=2
	v_cmp_neq_f32_e32 vcc, 0, v17
	v_mov_b32_e32 v27, 0
	v_mov_b32_e32 v28, 1.0
	s_and_saveexec_b64 s[72:73], vcc
	s_cbranch_execz .LBB145_210
; %bb.209:                              ;   in Loop: Header=BB145_148 Depth=2
	v_div_scale_f32 v27, s[6:7], v17, v17, -v26
	v_rcp_f32_e32 v28, v27
	v_div_scale_f32 v30, vcc, -v26, v17, -v26
	v_fma_f32 v31, -v27, v28, 1.0
	v_fmac_f32_e32 v28, v31, v28
	v_mul_f32_e32 v31, v30, v28
	v_fma_f32 v32, -v27, v31, v30
	v_fmac_f32_e32 v31, v32, v28
	v_fma_f32 v27, -v27, v31, v30
	v_div_fmas_f32 v27, v27, v28, v31
	v_div_fixup_f32 v17, v27, v17, -v26
	v_fma_f32 v26, v17, v17, 1.0
	v_mul_f32_e32 v27, 0x4f800000, v26
	v_cmp_gt_f32_e32 vcc, s54, v26
	v_cndmask_b32_e32 v26, v26, v27, vcc
	v_sqrt_f32_e32 v27, v26
	v_add_u32_e32 v28, -1, v27
	v_fma_f32 v30, -v28, v27, v26
	v_cmp_ge_f32_e64 s[6:7], 0, v30
	v_add_u32_e32 v30, 1, v27
	v_cndmask_b32_e64 v28, v27, v28, s[6:7]
	v_fma_f32 v27, -v30, v27, v26
	v_cmp_lt_f32_e64 s[6:7], 0, v27
	v_cndmask_b32_e64 v27, v28, v30, s[6:7]
	v_mul_f32_e32 v28, 0x37800000, v27
	v_cndmask_b32_e32 v27, v27, v28, vcc
	v_cmp_class_f32_e32 vcc, v26, v41
	v_cndmask_b32_e32 v26, v27, v26, vcc
	v_div_scale_f32 v27, s[6:7], v26, v26, 1.0
	v_rcp_f32_e32 v28, v27
	v_fma_f32 v30, -v27, v28, 1.0
	v_fmac_f32_e32 v28, v30, v28
	v_div_scale_f32 v30, vcc, 1.0, v26, 1.0
	v_mul_f32_e32 v31, v30, v28
	v_fma_f32 v32, -v27, v31, v30
	v_fmac_f32_e32 v31, v32, v28
	v_fma_f32 v27, -v27, v31, v30
	v_div_fmas_f32 v27, v27, v28, v31
	v_div_fixup_f32 v28, v27, v26, 1.0
	v_mul_f32_e32 v27, v17, v28
.LBB145_210:                            ;   in Loop: Header=BB145_148 Depth=2
	s_or_b64 exec, exec, s[72:73]
                                        ; implicit-def: $vgpr26
                                        ; implicit-def: $vgpr17
.LBB145_211:                            ;   in Loop: Header=BB145_148 Depth=2
	s_andn2_saveexec_b64 s[70:71], s[70:71]
	s_cbranch_execz .LBB145_213
; %bb.212:                              ;   in Loop: Header=BB145_148 Depth=2
	v_div_scale_f32 v27, s[6:7], v26, v26, -v17
	v_rcp_f32_e32 v28, v27
	v_div_scale_f32 v30, vcc, -v17, v26, -v17
	v_fma_f32 v31, -v27, v28, 1.0
	v_fmac_f32_e32 v28, v31, v28
	v_mul_f32_e32 v31, v30, v28
	v_fma_f32 v32, -v27, v31, v30
	v_fmac_f32_e32 v31, v32, v28
	v_fma_f32 v27, -v27, v31, v30
	v_div_fmas_f32 v27, v27, v28, v31
	v_div_fixup_f32 v17, v27, v26, -v17
	v_fma_f32 v26, v17, v17, 1.0
	v_mul_f32_e32 v27, 0x4f800000, v26
	v_cmp_gt_f32_e32 vcc, s54, v26
	v_cndmask_b32_e32 v26, v26, v27, vcc
	v_sqrt_f32_e32 v27, v26
	v_add_u32_e32 v28, -1, v27
	v_fma_f32 v30, -v28, v27, v26
	v_cmp_ge_f32_e64 s[6:7], 0, v30
	v_add_u32_e32 v30, 1, v27
	v_cndmask_b32_e64 v28, v27, v28, s[6:7]
	v_fma_f32 v27, -v30, v27, v26
	v_cmp_lt_f32_e64 s[6:7], 0, v27
	v_cndmask_b32_e64 v27, v28, v30, s[6:7]
	v_mul_f32_e32 v28, 0x37800000, v27
	v_cndmask_b32_e32 v27, v27, v28, vcc
	v_cmp_class_f32_e32 vcc, v26, v41
	v_cndmask_b32_e32 v26, v27, v26, vcc
	v_div_scale_f32 v27, s[6:7], v26, v26, 1.0
	v_rcp_f32_e32 v28, v27
	v_fma_f32 v30, -v27, v28, 1.0
	v_fmac_f32_e32 v28, v30, v28
	v_div_scale_f32 v30, vcc, 1.0, v26, 1.0
	v_mul_f32_e32 v31, v30, v28
	v_fma_f32 v32, -v27, v31, v30
	v_fmac_f32_e32 v31, v32, v28
	v_fma_f32 v27, -v27, v31, v30
	v_div_fmas_f32 v27, v27, v28, v31
	v_div_fixup_f32 v27, v27, v26, 1.0
	v_mul_f32_e32 v28, v17, v27
.LBB145_213:                            ;   in Loop: Header=BB145_148 Depth=2
	s_or_b64 exec, exec, s[70:71]
	v_cndmask_b32_e64 v17, 1, -1, s[4:5]
	v_cmp_eq_u32_e32 vcc, v29, v17
	v_cndmask_b32_e64 v17, v28, -v27, vcc
	v_cndmask_b32_e32 v26, v27, v28, vcc
	v_mov_b32_e32 v27, s93
	v_add_co_u32_e32 v18, vcc, s92, v18
	v_addc_co_u32_e32 v19, vcc, v27, v19, vcc
	global_store_dword v[18:19], v17, off
	v_mov_b32_e32 v17, s53
	v_add_co_u32_e32 v18, vcc, s52, v18
	v_addc_co_u32_e32 v19, vcc, v19, v17, vcc
	global_store_dword v[18:19], v26, off offset:-4
	global_store_dwordx2 v[20:21], v[22:23], off offset:-4
	v_mov_b32_e32 v17, s47
	v_add_co_u32_e32 v18, vcc, s46, v24
	v_addc_co_u32_e32 v19, vcc, v17, v25, vcc
	v_add_u32_e32 v16, -2, v16
	global_store_dword v[18:19], v38, off
	ds_write_b32 v38, v16
	s_or_b64 exec, exec, s[68:69]
                                        ; implicit-def: $vgpr17
.LBB145_214:                            ;   in Loop: Header=BB145_148 Depth=2
	s_andn2_saveexec_b64 s[4:5], s[66:67]
	s_cbranch_execz .LBB145_216
.LBB145_215:                            ;   in Loop: Header=BB145_148 Depth=2
	ds_write_b32 v38, v17
.LBB145_216:                            ;   in Loop: Header=BB145_148 Depth=2
	s_or_b64 exec, exec, s[4:5]
.LBB145_217:                            ;   in Loop: Header=BB145_148 Depth=2
	s_or_b64 exec, exec, s[8:9]
	s_waitcnt lgkmcnt(0)
	s_barrier
	ds_read_b64 v[16:17], v38
	s_waitcnt lgkmcnt(0)
	v_readfirstlane_b32 s6, v17
	v_cmp_eq_u32_e32 vcc, s6, v16
	v_mov_b32_e32 v16, s6
	s_cbranch_vccnz .LBB145_147
; %bb.218:                              ;   in Loop: Header=BB145_148 Depth=2
	s_and_saveexec_b64 s[4:5], s[2:3]
	s_cbranch_execz .LBB145_146
; %bb.219:                              ;   in Loop: Header=BB145_148 Depth=2
	ds_read_b32 v16, v38 offset:16
	s_ashr_i32 s7, s6, 31
	s_lshl_b64 s[66:67], s[6:7], 2
	s_mul_i32 s8, s6, s15
	v_mov_b32_e32 v18, v0
	s_waitcnt lgkmcnt(0)
	v_readfirstlane_b32 s7, v16
	s_sub_i32 s41, s7, s6
	s_add_u32 s6, s92, s66
	s_addc_u32 s7, s93, s67
	s_ashr_i32 s9, s8, 31
	s_lshl_b64 s[66:67], s[8:9], 3
	s_add_u32 s60, s90, s66
	s_addc_u32 s70, s91, s67
	s_cmp_gt_i32 s41, 0
	s_mul_hi_i32 s69, s41, s44
	s_mul_i32 s68, s41, s44
	s_cselect_b64 s[8:9], -1, 0
	s_lshl_b64 s[68:69], s[68:69], 3
	s_add_u32 s71, s60, s68
	v_mov_b32_e32 v17, s67
	v_add_co_u32_e32 v16, vcc, s66, v1
	s_addc_u32 s72, s70, s69
	v_addc_co_u32_e32 v17, vcc, v40, v17, vcc
	s_mov_b64 s[66:67], 0
	s_branch .LBB145_221
.LBB145_220:                            ;   in Loop: Header=BB145_221 Depth=3
	v_mov_b32_e32 v19, s72
	v_add_co_u32_e32 v20, vcc, s71, v20
	v_addc_co_u32_e32 v21, vcc, v19, v21, vcc
	v_add_u32_e32 v18, s34, v18
	v_cmp_le_i32_e32 vcc, s10, v18
	v_mov_b32_e32 v19, s59
	s_or_b64 s[66:67], vcc, s[66:67]
	v_add_co_u32_e32 v16, vcc, s58, v16
	v_addc_co_u32_e32 v17, vcc, v17, v19, vcc
	s_waitcnt vmcnt(0)
	global_store_dwordx2 v[20:21], v[22:23], off
	s_andn2_b64 exec, exec, s[66:67]
	s_cbranch_execz .LBB145_146
.LBB145_221:                            ;   Parent Loop BB145_7 Depth=1
                                        ;     Parent Loop BB145_148 Depth=2
                                        ; =>    This Loop Header: Depth=3
                                        ;         Child Loop BB145_222 Depth 4
	v_ashrrev_i32_e32 v19, 31, v18
	v_lshlrev_b64 v[20:21], 3, v[18:19]
	v_mov_b32_e32 v19, s70
	v_add_co_u32_e32 v22, vcc, s60, v20
	v_addc_co_u32_e32 v23, vcc, v19, v21, vcc
	global_load_dwordx2 v[22:23], v[22:23], off
	s_andn2_b64 vcc, exec, s[8:9]
	s_mov_b64 s[68:69], s[6:7]
	v_pk_mov_b32 v[24:25], v[16:17], v[16:17] op_sel:[0,1]
	s_mov_b32 s73, s41
	s_cbranch_vccnz .LBB145_220
.LBB145_222:                            ;   Parent Loop BB145_7 Depth=1
                                        ;     Parent Loop BB145_148 Depth=2
                                        ;       Parent Loop BB145_221 Depth=3
                                        ; =>      This Inner Loop Header: Depth=4
	s_add_u32 s74, s68, s11
	s_addc_u32 s75, s69, s62
	v_mov_b32_e32 v19, s57
	v_add_co_u32_e32 v28, vcc, s56, v24
	global_load_dword v26, v38, s[74:75]
	v_addc_co_u32_e32 v29, vcc, v25, v19, vcc
	global_load_dwordx2 v[30:31], v[28:29], off
	global_load_dword v32, v38, s[68:69]
	s_add_i32 s73, s73, -1
	s_add_u32 s68, s68, 4
	s_addc_u32 s69, s69, 0
	s_cmp_eq_u32 s73, 0
	s_waitcnt vmcnt(1)
	v_mul_f32_e32 v34, v26, v30
	v_mul_f32_e32 v35, v26, v31
	v_pk_mul_f32 v[26:27], v[22:23], v[26:27] op_sel_hi:[1,0]
	s_waitcnt vmcnt(0)
	v_fmac_f32_e32 v34, v22, v32
	v_fmac_f32_e32 v35, v23, v32
	v_pk_fma_f32 v[22:23], v[32:33], v[30:31], v[26:27] op_sel_hi:[0,1,1] neg_lo:[0,0,1] neg_hi:[0,0,1]
	global_store_dwordx2 v[24:25], v[34:35], off
	v_pk_mov_b32 v[24:25], v[28:29], v[28:29] op_sel:[0,1]
	s_cbranch_scc0 .LBB145_222
	s_branch .LBB145_220
.LBB145_223:                            ;   in Loop: Header=BB145_148 Depth=2
	s_or_b64 exec, exec, s[68:69]
                                        ; implicit-def: $vgpr17
	s_andn2_saveexec_b64 s[4:5], s[66:67]
	s_cbranch_execnz .LBB145_215
	s_branch .LBB145_216
.LBB145_224:
	v_cmp_gt_i32_e32 vcc, s40, v0
	s_and_saveexec_b64 s[2:3], vcc
	s_cbranch_execz .LBB145_230
; %bb.225:
	s_lshl_b64 s[4:5], s[38:39], 2
	s_add_u32 s4, s18, s4
	s_addc_u32 s5, s19, s5
	s_lshl_b64 s[6:7], s[42:43], 2
	v_ashrrev_i32_e32 v1, 31, v0
	s_add_u32 s6, s24, s6
	v_lshlrev_b64 v[2:3], 2, v[0:1]
	s_addc_u32 s7, s25, s7
	s_ashr_i32 s35, s34, 31
	v_mov_b32_e32 v1, s7
	v_add_co_u32_e32 v2, vcc, s6, v2
	s_lshl_b64 s[6:7], s[34:35], 2
	v_addc_co_u32_e32 v3, vcc, v1, v3, vcc
	s_mov_b64 s[8:9], 0
	v_mov_b32_e32 v1, 0
	v_mov_b32_e32 v4, s7
	s_branch .LBB145_227
.LBB145_226:                            ;   in Loop: Header=BB145_227 Depth=1
	s_or_b64 exec, exec, s[18:19]
	v_add_u32_e32 v0, s34, v0
	v_cmp_le_i32_e32 vcc, s40, v0
	s_or_b64 s[8:9], vcc, s[8:9]
	v_add_co_u32_e32 v2, vcc, s6, v2
	v_addc_co_u32_e32 v3, vcc, v3, v4, vcc
	s_andn2_b64 exec, exec, s[8:9]
	s_cbranch_execz .LBB145_230
.LBB145_227:                            ; =>This Inner Loop Header: Depth=1
	global_load_dword v5, v[2:3], off
	s_waitcnt vmcnt(0)
	v_cmp_neq_f32_e32 vcc, 0, v5
	s_and_saveexec_b64 s[18:19], vcc
	s_cbranch_execz .LBB145_226
; %bb.228:                              ;   in Loop: Header=BB145_227 Depth=1
	s_mov_b64 s[24:25], exec
	v_mbcnt_lo_u32_b32 v5, s24, 0
	v_mbcnt_hi_u32_b32 v5, s25, v5
	v_cmp_eq_u32_e32 vcc, 0, v5
	s_and_b64 s[28:29], exec, vcc
	s_mov_b64 exec, s[28:29]
	s_cbranch_execz .LBB145_226
; %bb.229:                              ;   in Loop: Header=BB145_227 Depth=1
	s_bcnt1_i32_b64 s7, s[24:25]
	v_mov_b32_e32 v5, s7
	global_atomic_add v1, v5, s[4:5]
	s_branch .LBB145_226
.LBB145_230:
	s_or_b64 exec, exec, s[2:3]
	s_cmp_lt_i32 s10, 2
	s_cbranch_scc1 .LBB145_243
; %bb.231:
	s_add_u32 s11, s22, -4
	s_addc_u32 s14, s23, -1
	s_add_u32 s2, s36, s20
	s_addc_u32 s3, s37, s21
	s_add_u32 s2, s2, 4
	s_addc_u32 s3, s3, 0
	s_lshl_b64 s[4:5], s[16:17], 3
	s_lshl_b64 s[6:7], s[26:27], 3
	s_add_u32 s4, s4, s6
	s_addc_u32 s5, s5, s7
	s_add_u32 s18, s12, s4
	s_addc_u32 s19, s13, s5
	s_mov_b32 s4, 1
	v_mov_b32_e32 v0, 0
	s_branch .LBB145_233
.LBB145_232:                            ;   in Loop: Header=BB145_233 Depth=1
	s_add_i32 s4, s4, 1
	s_add_u32 s2, s2, 4
	s_addc_u32 s3, s3, 0
	s_cmp_lg_u32 s4, s10
	s_barrier
	s_cbranch_scc0 .LBB145_243
.LBB145_233:                            ; =>This Loop Header: Depth=1
                                        ;     Child Loop BB145_236 Depth 2
                                        ;     Child Loop BB145_242 Depth 2
	s_and_saveexec_b64 s[6:7], s[0:1]
	s_cbranch_execz .LBB145_240
; %bb.234:                              ;   in Loop: Header=BB145_233 Depth=1
	s_ashr_i32 s5, s4, 31
	s_add_i32 s13, s4, -1
	s_lshl_b64 s[8:9], s[4:5], 2
	s_add_u32 s8, s11, s8
	s_addc_u32 s9, s14, s9
	global_load_dword v1, v0, s[8:9]
	v_mov_b32_e32 v2, s13
	v_mov_b32_e32 v3, s13
	s_mov_b64 s[16:17], s[2:3]
	s_mov_b32 s5, s4
	s_mov_b32 s12, s13
	ds_write_b64 v0, v[2:3]
	s_waitcnt vmcnt(0)
	ds_write_b32 v0, v1 offset:8
	v_mov_b32_e32 v2, v1
	s_branch .LBB145_236
.LBB145_235:                            ;   in Loop: Header=BB145_236 Depth=2
	s_add_i32 s5, s5, 1
	s_add_u32 s16, s16, 4
	s_addc_u32 s17, s17, 0
	s_cmp_ge_i32 s5, s10
	s_cbranch_scc1 .LBB145_238
.LBB145_236:                            ;   Parent Loop BB145_233 Depth=1
                                        ; =>  This Inner Loop Header: Depth=2
	global_load_dword v3, v0, s[16:17]
	s_waitcnt vmcnt(0)
	v_cmp_nlt_f32_e32 vcc, v3, v2
	s_cbranch_vccnz .LBB145_235
; %bb.237:                              ;   in Loop: Header=BB145_236 Depth=2
	v_mov_b32_e32 v2, s5
	ds_write2_b32 v0, v2, v3 offset0:1 offset1:2
	s_mov_b32 s12, s5
	v_mov_b32_e32 v2, v3
	s_branch .LBB145_235
.LBB145_238:                            ;   in Loop: Header=BB145_233 Depth=1
	s_cmp_lg_u32 s12, s13
	s_cbranch_scc0 .LBB145_240
; %bb.239:                              ;   in Loop: Header=BB145_233 Depth=1
	s_ashr_i32 s13, s12, 31
	s_lshl_b64 s[12:13], s[12:13], 2
	s_add_u32 s12, s22, s12
	s_addc_u32 s13, s23, s13
	global_store_dword v0, v1, s[12:13]
	global_store_dword v0, v2, s[8:9]
.LBB145_240:                            ;   in Loop: Header=BB145_233 Depth=1
	s_or_b64 exec, exec, s[6:7]
	s_waitcnt lgkmcnt(0)
	s_barrier
	ds_read_b64 v[2:3], v0
	s_waitcnt lgkmcnt(0)
	v_readfirstlane_b32 s5, v2
	v_readfirstlane_b32 s6, v3
	s_cmp_eq_u32 s6, s5
	s_cbranch_scc1 .LBB145_232
; %bb.241:                              ;   in Loop: Header=BB145_233 Depth=1
	s_mul_i32 s6, s6, s15
	s_ashr_i32 s7, s6, 31
	s_lshl_b64 s[6:7], s[6:7], 3
	s_mul_i32 s8, s5, s15
	s_add_u32 s6, s18, s6
	s_addc_u32 s7, s19, s7
	s_ashr_i32 s9, s8, 31
	s_lshl_b64 s[8:9], s[8:9], 3
	s_add_u32 s8, s18, s8
	s_addc_u32 s9, s19, s9
	s_mov_b32 s5, s10
.LBB145_242:                            ;   Parent Loop BB145_233 Depth=1
                                        ; =>  This Inner Loop Header: Depth=2
	global_load_dwordx2 v[2:3], v0, s[6:7]
	global_load_dwordx2 v[4:5], v0, s[8:9]
	s_add_i32 s5, s5, -1
	s_waitcnt vmcnt(1)
	global_store_dwordx2 v0, v[2:3], s[8:9]
	s_waitcnt vmcnt(1)
	global_store_dwordx2 v0, v[4:5], s[6:7]
	s_add_u32 s6, s6, 8
	s_addc_u32 s7, s7, 0
	s_add_u32 s8, s8, 8
	s_addc_u32 s9, s9, 0
	s_cmp_lg_u32 s5, 0
	s_cbranch_scc1 .LBB145_242
	s_branch .LBB145_232
.LBB145_243:
	s_endpgm
	.section	.rodata,"a",@progbits
	.p2align	6, 0x0
	.amdhsa_kernel _ZN9rocsolver6v33100L12steqr_kernelI19rocblas_complex_numIfEfPS3_EEviPT0_lS6_lT1_iilPiS6_iS5_S5_S5_
		.amdhsa_group_segment_fixed_size 36
		.amdhsa_private_segment_fixed_size 0
		.amdhsa_kernarg_size 352
		.amdhsa_user_sgpr_count 6
		.amdhsa_user_sgpr_private_segment_buffer 1
		.amdhsa_user_sgpr_dispatch_ptr 0
		.amdhsa_user_sgpr_queue_ptr 0
		.amdhsa_user_sgpr_kernarg_segment_ptr 1
		.amdhsa_user_sgpr_dispatch_id 0
		.amdhsa_user_sgpr_flat_scratch_init 0
		.amdhsa_user_sgpr_kernarg_preload_length 0
		.amdhsa_user_sgpr_kernarg_preload_offset 0
		.amdhsa_user_sgpr_private_segment_size 0
		.amdhsa_uses_dynamic_stack 0
		.amdhsa_system_sgpr_private_segment_wavefront_offset 0
		.amdhsa_system_sgpr_workgroup_id_x 1
		.amdhsa_system_sgpr_workgroup_id_y 1
		.amdhsa_system_sgpr_workgroup_id_z 0
		.amdhsa_system_sgpr_workgroup_info 0
		.amdhsa_system_vgpr_workitem_id 0
		.amdhsa_next_free_vgpr 63
		.amdhsa_next_free_sgpr 96
		.amdhsa_accum_offset 64
		.amdhsa_reserve_vcc 1
		.amdhsa_reserve_flat_scratch 0
		.amdhsa_float_round_mode_32 0
		.amdhsa_float_round_mode_16_64 0
		.amdhsa_float_denorm_mode_32 3
		.amdhsa_float_denorm_mode_16_64 3
		.amdhsa_dx10_clamp 1
		.amdhsa_ieee_mode 1
		.amdhsa_fp16_overflow 0
		.amdhsa_tg_split 0
		.amdhsa_exception_fp_ieee_invalid_op 0
		.amdhsa_exception_fp_denorm_src 0
		.amdhsa_exception_fp_ieee_div_zero 0
		.amdhsa_exception_fp_ieee_overflow 0
		.amdhsa_exception_fp_ieee_underflow 0
		.amdhsa_exception_fp_ieee_inexact 0
		.amdhsa_exception_int_div_zero 0
	.end_amdhsa_kernel
	.section	.text._ZN9rocsolver6v33100L12steqr_kernelI19rocblas_complex_numIfEfPS3_EEviPT0_lS6_lT1_iilPiS6_iS5_S5_S5_,"axG",@progbits,_ZN9rocsolver6v33100L12steqr_kernelI19rocblas_complex_numIfEfPS3_EEviPT0_lS6_lT1_iilPiS6_iS5_S5_S5_,comdat
.Lfunc_end145:
	.size	_ZN9rocsolver6v33100L12steqr_kernelI19rocblas_complex_numIfEfPS3_EEviPT0_lS6_lT1_iilPiS6_iS5_S5_S5_, .Lfunc_end145-_ZN9rocsolver6v33100L12steqr_kernelI19rocblas_complex_numIfEfPS3_EEviPT0_lS6_lT1_iilPiS6_iS5_S5_S5_
                                        ; -- End function
	.section	.AMDGPU.csdata,"",@progbits
; Kernel info:
; codeLenInByte = 13040
; NumSgprs: 100
; NumVgprs: 63
; NumAgprs: 0
; TotalNumVgprs: 63
; ScratchSize: 0
; MemoryBound: 0
; FloatMode: 240
; IeeeMode: 1
; LDSByteSize: 36 bytes/workgroup (compile time only)
; SGPRBlocks: 12
; VGPRBlocks: 7
; NumSGPRsForWavesPerEU: 100
; NumVGPRsForWavesPerEU: 63
; AccumOffset: 64
; Occupancy: 8
; WaveLimiterHint : 0
; COMPUTE_PGM_RSRC2:SCRATCH_EN: 0
; COMPUTE_PGM_RSRC2:USER_SGPR: 6
; COMPUTE_PGM_RSRC2:TRAP_HANDLER: 0
; COMPUTE_PGM_RSRC2:TGID_X_EN: 1
; COMPUTE_PGM_RSRC2:TGID_Y_EN: 1
; COMPUTE_PGM_RSRC2:TGID_Z_EN: 0
; COMPUTE_PGM_RSRC2:TIDIG_COMP_CNT: 0
; COMPUTE_PGM_RSRC3_GFX90A:ACCUM_OFFSET: 15
; COMPUTE_PGM_RSRC3_GFX90A:TG_SPLIT: 0
	.section	.text._ZN9rocsolver6v33100L8copy_matI19rocblas_complex_numIfEfLb0EPS3_TnNSt9enable_ifIX18rocblas_is_complexIT_EEiE4typeELi0EEEvNS0_17copymat_directionEiiT2_iilPT0_13rocblas_fill_17rocblas_diagonal_,"axG",@progbits,_ZN9rocsolver6v33100L8copy_matI19rocblas_complex_numIfEfLb0EPS3_TnNSt9enable_ifIX18rocblas_is_complexIT_EEiE4typeELi0EEEvNS0_17copymat_directionEiiT2_iilPT0_13rocblas_fill_17rocblas_diagonal_,comdat
	.globl	_ZN9rocsolver6v33100L8copy_matI19rocblas_complex_numIfEfLb0EPS3_TnNSt9enable_ifIX18rocblas_is_complexIT_EEiE4typeELi0EEEvNS0_17copymat_directionEiiT2_iilPT0_13rocblas_fill_17rocblas_diagonal_ ; -- Begin function _ZN9rocsolver6v33100L8copy_matI19rocblas_complex_numIfEfLb0EPS3_TnNSt9enable_ifIX18rocblas_is_complexIT_EEiE4typeELi0EEEvNS0_17copymat_directionEiiT2_iilPT0_13rocblas_fill_17rocblas_diagonal_
	.p2align	8
	.type	_ZN9rocsolver6v33100L8copy_matI19rocblas_complex_numIfEfLb0EPS3_TnNSt9enable_ifIX18rocblas_is_complexIT_EEiE4typeELi0EEEvNS0_17copymat_directionEiiT2_iilPT0_13rocblas_fill_17rocblas_diagonal_,@function
_ZN9rocsolver6v33100L8copy_matI19rocblas_complex_numIfEfLb0EPS3_TnNSt9enable_ifIX18rocblas_is_complexIT_EEiE4typeELi0EEEvNS0_17copymat_directionEiiT2_iilPT0_13rocblas_fill_17rocblas_diagonal_: ; @_ZN9rocsolver6v33100L8copy_matI19rocblas_complex_numIfEfLb0EPS3_TnNSt9enable_ifIX18rocblas_is_complexIT_EEiE4typeELi0EEEvNS0_17copymat_directionEiiT2_iilPT0_13rocblas_fill_17rocblas_diagonal_
; %bb.0:
	s_load_dwordx4 s[12:15], s[4:5], 0x0
	s_load_dword s0, s[4:5], 0x44
	v_bfe_u32 v1, v0, 10, 10
	v_and_b32_e32 v0, 0x3ff, v0
	s_waitcnt lgkmcnt(0)
	s_lshr_b32 s1, s0, 16
	s_and_b32 s0, s0, 0xffff
	s_mul_i32 s7, s7, s1
	s_mul_i32 s6, s6, s0
	v_add_u32_e32 v1, s7, v1
	v_add_u32_e32 v0, s6, v0
	v_cmp_gt_u32_e32 vcc, s13, v0
	v_cmp_gt_u32_e64 s[0:1], s14, v1
	s_and_b64 s[0:1], s[0:1], vcc
	s_and_saveexec_b64 s[2:3], s[0:1]
	s_cbranch_execz .LBB146_16
; %bb.1:
	s_load_dwordx2 s[2:3], s[4:5], 0x30
	s_mov_b32 s9, s13
	s_waitcnt lgkmcnt(0)
	s_cmpk_lt_i32 s2, 0x7a
	s_cbranch_scc1 .LBB146_4
; %bb.2:
	s_cmpk_gt_i32 s2, 0x7a
	s_cbranch_scc0 .LBB146_5
; %bb.3:
	s_cmpk_lg_i32 s2, 0x7b
	s_mov_b64 s[6:7], -1
	s_cselect_b64 s[10:11], -1, 0
	s_cbranch_execz .LBB146_6
	s_branch .LBB146_7
.LBB146_4:
	s_mov_b64 s[10:11], 0
	s_mov_b64 s[6:7], 0
	s_cbranch_execnz .LBB146_8
	s_branch .LBB146_10
.LBB146_5:
	s_mov_b64 s[6:7], 0
	s_mov_b64 s[10:11], 0
.LBB146_6:
	v_cmp_gt_u32_e32 vcc, v0, v1
	v_cmp_le_u32_e64 s[0:1], v0, v1
	s_andn2_b64 s[6:7], s[6:7], exec
	s_and_b64 s[16:17], vcc, exec
	s_andn2_b64 s[10:11], s[10:11], exec
	s_and_b64 s[0:1], s[0:1], exec
	s_or_b64 s[6:7], s[6:7], s[16:17]
	s_or_b64 s[10:11], s[10:11], s[0:1]
.LBB146_7:
	s_branch .LBB146_10
.LBB146_8:
	s_cmpk_eq_i32 s2, 0x79
	s_mov_b64 s[10:11], -1
	s_cbranch_scc0 .LBB146_10
; %bb.9:
	v_cmp_gt_u32_e32 vcc, v1, v0
	v_cmp_le_u32_e64 s[0:1], v1, v0
	s_andn2_b64 s[6:7], s[6:7], exec
	s_and_b64 s[10:11], vcc, exec
	s_or_b64 s[6:7], s[6:7], s[10:11]
	s_orn2_b64 s[10:11], s[0:1], exec
.LBB146_10:
	s_and_saveexec_b64 s[0:1], s[10:11]
; %bb.11:
	s_cmpk_eq_i32 s3, 0x83
	s_cselect_b64 s[2:3], -1, 0
	v_cmp_eq_u32_e32 vcc, v0, v1
	s_and_b64 s[2:3], s[2:3], vcc
	s_andn2_b64 s[6:7], s[6:7], exec
	s_and_b64 s[2:3], s[2:3], exec
	s_or_b64 s[6:7], s[6:7], s[2:3]
; %bb.12:
	s_or_b64 exec, exec, s[0:1]
	s_and_b64 exec, exec, s[6:7]
	s_cbranch_execz .LBB146_16
; %bb.13:
	s_load_dwordx8 s[16:23], s[4:5], 0x10
	s_ashr_i32 s4, s13, 31
	s_ashr_i32 s5, s14, 31
	s_mul_i32 s4, s4, s8
	s_waitcnt lgkmcnt(0)
	s_mul_i32 s2, s8, s21
	s_mul_hi_u32 s3, s8, s20
	s_add_i32 s3, s3, s2
	s_mul_i32 s2, s8, s20
	s_ashr_i32 s1, s18, 31
	s_lshl_b64 s[2:3], s[2:3], 3
	s_mov_b32 s0, s18
	s_add_u32 s2, s16, s2
	s_addc_u32 s3, s17, s3
	s_lshl_b64 s[0:1], s[0:1], 3
	s_add_u32 s2, s2, s0
	s_mul_hi_u32 s0, s13, s8
	s_addc_u32 s3, s3, s1
	s_add_i32 s0, s0, s4
	s_mul_i32 s4, s13, s8
	s_mul_i32 s1, s4, s5
	s_mul_hi_u32 s5, s4, s14
	s_add_i32 s1, s5, s1
	s_mul_i32 s0, s0, s14
	s_add_i32 s1, s1, s0
	s_mul_i32 s0, s4, s14
	s_lshl_b64 s[0:1], s[0:1], 2
	s_add_u32 s4, s22, s0
	s_addc_u32 s5, s23, s1
	v_mad_u64_u32 v[4:5], s[0:1], v1, s19, v[0:1]
	v_mov_b32_e32 v5, 0
	s_cmp_lg_u32 s12, 0
	v_lshlrev_b64 v[2:3], 3, v[4:5]
	s_cbranch_scc0 .LBB146_17
; %bb.14:
	v_mad_u64_u32 v[6:7], s[0:1], v1, s9, v[0:1]
	v_mov_b32_e32 v7, v5
	v_lshlrev_b64 v[4:5], 2, v[6:7]
	v_mov_b32_e32 v6, s5
	v_add_co_u32_e32 v4, vcc, s4, v4
	v_addc_co_u32_e32 v5, vcc, v6, v5, vcc
	global_load_dword v6, v[4:5], off
	v_mov_b32_e32 v5, s3
	v_add_co_u32_e32 v4, vcc, s2, v2
	v_addc_co_u32_e32 v5, vcc, v5, v3, vcc
	s_waitcnt vmcnt(0)
	global_store_dword v[4:5], v6, off offset:4
	s_cbranch_execnz .LBB146_16
.LBB146_15:
	v_mov_b32_e32 v4, s3
	v_add_co_u32_e32 v2, vcc, s2, v2
	v_addc_co_u32_e32 v3, vcc, v4, v3, vcc
	global_load_dword v2, v[2:3], off offset:4
	v_mad_u64_u32 v[0:1], s[0:1], v1, s9, v[0:1]
	v_mov_b32_e32 v1, 0
	v_lshlrev_b64 v[0:1], 2, v[0:1]
	v_mov_b32_e32 v3, s5
	v_add_co_u32_e32 v0, vcc, s4, v0
	v_addc_co_u32_e32 v1, vcc, v3, v1, vcc
	s_waitcnt vmcnt(0)
	global_store_dword v[0:1], v2, off
.LBB146_16:
	s_endpgm
.LBB146_17:
	s_branch .LBB146_15
	.section	.rodata,"a",@progbits
	.p2align	6, 0x0
	.amdhsa_kernel _ZN9rocsolver6v33100L8copy_matI19rocblas_complex_numIfEfLb0EPS3_TnNSt9enable_ifIX18rocblas_is_complexIT_EEiE4typeELi0EEEvNS0_17copymat_directionEiiT2_iilPT0_13rocblas_fill_17rocblas_diagonal_
		.amdhsa_group_segment_fixed_size 0
		.amdhsa_private_segment_fixed_size 0
		.amdhsa_kernarg_size 312
		.amdhsa_user_sgpr_count 6
		.amdhsa_user_sgpr_private_segment_buffer 1
		.amdhsa_user_sgpr_dispatch_ptr 0
		.amdhsa_user_sgpr_queue_ptr 0
		.amdhsa_user_sgpr_kernarg_segment_ptr 1
		.amdhsa_user_sgpr_dispatch_id 0
		.amdhsa_user_sgpr_flat_scratch_init 0
		.amdhsa_user_sgpr_kernarg_preload_length 0
		.amdhsa_user_sgpr_kernarg_preload_offset 0
		.amdhsa_user_sgpr_private_segment_size 0
		.amdhsa_uses_dynamic_stack 0
		.amdhsa_system_sgpr_private_segment_wavefront_offset 0
		.amdhsa_system_sgpr_workgroup_id_x 1
		.amdhsa_system_sgpr_workgroup_id_y 1
		.amdhsa_system_sgpr_workgroup_id_z 1
		.amdhsa_system_sgpr_workgroup_info 0
		.amdhsa_system_vgpr_workitem_id 1
		.amdhsa_next_free_vgpr 8
		.amdhsa_next_free_sgpr 24
		.amdhsa_accum_offset 8
		.amdhsa_reserve_vcc 1
		.amdhsa_reserve_flat_scratch 0
		.amdhsa_float_round_mode_32 0
		.amdhsa_float_round_mode_16_64 0
		.amdhsa_float_denorm_mode_32 3
		.amdhsa_float_denorm_mode_16_64 3
		.amdhsa_dx10_clamp 1
		.amdhsa_ieee_mode 1
		.amdhsa_fp16_overflow 0
		.amdhsa_tg_split 0
		.amdhsa_exception_fp_ieee_invalid_op 0
		.amdhsa_exception_fp_denorm_src 0
		.amdhsa_exception_fp_ieee_div_zero 0
		.amdhsa_exception_fp_ieee_overflow 0
		.amdhsa_exception_fp_ieee_underflow 0
		.amdhsa_exception_fp_ieee_inexact 0
		.amdhsa_exception_int_div_zero 0
	.end_amdhsa_kernel
	.section	.text._ZN9rocsolver6v33100L8copy_matI19rocblas_complex_numIfEfLb0EPS3_TnNSt9enable_ifIX18rocblas_is_complexIT_EEiE4typeELi0EEEvNS0_17copymat_directionEiiT2_iilPT0_13rocblas_fill_17rocblas_diagonal_,"axG",@progbits,_ZN9rocsolver6v33100L8copy_matI19rocblas_complex_numIfEfLb0EPS3_TnNSt9enable_ifIX18rocblas_is_complexIT_EEiE4typeELi0EEEvNS0_17copymat_directionEiiT2_iilPT0_13rocblas_fill_17rocblas_diagonal_,comdat
.Lfunc_end146:
	.size	_ZN9rocsolver6v33100L8copy_matI19rocblas_complex_numIfEfLb0EPS3_TnNSt9enable_ifIX18rocblas_is_complexIT_EEiE4typeELi0EEEvNS0_17copymat_directionEiiT2_iilPT0_13rocblas_fill_17rocblas_diagonal_, .Lfunc_end146-_ZN9rocsolver6v33100L8copy_matI19rocblas_complex_numIfEfLb0EPS3_TnNSt9enable_ifIX18rocblas_is_complexIT_EEiE4typeELi0EEEvNS0_17copymat_directionEiiT2_iilPT0_13rocblas_fill_17rocblas_diagonal_
                                        ; -- End function
	.section	.AMDGPU.csdata,"",@progbits
; Kernel info:
; codeLenInByte = 576
; NumSgprs: 28
; NumVgprs: 8
; NumAgprs: 0
; TotalNumVgprs: 8
; ScratchSize: 0
; MemoryBound: 0
; FloatMode: 240
; IeeeMode: 1
; LDSByteSize: 0 bytes/workgroup (compile time only)
; SGPRBlocks: 3
; VGPRBlocks: 0
; NumSGPRsForWavesPerEU: 28
; NumVGPRsForWavesPerEU: 8
; AccumOffset: 8
; Occupancy: 8
; WaveLimiterHint : 0
; COMPUTE_PGM_RSRC2:SCRATCH_EN: 0
; COMPUTE_PGM_RSRC2:USER_SGPR: 6
; COMPUTE_PGM_RSRC2:TRAP_HANDLER: 0
; COMPUTE_PGM_RSRC2:TGID_X_EN: 1
; COMPUTE_PGM_RSRC2:TGID_Y_EN: 1
; COMPUTE_PGM_RSRC2:TGID_Z_EN: 1
; COMPUTE_PGM_RSRC2:TIDIG_COMP_CNT: 1
; COMPUTE_PGM_RSRC3_GFX90A:ACCUM_OFFSET: 1
; COMPUTE_PGM_RSRC3_GFX90A:TG_SPLIT: 0
	.section	.text._ZN9rocsolver6v33100L8set_zeroI19rocblas_complex_numIfEPS3_EEviiT0_iil13rocblas_fill_,"axG",@progbits,_ZN9rocsolver6v33100L8set_zeroI19rocblas_complex_numIfEPS3_EEviiT0_iil13rocblas_fill_,comdat
	.globl	_ZN9rocsolver6v33100L8set_zeroI19rocblas_complex_numIfEPS3_EEviiT0_iil13rocblas_fill_ ; -- Begin function _ZN9rocsolver6v33100L8set_zeroI19rocblas_complex_numIfEPS3_EEviiT0_iil13rocblas_fill_
	.p2align	8
	.type	_ZN9rocsolver6v33100L8set_zeroI19rocblas_complex_numIfEPS3_EEviiT0_iil13rocblas_fill_,@function
_ZN9rocsolver6v33100L8set_zeroI19rocblas_complex_numIfEPS3_EEviiT0_iil13rocblas_fill_: ; @_ZN9rocsolver6v33100L8set_zeroI19rocblas_complex_numIfEPS3_EEviiT0_iil13rocblas_fill_
; %bb.0:
	s_load_dword s2, s[4:5], 0x34
	s_load_dwordx2 s[0:1], s[4:5], 0x0
	v_and_b32_e32 v1, 0x3ff, v0
	v_bfe_u32 v0, v0, 10, 10
	s_waitcnt lgkmcnt(0)
	s_lshr_b32 s3, s2, 16
	s_and_b32 s2, s2, 0xffff
	s_mul_i32 s6, s6, s2
	s_mul_i32 s7, s7, s3
	v_add_u32_e32 v2, s6, v1
	v_add_u32_e32 v0, s7, v0
	v_cmp_gt_u32_e32 vcc, s0, v2
	v_cmp_gt_u32_e64 s[0:1], s1, v0
	s_and_b64 s[0:1], vcc, s[0:1]
	s_and_saveexec_b64 s[2:3], s[0:1]
	s_cbranch_execz .LBB147_12
; %bb.1:
	s_load_dword s6, s[4:5], 0x20
	s_waitcnt lgkmcnt(0)
	s_cmpk_lt_i32 s6, 0x7a
	s_cbranch_scc1 .LBB147_4
; %bb.2:
	s_cmpk_gt_i32 s6, 0x7a
	s_cbranch_scc0 .LBB147_5
; %bb.3:
	s_cmpk_eq_i32 s6, 0x7b
	s_cselect_b64 s[0:1], -1, 0
	s_cbranch_execz .LBB147_6
	s_branch .LBB147_7
.LBB147_4:
	s_mov_b64 s[0:1], 0
	s_cbranch_execnz .LBB147_8
	s_branch .LBB147_10
.LBB147_5:
	s_mov_b64 s[0:1], 0
.LBB147_6:
	v_cmp_gt_u32_e32 vcc, v0, v2
	s_andn2_b64 s[0:1], s[0:1], exec
	s_and_b64 s[2:3], vcc, exec
	s_or_b64 s[0:1], s[0:1], s[2:3]
.LBB147_7:
	s_branch .LBB147_10
.LBB147_8:
	s_cmpk_eq_i32 s6, 0x79
	s_cbranch_scc0 .LBB147_10
; %bb.9:
	v_cmp_gt_u32_e32 vcc, v2, v0
	s_andn2_b64 s[0:1], s[0:1], exec
	s_and_b64 s[2:3], vcc, exec
	s_or_b64 s[0:1], s[0:1], s[2:3]
.LBB147_10:
	s_and_b64 exec, exec, s[0:1]
	s_cbranch_execz .LBB147_12
; %bb.11:
	s_load_dwordx4 s[0:3], s[4:5], 0x8
	s_load_dwordx2 s[6:7], s[4:5], 0x18
	s_waitcnt lgkmcnt(0)
	s_ashr_i32 s5, s2, 31
	s_mov_b32 s4, s2
	s_mul_i32 s2, s8, s7
	s_mul_hi_u32 s7, s8, s6
	s_add_i32 s7, s7, s2
	s_mul_i32 s6, s8, s6
	s_lshl_b64 s[6:7], s[6:7], 3
	s_add_u32 s2, s0, s6
	s_addc_u32 s6, s1, s7
	s_lshl_b64 s[0:1], s[4:5], 3
	s_add_u32 s2, s2, s0
	s_addc_u32 s4, s6, s1
	v_mad_u64_u32 v[0:1], s[0:1], v0, s3, v[2:3]
	v_mov_b32_e32 v1, 0
	v_lshlrev_b64 v[2:3], 3, v[0:1]
	v_mov_b32_e32 v0, s4
	v_add_co_u32_e32 v2, vcc, s2, v2
	v_addc_co_u32_e32 v3, vcc, v0, v3, vcc
	v_mov_b32_e32 v0, v1
	global_store_dwordx2 v[2:3], v[0:1], off
.LBB147_12:
	s_endpgm
	.section	.rodata,"a",@progbits
	.p2align	6, 0x0
	.amdhsa_kernel _ZN9rocsolver6v33100L8set_zeroI19rocblas_complex_numIfEPS3_EEviiT0_iil13rocblas_fill_
		.amdhsa_group_segment_fixed_size 0
		.amdhsa_private_segment_fixed_size 0
		.amdhsa_kernarg_size 296
		.amdhsa_user_sgpr_count 6
		.amdhsa_user_sgpr_private_segment_buffer 1
		.amdhsa_user_sgpr_dispatch_ptr 0
		.amdhsa_user_sgpr_queue_ptr 0
		.amdhsa_user_sgpr_kernarg_segment_ptr 1
		.amdhsa_user_sgpr_dispatch_id 0
		.amdhsa_user_sgpr_flat_scratch_init 0
		.amdhsa_user_sgpr_kernarg_preload_length 0
		.amdhsa_user_sgpr_kernarg_preload_offset 0
		.amdhsa_user_sgpr_private_segment_size 0
		.amdhsa_uses_dynamic_stack 0
		.amdhsa_system_sgpr_private_segment_wavefront_offset 0
		.amdhsa_system_sgpr_workgroup_id_x 1
		.amdhsa_system_sgpr_workgroup_id_y 1
		.amdhsa_system_sgpr_workgroup_id_z 1
		.amdhsa_system_sgpr_workgroup_info 0
		.amdhsa_system_vgpr_workitem_id 1
		.amdhsa_next_free_vgpr 4
		.amdhsa_next_free_sgpr 9
		.amdhsa_accum_offset 4
		.amdhsa_reserve_vcc 1
		.amdhsa_reserve_flat_scratch 0
		.amdhsa_float_round_mode_32 0
		.amdhsa_float_round_mode_16_64 0
		.amdhsa_float_denorm_mode_32 3
		.amdhsa_float_denorm_mode_16_64 3
		.amdhsa_dx10_clamp 1
		.amdhsa_ieee_mode 1
		.amdhsa_fp16_overflow 0
		.amdhsa_tg_split 0
		.amdhsa_exception_fp_ieee_invalid_op 0
		.amdhsa_exception_fp_denorm_src 0
		.amdhsa_exception_fp_ieee_div_zero 0
		.amdhsa_exception_fp_ieee_overflow 0
		.amdhsa_exception_fp_ieee_underflow 0
		.amdhsa_exception_fp_ieee_inexact 0
		.amdhsa_exception_int_div_zero 0
	.end_amdhsa_kernel
	.section	.text._ZN9rocsolver6v33100L8set_zeroI19rocblas_complex_numIfEPS3_EEviiT0_iil13rocblas_fill_,"axG",@progbits,_ZN9rocsolver6v33100L8set_zeroI19rocblas_complex_numIfEPS3_EEviiT0_iil13rocblas_fill_,comdat
.Lfunc_end147:
	.size	_ZN9rocsolver6v33100L8set_zeroI19rocblas_complex_numIfEPS3_EEviiT0_iil13rocblas_fill_, .Lfunc_end147-_ZN9rocsolver6v33100L8set_zeroI19rocblas_complex_numIfEPS3_EEviiT0_iil13rocblas_fill_
                                        ; -- End function
	.section	.AMDGPU.csdata,"",@progbits
; Kernel info:
; codeLenInByte = 316
; NumSgprs: 13
; NumVgprs: 4
; NumAgprs: 0
; TotalNumVgprs: 4
; ScratchSize: 0
; MemoryBound: 0
; FloatMode: 240
; IeeeMode: 1
; LDSByteSize: 0 bytes/workgroup (compile time only)
; SGPRBlocks: 1
; VGPRBlocks: 0
; NumSGPRsForWavesPerEU: 13
; NumVGPRsForWavesPerEU: 4
; AccumOffset: 4
; Occupancy: 8
; WaveLimiterHint : 0
; COMPUTE_PGM_RSRC2:SCRATCH_EN: 0
; COMPUTE_PGM_RSRC2:USER_SGPR: 6
; COMPUTE_PGM_RSRC2:TRAP_HANDLER: 0
; COMPUTE_PGM_RSRC2:TGID_X_EN: 1
; COMPUTE_PGM_RSRC2:TGID_Y_EN: 1
; COMPUTE_PGM_RSRC2:TGID_Z_EN: 1
; COMPUTE_PGM_RSRC2:TIDIG_COMP_CNT: 1
; COMPUTE_PGM_RSRC3_GFX90A:ACCUM_OFFSET: 0
; COMPUTE_PGM_RSRC3_GFX90A:TG_SPLIT: 0
	.section	.text._ZN9rocsolver6v33100L8copy_matI19rocblas_complex_numIfEfLb1EPS3_TnNSt9enable_ifIX18rocblas_is_complexIT_EEiE4typeELi0EEEvNS0_17copymat_directionEiiT2_iilPT0_13rocblas_fill_17rocblas_diagonal_,"axG",@progbits,_ZN9rocsolver6v33100L8copy_matI19rocblas_complex_numIfEfLb1EPS3_TnNSt9enable_ifIX18rocblas_is_complexIT_EEiE4typeELi0EEEvNS0_17copymat_directionEiiT2_iilPT0_13rocblas_fill_17rocblas_diagonal_,comdat
	.globl	_ZN9rocsolver6v33100L8copy_matI19rocblas_complex_numIfEfLb1EPS3_TnNSt9enable_ifIX18rocblas_is_complexIT_EEiE4typeELi0EEEvNS0_17copymat_directionEiiT2_iilPT0_13rocblas_fill_17rocblas_diagonal_ ; -- Begin function _ZN9rocsolver6v33100L8copy_matI19rocblas_complex_numIfEfLb1EPS3_TnNSt9enable_ifIX18rocblas_is_complexIT_EEiE4typeELi0EEEvNS0_17copymat_directionEiiT2_iilPT0_13rocblas_fill_17rocblas_diagonal_
	.p2align	8
	.type	_ZN9rocsolver6v33100L8copy_matI19rocblas_complex_numIfEfLb1EPS3_TnNSt9enable_ifIX18rocblas_is_complexIT_EEiE4typeELi0EEEvNS0_17copymat_directionEiiT2_iilPT0_13rocblas_fill_17rocblas_diagonal_,@function
_ZN9rocsolver6v33100L8copy_matI19rocblas_complex_numIfEfLb1EPS3_TnNSt9enable_ifIX18rocblas_is_complexIT_EEiE4typeELi0EEEvNS0_17copymat_directionEiiT2_iilPT0_13rocblas_fill_17rocblas_diagonal_: ; @_ZN9rocsolver6v33100L8copy_matI19rocblas_complex_numIfEfLb1EPS3_TnNSt9enable_ifIX18rocblas_is_complexIT_EEiE4typeELi0EEEvNS0_17copymat_directionEiiT2_iilPT0_13rocblas_fill_17rocblas_diagonal_
; %bb.0:
	s_load_dwordx4 s[12:15], s[4:5], 0x0
	s_load_dword s0, s[4:5], 0x44
	v_bfe_u32 v1, v0, 10, 10
	v_and_b32_e32 v0, 0x3ff, v0
	s_waitcnt lgkmcnt(0)
	s_lshr_b32 s1, s0, 16
	s_and_b32 s0, s0, 0xffff
	s_mul_i32 s7, s7, s1
	s_mul_i32 s6, s6, s0
	v_add_u32_e32 v1, s7, v1
	v_add_u32_e32 v0, s6, v0
	v_cmp_gt_u32_e32 vcc, s13, v0
	v_cmp_gt_u32_e64 s[0:1], s14, v1
	s_and_b64 s[0:1], s[0:1], vcc
	s_and_saveexec_b64 s[2:3], s[0:1]
	s_cbranch_execz .LBB148_16
; %bb.1:
	s_load_dwordx2 s[2:3], s[4:5], 0x30
	s_mov_b32 s9, s13
	s_waitcnt lgkmcnt(0)
	s_cmpk_lt_i32 s2, 0x7a
	s_cbranch_scc1 .LBB148_4
; %bb.2:
	s_cmpk_gt_i32 s2, 0x7a
	s_cbranch_scc0 .LBB148_5
; %bb.3:
	s_cmpk_lg_i32 s2, 0x7b
	s_mov_b64 s[6:7], -1
	s_cselect_b64 s[10:11], -1, 0
	s_cbranch_execz .LBB148_6
	s_branch .LBB148_7
.LBB148_4:
	s_mov_b64 s[10:11], 0
	s_mov_b64 s[6:7], 0
	s_cbranch_execnz .LBB148_8
	s_branch .LBB148_10
.LBB148_5:
	s_mov_b64 s[6:7], 0
	s_mov_b64 s[10:11], 0
.LBB148_6:
	v_cmp_gt_u32_e32 vcc, v0, v1
	v_cmp_le_u32_e64 s[0:1], v0, v1
	s_andn2_b64 s[6:7], s[6:7], exec
	s_and_b64 s[16:17], vcc, exec
	s_andn2_b64 s[10:11], s[10:11], exec
	s_and_b64 s[0:1], s[0:1], exec
	s_or_b64 s[6:7], s[6:7], s[16:17]
	s_or_b64 s[10:11], s[10:11], s[0:1]
.LBB148_7:
	s_branch .LBB148_10
.LBB148_8:
	s_cmpk_eq_i32 s2, 0x79
	s_mov_b64 s[10:11], -1
	s_cbranch_scc0 .LBB148_10
; %bb.9:
	v_cmp_gt_u32_e32 vcc, v1, v0
	v_cmp_le_u32_e64 s[0:1], v1, v0
	s_andn2_b64 s[6:7], s[6:7], exec
	s_and_b64 s[10:11], vcc, exec
	s_or_b64 s[6:7], s[6:7], s[10:11]
	s_orn2_b64 s[10:11], s[0:1], exec
.LBB148_10:
	s_and_saveexec_b64 s[0:1], s[10:11]
; %bb.11:
	s_cmpk_eq_i32 s3, 0x83
	s_cselect_b64 s[2:3], -1, 0
	v_cmp_eq_u32_e32 vcc, v0, v1
	s_and_b64 s[2:3], s[2:3], vcc
	s_andn2_b64 s[6:7], s[6:7], exec
	s_and_b64 s[2:3], s[2:3], exec
	s_or_b64 s[6:7], s[6:7], s[2:3]
; %bb.12:
	s_or_b64 exec, exec, s[0:1]
	s_and_b64 exec, exec, s[6:7]
	s_cbranch_execz .LBB148_16
; %bb.13:
	s_load_dwordx8 s[0:7], s[4:5], 0x10
	s_ashr_i32 s15, s13, 31
	s_ashr_i32 s16, s14, 31
	s_mul_i32 s15, s15, s8
	s_waitcnt lgkmcnt(0)
	s_ashr_i32 s11, s2, 31
	s_mov_b32 s10, s2
	s_mul_i32 s2, s8, s5
	s_mul_hi_u32 s5, s8, s4
	s_add_i32 s5, s5, s2
	s_mul_i32 s4, s8, s4
	s_lshl_b64 s[4:5], s[4:5], 3
	s_add_u32 s2, s0, s4
	s_addc_u32 s4, s1, s5
	s_lshl_b64 s[0:1], s[10:11], 3
	s_add_u32 s2, s2, s0
	s_mul_hi_u32 s0, s13, s8
	s_mul_i32 s5, s13, s8
	s_addc_u32 s4, s4, s1
	s_add_i32 s0, s0, s15
	s_mul_i32 s1, s5, s16
	s_mul_hi_u32 s8, s5, s14
	s_add_i32 s1, s8, s1
	s_mul_i32 s0, s0, s14
	s_add_i32 s1, s1, s0
	s_mul_i32 s0, s5, s14
	s_lshl_b64 s[0:1], s[0:1], 2
	s_add_u32 s5, s6, s0
	s_addc_u32 s6, s7, s1
	s_cmp_lg_u32 s12, 0
	s_cbranch_scc0 .LBB148_17
; %bb.14:
	v_mad_u64_u32 v[2:3], s[0:1], v1, s9, v[0:1]
	v_mov_b32_e32 v3, 0
	v_lshlrev_b64 v[4:5], 2, v[2:3]
	v_mov_b32_e32 v2, s6
	v_add_co_u32_e32 v4, vcc, s5, v4
	v_addc_co_u32_e32 v5, vcc, v2, v5, vcc
	global_load_dword v6, v[4:5], off
	v_mad_u64_u32 v[4:5], s[0:1], v1, s3, v[0:1]
	v_mov_b32_e32 v5, v3
	v_lshlrev_b64 v[2:3], 3, v[4:5]
	v_mov_b32_e32 v7, s4
	v_add_co_u32_e32 v2, vcc, s2, v2
	v_addc_co_u32_e32 v3, vcc, v7, v3, vcc
	s_waitcnt vmcnt(0)
	global_store_dword v[2:3], v6, off
	s_cbranch_execnz .LBB148_16
.LBB148_15:
	v_mad_u64_u32 v[2:3], s[0:1], v1, s3, v[0:1]
	v_mov_b32_e32 v3, 0
	v_lshlrev_b64 v[4:5], 3, v[2:3]
	v_mov_b32_e32 v2, s4
	v_add_co_u32_e32 v4, vcc, s2, v4
	v_addc_co_u32_e32 v5, vcc, v2, v5, vcc
	global_load_dword v2, v[4:5], off
	v_mad_u64_u32 v[0:1], s[0:1], v1, s9, v[0:1]
	v_mov_b32_e32 v1, v3
	v_lshlrev_b64 v[0:1], 2, v[0:1]
	v_mov_b32_e32 v3, s6
	v_add_co_u32_e32 v0, vcc, s5, v0
	v_addc_co_u32_e32 v1, vcc, v3, v1, vcc
	s_waitcnt vmcnt(0)
	global_store_dword v[0:1], v2, off
.LBB148_16:
	s_endpgm
.LBB148_17:
	s_branch .LBB148_15
	.section	.rodata,"a",@progbits
	.p2align	6, 0x0
	.amdhsa_kernel _ZN9rocsolver6v33100L8copy_matI19rocblas_complex_numIfEfLb1EPS3_TnNSt9enable_ifIX18rocblas_is_complexIT_EEiE4typeELi0EEEvNS0_17copymat_directionEiiT2_iilPT0_13rocblas_fill_17rocblas_diagonal_
		.amdhsa_group_segment_fixed_size 0
		.amdhsa_private_segment_fixed_size 0
		.amdhsa_kernarg_size 312
		.amdhsa_user_sgpr_count 6
		.amdhsa_user_sgpr_private_segment_buffer 1
		.amdhsa_user_sgpr_dispatch_ptr 0
		.amdhsa_user_sgpr_queue_ptr 0
		.amdhsa_user_sgpr_kernarg_segment_ptr 1
		.amdhsa_user_sgpr_dispatch_id 0
		.amdhsa_user_sgpr_flat_scratch_init 0
		.amdhsa_user_sgpr_kernarg_preload_length 0
		.amdhsa_user_sgpr_kernarg_preload_offset 0
		.amdhsa_user_sgpr_private_segment_size 0
		.amdhsa_uses_dynamic_stack 0
		.amdhsa_system_sgpr_private_segment_wavefront_offset 0
		.amdhsa_system_sgpr_workgroup_id_x 1
		.amdhsa_system_sgpr_workgroup_id_y 1
		.amdhsa_system_sgpr_workgroup_id_z 1
		.amdhsa_system_sgpr_workgroup_info 0
		.amdhsa_system_vgpr_workitem_id 1
		.amdhsa_next_free_vgpr 8
		.amdhsa_next_free_sgpr 18
		.amdhsa_accum_offset 8
		.amdhsa_reserve_vcc 1
		.amdhsa_reserve_flat_scratch 0
		.amdhsa_float_round_mode_32 0
		.amdhsa_float_round_mode_16_64 0
		.amdhsa_float_denorm_mode_32 3
		.amdhsa_float_denorm_mode_16_64 3
		.amdhsa_dx10_clamp 1
		.amdhsa_ieee_mode 1
		.amdhsa_fp16_overflow 0
		.amdhsa_tg_split 0
		.amdhsa_exception_fp_ieee_invalid_op 0
		.amdhsa_exception_fp_denorm_src 0
		.amdhsa_exception_fp_ieee_div_zero 0
		.amdhsa_exception_fp_ieee_overflow 0
		.amdhsa_exception_fp_ieee_underflow 0
		.amdhsa_exception_fp_ieee_inexact 0
		.amdhsa_exception_int_div_zero 0
	.end_amdhsa_kernel
	.section	.text._ZN9rocsolver6v33100L8copy_matI19rocblas_complex_numIfEfLb1EPS3_TnNSt9enable_ifIX18rocblas_is_complexIT_EEiE4typeELi0EEEvNS0_17copymat_directionEiiT2_iilPT0_13rocblas_fill_17rocblas_diagonal_,"axG",@progbits,_ZN9rocsolver6v33100L8copy_matI19rocblas_complex_numIfEfLb1EPS3_TnNSt9enable_ifIX18rocblas_is_complexIT_EEiE4typeELi0EEEvNS0_17copymat_directionEiiT2_iilPT0_13rocblas_fill_17rocblas_diagonal_,comdat
.Lfunc_end148:
	.size	_ZN9rocsolver6v33100L8copy_matI19rocblas_complex_numIfEfLb1EPS3_TnNSt9enable_ifIX18rocblas_is_complexIT_EEiE4typeELi0EEEvNS0_17copymat_directionEiiT2_iilPT0_13rocblas_fill_17rocblas_diagonal_, .Lfunc_end148-_ZN9rocsolver6v33100L8copy_matI19rocblas_complex_numIfEfLb1EPS3_TnNSt9enable_ifIX18rocblas_is_complexIT_EEiE4typeELi0EEEvNS0_17copymat_directionEiiT2_iilPT0_13rocblas_fill_17rocblas_diagonal_
                                        ; -- End function
	.section	.AMDGPU.csdata,"",@progbits
; Kernel info:
; codeLenInByte = 596
; NumSgprs: 22
; NumVgprs: 8
; NumAgprs: 0
; TotalNumVgprs: 8
; ScratchSize: 0
; MemoryBound: 0
; FloatMode: 240
; IeeeMode: 1
; LDSByteSize: 0 bytes/workgroup (compile time only)
; SGPRBlocks: 2
; VGPRBlocks: 0
; NumSGPRsForWavesPerEU: 22
; NumVGPRsForWavesPerEU: 8
; AccumOffset: 8
; Occupancy: 8
; WaveLimiterHint : 0
; COMPUTE_PGM_RSRC2:SCRATCH_EN: 0
; COMPUTE_PGM_RSRC2:USER_SGPR: 6
; COMPUTE_PGM_RSRC2:TRAP_HANDLER: 0
; COMPUTE_PGM_RSRC2:TGID_X_EN: 1
; COMPUTE_PGM_RSRC2:TGID_Y_EN: 1
; COMPUTE_PGM_RSRC2:TGID_Z_EN: 1
; COMPUTE_PGM_RSRC2:TIDIG_COMP_CNT: 1
; COMPUTE_PGM_RSRC3_GFX90A:ACCUM_OFFSET: 1
; COMPUTE_PGM_RSRC3_GFX90A:TG_SPLIT: 0
	.section	.text._ZN9rocsolver6v33100L11stedc_copyCI19rocblas_complex_numIfEPS3_S4_EEviT0_iilT1_iil,"axG",@progbits,_ZN9rocsolver6v33100L11stedc_copyCI19rocblas_complex_numIfEPS3_S4_EEviT0_iilT1_iil,comdat
	.globl	_ZN9rocsolver6v33100L11stedc_copyCI19rocblas_complex_numIfEPS3_S4_EEviT0_iilT1_iil ; -- Begin function _ZN9rocsolver6v33100L11stedc_copyCI19rocblas_complex_numIfEPS3_S4_EEviT0_iilT1_iil
	.p2align	8
	.type	_ZN9rocsolver6v33100L11stedc_copyCI19rocblas_complex_numIfEPS3_S4_EEviT0_iilT1_iil,@function
_ZN9rocsolver6v33100L11stedc_copyCI19rocblas_complex_numIfEPS3_S4_EEviT0_iilT1_iil: ; @_ZN9rocsolver6v33100L11stedc_copyCI19rocblas_complex_numIfEPS3_S4_EEviT0_iilT1_iil
; %bb.0:
	s_load_dword s0, s[4:5], 0x44
	s_load_dword s37, s[4:5], 0x0
	s_waitcnt lgkmcnt(0)
	s_and_b32 s33, s0, 0xffff
	s_lshl_b32 s36, s33, 4
	v_cvt_f32_u32_e32 v1, s36
	s_sub_i32 s2, 0, s36
	s_add_i32 s0, s37, -1
	s_ashr_i32 s1, s0, 31
	v_rcp_iflag_f32_e32 v1, v1
	s_abs_i32 s0, s0
	v_mul_f32_e32 v1, 0x4f7ffffe, v1
	v_cvt_u32_f32_e32 v1, v1
	v_readfirstlane_b32 s3, v1
	s_mul_i32 s2, s2, s3
	s_mul_hi_u32 s2, s3, s2
	s_add_i32 s3, s3, s2
	s_mul_hi_u32 s2, s0, s3
	s_mul_i32 s3, s2, s36
	s_sub_i32 s0, s0, s3
	s_add_i32 s8, s2, 1
	s_sub_i32 s3, s0, s36
	s_cmp_ge_u32 s0, s36
	s_cselect_b32 s2, s8, s2
	s_cselect_b32 s0, s3, s0
	s_add_i32 s3, s2, 1
	s_cmp_ge_u32 s0, s36
	s_cselect_b32 s0, s3, s2
	s_xor_b32 s0, s0, s1
	s_sub_i32 s16, s0, s1
	s_cmp_lt_i32 s16, 0
	s_cbranch_scc1 .LBB149_67
; %bb.1:
	s_load_dwordx8 s[8:15], s[4:5], 0x8
	s_load_dwordx4 s[0:3], s[4:5], 0x28
	s_ashr_i32 s17, s7, 31
	s_mul_i32 s44, s33, 3
	s_mul_i32 s46, s33, 5
	s_waitcnt lgkmcnt(0)
	s_ashr_i32 s5, s10, 31
	s_mov_b32 s4, s10
	s_mul_i32 s10, s7, s13
	s_mul_hi_u32 s13, s7, s12
	s_add_i32 s10, s13, s10
	s_mul_i32 s13, s17, s12
	s_add_i32 s13, s10, s13
	s_mul_i32 s12, s7, s12
	s_lshl_b64 s[12:13], s[12:13], 3
	s_add_u32 s8, s8, s12
	s_addc_u32 s9, s9, s13
	s_lshl_b64 s[4:5], s[4:5], 3
	s_add_u32 s8, s8, s4
	s_addc_u32 s9, s9, s5
	s_ashr_i32 s5, s0, 31
	s_mov_b32 s4, s0
	s_mul_i32 s0, s7, s3
	s_mul_hi_u32 s3, s7, s2
	s_add_i32 s0, s3, s0
	s_mul_i32 s17, s17, s2
	s_add_i32 s3, s0, s17
	s_mul_i32 s2, s7, s2
	s_lshl_b64 s[2:3], s[2:3], 3
	s_add_u32 s0, s14, s2
	s_addc_u32 s7, s15, s3
	s_lshl_b64 s[2:3], s[4:5], 3
	s_add_u32 s4, s0, s2
	s_mul_i32 s2, s6, s11
	s_addc_u32 s5, s7, s3
	s_ashr_i32 s3, s2, 31
	s_lshl_b64 s[2:3], s[2:3], 3
	s_add_u32 s38, s8, s2
	s_mul_i32 s0, s6, s1
	s_addc_u32 s39, s9, s3
	s_ashr_i32 s1, s0, 31
	s_lshl_b64 s[0:1], s[0:1], 3
	s_add_u32 s40, s4, s0
	s_addc_u32 s41, s5, s1
	s_add_i32 s42, s16, 1
	s_lshl_b32 s43, s33, 1
	s_lshl_b32 s45, s33, 2
	s_mul_i32 s47, s33, 6
	s_mul_i32 s48, s33, 7
	s_lshl_b32 s49, s33, 3
	s_mul_i32 s50, s33, 9
	s_mul_i32 s51, s33, 10
	;; [unrolled: 1-line block ×7, first 2 shown]
                                        ; implicit-def: $vgpr2_vgpr3
                                        ; implicit-def: $vgpr4_vgpr5
                                        ; implicit-def: $vgpr6_vgpr7
                                        ; implicit-def: $vgpr8_vgpr9
                                        ; implicit-def: $vgpr10_vgpr11
                                        ; implicit-def: $vgpr12_vgpr13
                                        ; implicit-def: $vgpr14_vgpr15
                                        ; implicit-def: $vgpr16_vgpr17
                                        ; implicit-def: $vgpr18_vgpr19
                                        ; implicit-def: $vgpr20_vgpr21
                                        ; implicit-def: $vgpr22_vgpr23
                                        ; implicit-def: $vgpr24_vgpr25
                                        ; implicit-def: $vgpr26_vgpr27
                                        ; implicit-def: $vgpr28_vgpr29
                                        ; implicit-def: $vgpr30_vgpr31
                                        ; implicit-def: $vgpr32_vgpr33
	s_branch .LBB149_3
.LBB149_2:                              ;   in Loop: Header=BB149_3 Depth=1
	s_or_b64 exec, exec, s[0:1]
	s_add_i32 s42, s42, -1
	s_cmp_eq_u32 s42, 0
	v_add_u32_e32 v0, s36, v0
	s_cbranch_scc1 .LBB149_67
.LBB149_3:                              ; =>This Inner Loop Header: Depth=1
	v_cmp_gt_i32_e32 vcc, s37, v0
	v_ashrrev_i32_e32 v1, 31, v0
	s_and_saveexec_b64 s[2:3], vcc
	s_cbranch_execz .LBB149_5
; %bb.4:                                ;   in Loop: Header=BB149_3 Depth=1
	s_waitcnt vmcnt(0)
	v_lshlrev_b64 v[32:33], 3, v[0:1]
	v_mov_b32_e32 v34, s39
	v_add_co_u32_e64 v32, s[0:1], s38, v32
	v_addc_co_u32_e64 v33, s[0:1], v34, v33, s[0:1]
	global_load_dwordx2 v[32:33], v[32:33], off
.LBB149_5:                              ;   in Loop: Header=BB149_3 Depth=1
	s_or_b64 exec, exec, s[2:3]
	v_add_u32_e32 v34, s33, v0
	v_cmp_gt_i32_e64 s[0:1], s37, v34
	v_ashrrev_i32_e32 v35, 31, v34
	s_and_saveexec_b64 s[4:5], s[0:1]
	s_cbranch_execz .LBB149_7
; %bb.6:                                ;   in Loop: Header=BB149_3 Depth=1
	s_waitcnt vmcnt(0)
	v_lshlrev_b64 v[30:31], 3, v[34:35]
	v_mov_b32_e32 v36, s39
	v_add_co_u32_e64 v30, s[2:3], s38, v30
	v_addc_co_u32_e64 v31, s[2:3], v36, v31, s[2:3]
	global_load_dwordx2 v[30:31], v[30:31], off
.LBB149_7:                              ;   in Loop: Header=BB149_3 Depth=1
	s_or_b64 exec, exec, s[4:5]
	v_add_u32_e32 v36, s43, v0
	v_add_u32_e32 v39, s33, v34
	v_cmp_gt_i32_e64 s[2:3], s37, v39
	v_ashrrev_i32_e32 v37, 31, v36
	s_and_saveexec_b64 s[6:7], s[2:3]
	s_cbranch_execz .LBB149_9
; %bb.8:                                ;   in Loop: Header=BB149_3 Depth=1
	s_waitcnt vmcnt(0)
	v_lshlrev_b64 v[28:29], 3, v[36:37]
	v_mov_b32_e32 v38, s39
	v_add_co_u32_e64 v28, s[4:5], s38, v28
	v_addc_co_u32_e64 v29, s[4:5], v38, v29, s[4:5]
	global_load_dwordx2 v[28:29], v[28:29], off
.LBB149_9:                              ;   in Loop: Header=BB149_3 Depth=1
	s_or_b64 exec, exec, s[6:7]
	v_add_u32_e32 v38, s44, v0
	v_add_u32_e32 v41, s33, v39
	v_cmp_gt_i32_e64 s[4:5], s37, v41
	v_ashrrev_i32_e32 v39, 31, v38
	s_and_saveexec_b64 s[8:9], s[4:5]
	s_cbranch_execz .LBB149_11
; %bb.10:                               ;   in Loop: Header=BB149_3 Depth=1
	s_waitcnt vmcnt(0)
	v_lshlrev_b64 v[26:27], 3, v[38:39]
	v_mov_b32_e32 v40, s39
	v_add_co_u32_e64 v26, s[6:7], s38, v26
	v_addc_co_u32_e64 v27, s[6:7], v40, v27, s[6:7]
	global_load_dwordx2 v[26:27], v[26:27], off
.LBB149_11:                             ;   in Loop: Header=BB149_3 Depth=1
	s_or_b64 exec, exec, s[8:9]
	v_add_u32_e32 v40, s45, v0
	v_add_u32_e32 v43, s33, v41
	v_cmp_gt_i32_e64 s[6:7], s37, v43
	v_ashrrev_i32_e32 v41, 31, v40
	s_and_saveexec_b64 s[10:11], s[6:7]
	s_cbranch_execz .LBB149_13
; %bb.12:                               ;   in Loop: Header=BB149_3 Depth=1
	s_waitcnt vmcnt(0)
	v_lshlrev_b64 v[24:25], 3, v[40:41]
	v_mov_b32_e32 v42, s39
	v_add_co_u32_e64 v24, s[8:9], s38, v24
	v_addc_co_u32_e64 v25, s[8:9], v42, v25, s[8:9]
	global_load_dwordx2 v[24:25], v[24:25], off
.LBB149_13:                             ;   in Loop: Header=BB149_3 Depth=1
	;; [unrolled: 15-line block ×12, first 2 shown]
	s_or_b64 exec, exec, s[30:31]
	v_add_u32_e32 v62, s56, v0
	v_add_u32_e32 v63, s33, v63
	v_cmp_gt_i32_e64 s[28:29], s37, v63
	v_ashrrev_i32_e32 v63, 31, v62
	s_and_saveexec_b64 s[34:35], s[28:29]
	s_cbranch_execnz .LBB149_50
; %bb.34:                               ;   in Loop: Header=BB149_3 Depth=1
	s_or_b64 exec, exec, s[34:35]
	s_and_saveexec_b64 s[30:31], vcc
	s_cbranch_execnz .LBB149_51
.LBB149_35:                             ;   in Loop: Header=BB149_3 Depth=1
	s_or_b64 exec, exec, s[30:31]
	s_and_saveexec_b64 s[30:31], s[0:1]
	s_cbranch_execnz .LBB149_52
.LBB149_36:                             ;   in Loop: Header=BB149_3 Depth=1
	s_or_b64 exec, exec, s[30:31]
	s_and_saveexec_b64 s[0:1], s[2:3]
	s_cbranch_execnz .LBB149_53
.LBB149_37:                             ;   in Loop: Header=BB149_3 Depth=1
	s_or_b64 exec, exec, s[0:1]
	s_and_saveexec_b64 s[0:1], s[4:5]
	s_cbranch_execnz .LBB149_54
.LBB149_38:                             ;   in Loop: Header=BB149_3 Depth=1
	s_or_b64 exec, exec, s[0:1]
	s_and_saveexec_b64 s[0:1], s[6:7]
	s_cbranch_execnz .LBB149_55
.LBB149_39:                             ;   in Loop: Header=BB149_3 Depth=1
	s_or_b64 exec, exec, s[0:1]
	s_and_saveexec_b64 s[0:1], s[8:9]
	s_cbranch_execnz .LBB149_56
.LBB149_40:                             ;   in Loop: Header=BB149_3 Depth=1
	s_or_b64 exec, exec, s[0:1]
	s_and_saveexec_b64 s[0:1], s[10:11]
	s_cbranch_execnz .LBB149_57
.LBB149_41:                             ;   in Loop: Header=BB149_3 Depth=1
	s_or_b64 exec, exec, s[0:1]
	s_and_saveexec_b64 s[0:1], s[12:13]
	s_cbranch_execnz .LBB149_58
.LBB149_42:                             ;   in Loop: Header=BB149_3 Depth=1
	s_or_b64 exec, exec, s[0:1]
	s_and_saveexec_b64 s[0:1], s[14:15]
	s_cbranch_execnz .LBB149_59
.LBB149_43:                             ;   in Loop: Header=BB149_3 Depth=1
	s_or_b64 exec, exec, s[0:1]
	s_and_saveexec_b64 s[0:1], s[16:17]
	s_cbranch_execnz .LBB149_60
.LBB149_44:                             ;   in Loop: Header=BB149_3 Depth=1
	s_or_b64 exec, exec, s[0:1]
	s_and_saveexec_b64 s[0:1], s[18:19]
	s_cbranch_execnz .LBB149_61
.LBB149_45:                             ;   in Loop: Header=BB149_3 Depth=1
	s_or_b64 exec, exec, s[0:1]
	s_and_saveexec_b64 s[0:1], s[20:21]
	s_cbranch_execnz .LBB149_62
.LBB149_46:                             ;   in Loop: Header=BB149_3 Depth=1
	s_or_b64 exec, exec, s[0:1]
	s_and_saveexec_b64 s[0:1], s[22:23]
	s_cbranch_execnz .LBB149_63
.LBB149_47:                             ;   in Loop: Header=BB149_3 Depth=1
	s_or_b64 exec, exec, s[0:1]
	s_and_saveexec_b64 s[0:1], s[24:25]
	s_cbranch_execnz .LBB149_64
.LBB149_48:                             ;   in Loop: Header=BB149_3 Depth=1
	s_or_b64 exec, exec, s[0:1]
	s_and_saveexec_b64 s[0:1], s[26:27]
	s_cbranch_execnz .LBB149_65
.LBB149_49:                             ;   in Loop: Header=BB149_3 Depth=1
	s_or_b64 exec, exec, s[0:1]
	s_and_saveexec_b64 s[0:1], s[28:29]
	s_cbranch_execz .LBB149_2
	s_branch .LBB149_66
.LBB149_50:                             ;   in Loop: Header=BB149_3 Depth=1
	s_waitcnt vmcnt(0)
	v_lshlrev_b64 v[2:3], 3, v[62:63]
	v_mov_b32_e32 v64, s39
	v_add_co_u32_e64 v2, s[30:31], s38, v2
	v_addc_co_u32_e64 v3, s[30:31], v64, v3, s[30:31]
	global_load_dwordx2 v[2:3], v[2:3], off
	s_or_b64 exec, exec, s[34:35]
	s_and_saveexec_b64 s[30:31], vcc
	s_cbranch_execz .LBB149_35
.LBB149_51:                             ;   in Loop: Header=BB149_3 Depth=1
	v_lshlrev_b64 v[64:65], 3, v[0:1]
	v_mov_b32_e32 v1, s41
	v_add_co_u32_e32 v64, vcc, s40, v64
	v_addc_co_u32_e32 v65, vcc, v1, v65, vcc
	s_waitcnt vmcnt(0)
	global_store_dwordx2 v[64:65], v[32:33], off
	s_or_b64 exec, exec, s[30:31]
	s_and_saveexec_b64 s[30:31], s[0:1]
	s_cbranch_execz .LBB149_36
.LBB149_52:                             ;   in Loop: Header=BB149_3 Depth=1
	v_lshlrev_b64 v[34:35], 3, v[34:35]
	v_mov_b32_e32 v1, s41
	v_add_co_u32_e32 v34, vcc, s40, v34
	v_addc_co_u32_e32 v35, vcc, v1, v35, vcc
	s_waitcnt vmcnt(0)
	global_store_dwordx2 v[34:35], v[30:31], off
	s_or_b64 exec, exec, s[30:31]
	s_and_saveexec_b64 s[0:1], s[2:3]
	s_cbranch_execz .LBB149_37
.LBB149_53:                             ;   in Loop: Header=BB149_3 Depth=1
	v_lshlrev_b64 v[34:35], 3, v[36:37]
	v_mov_b32_e32 v1, s41
	v_add_co_u32_e32 v34, vcc, s40, v34
	v_addc_co_u32_e32 v35, vcc, v1, v35, vcc
	s_waitcnt vmcnt(0)
	global_store_dwordx2 v[34:35], v[28:29], off
	s_or_b64 exec, exec, s[0:1]
	s_and_saveexec_b64 s[0:1], s[4:5]
	s_cbranch_execz .LBB149_38
.LBB149_54:                             ;   in Loop: Header=BB149_3 Depth=1
	v_lshlrev_b64 v[34:35], 3, v[38:39]
	v_mov_b32_e32 v1, s41
	v_add_co_u32_e32 v34, vcc, s40, v34
	v_addc_co_u32_e32 v35, vcc, v1, v35, vcc
	s_waitcnt vmcnt(0)
	global_store_dwordx2 v[34:35], v[26:27], off
	s_or_b64 exec, exec, s[0:1]
	s_and_saveexec_b64 s[0:1], s[6:7]
	s_cbranch_execz .LBB149_39
.LBB149_55:                             ;   in Loop: Header=BB149_3 Depth=1
	v_lshlrev_b64 v[34:35], 3, v[40:41]
	v_mov_b32_e32 v1, s41
	v_add_co_u32_e32 v34, vcc, s40, v34
	v_addc_co_u32_e32 v35, vcc, v1, v35, vcc
	s_waitcnt vmcnt(0)
	global_store_dwordx2 v[34:35], v[24:25], off
	s_or_b64 exec, exec, s[0:1]
	s_and_saveexec_b64 s[0:1], s[8:9]
	s_cbranch_execz .LBB149_40
.LBB149_56:                             ;   in Loop: Header=BB149_3 Depth=1
	v_lshlrev_b64 v[34:35], 3, v[42:43]
	v_mov_b32_e32 v1, s41
	v_add_co_u32_e32 v34, vcc, s40, v34
	v_addc_co_u32_e32 v35, vcc, v1, v35, vcc
	s_waitcnt vmcnt(0)
	global_store_dwordx2 v[34:35], v[22:23], off
	s_or_b64 exec, exec, s[0:1]
	s_and_saveexec_b64 s[0:1], s[10:11]
	s_cbranch_execz .LBB149_41
.LBB149_57:                             ;   in Loop: Header=BB149_3 Depth=1
	v_lshlrev_b64 v[34:35], 3, v[44:45]
	v_mov_b32_e32 v1, s41
	v_add_co_u32_e32 v34, vcc, s40, v34
	v_addc_co_u32_e32 v35, vcc, v1, v35, vcc
	s_waitcnt vmcnt(0)
	global_store_dwordx2 v[34:35], v[20:21], off
	s_or_b64 exec, exec, s[0:1]
	s_and_saveexec_b64 s[0:1], s[12:13]
	s_cbranch_execz .LBB149_42
.LBB149_58:                             ;   in Loop: Header=BB149_3 Depth=1
	v_lshlrev_b64 v[34:35], 3, v[46:47]
	v_mov_b32_e32 v1, s41
	v_add_co_u32_e32 v34, vcc, s40, v34
	v_addc_co_u32_e32 v35, vcc, v1, v35, vcc
	s_waitcnt vmcnt(0)
	global_store_dwordx2 v[34:35], v[18:19], off
	s_or_b64 exec, exec, s[0:1]
	s_and_saveexec_b64 s[0:1], s[14:15]
	s_cbranch_execz .LBB149_43
.LBB149_59:                             ;   in Loop: Header=BB149_3 Depth=1
	v_lshlrev_b64 v[34:35], 3, v[48:49]
	v_mov_b32_e32 v1, s41
	v_add_co_u32_e32 v34, vcc, s40, v34
	v_addc_co_u32_e32 v35, vcc, v1, v35, vcc
	s_waitcnt vmcnt(0)
	global_store_dwordx2 v[34:35], v[16:17], off
	s_or_b64 exec, exec, s[0:1]
	s_and_saveexec_b64 s[0:1], s[16:17]
	s_cbranch_execz .LBB149_44
.LBB149_60:                             ;   in Loop: Header=BB149_3 Depth=1
	v_lshlrev_b64 v[34:35], 3, v[50:51]
	v_mov_b32_e32 v1, s41
	v_add_co_u32_e32 v34, vcc, s40, v34
	v_addc_co_u32_e32 v35, vcc, v1, v35, vcc
	s_waitcnt vmcnt(0)
	global_store_dwordx2 v[34:35], v[14:15], off
	s_or_b64 exec, exec, s[0:1]
	s_and_saveexec_b64 s[0:1], s[18:19]
	s_cbranch_execz .LBB149_45
.LBB149_61:                             ;   in Loop: Header=BB149_3 Depth=1
	v_lshlrev_b64 v[34:35], 3, v[52:53]
	v_mov_b32_e32 v1, s41
	v_add_co_u32_e32 v34, vcc, s40, v34
	v_addc_co_u32_e32 v35, vcc, v1, v35, vcc
	s_waitcnt vmcnt(0)
	global_store_dwordx2 v[34:35], v[12:13], off
	s_or_b64 exec, exec, s[0:1]
	s_and_saveexec_b64 s[0:1], s[20:21]
	s_cbranch_execz .LBB149_46
.LBB149_62:                             ;   in Loop: Header=BB149_3 Depth=1
	v_lshlrev_b64 v[34:35], 3, v[54:55]
	v_mov_b32_e32 v1, s41
	v_add_co_u32_e32 v34, vcc, s40, v34
	v_addc_co_u32_e32 v35, vcc, v1, v35, vcc
	s_waitcnt vmcnt(0)
	global_store_dwordx2 v[34:35], v[10:11], off
	s_or_b64 exec, exec, s[0:1]
	s_and_saveexec_b64 s[0:1], s[22:23]
	s_cbranch_execz .LBB149_47
.LBB149_63:                             ;   in Loop: Header=BB149_3 Depth=1
	v_lshlrev_b64 v[34:35], 3, v[56:57]
	v_mov_b32_e32 v1, s41
	v_add_co_u32_e32 v34, vcc, s40, v34
	v_addc_co_u32_e32 v35, vcc, v1, v35, vcc
	s_waitcnt vmcnt(0)
	global_store_dwordx2 v[34:35], v[8:9], off
	s_or_b64 exec, exec, s[0:1]
	s_and_saveexec_b64 s[0:1], s[24:25]
	s_cbranch_execz .LBB149_48
.LBB149_64:                             ;   in Loop: Header=BB149_3 Depth=1
	v_lshlrev_b64 v[34:35], 3, v[58:59]
	v_mov_b32_e32 v1, s41
	v_add_co_u32_e32 v34, vcc, s40, v34
	v_addc_co_u32_e32 v35, vcc, v1, v35, vcc
	s_waitcnt vmcnt(0)
	global_store_dwordx2 v[34:35], v[6:7], off
	s_or_b64 exec, exec, s[0:1]
	s_and_saveexec_b64 s[0:1], s[26:27]
	s_cbranch_execz .LBB149_49
.LBB149_65:                             ;   in Loop: Header=BB149_3 Depth=1
	v_lshlrev_b64 v[34:35], 3, v[60:61]
	v_mov_b32_e32 v1, s41
	v_add_co_u32_e32 v34, vcc, s40, v34
	v_addc_co_u32_e32 v35, vcc, v1, v35, vcc
	s_waitcnt vmcnt(0)
	global_store_dwordx2 v[34:35], v[4:5], off
	s_or_b64 exec, exec, s[0:1]
	s_and_saveexec_b64 s[0:1], s[28:29]
	s_cbranch_execz .LBB149_2
.LBB149_66:                             ;   in Loop: Header=BB149_3 Depth=1
	v_lshlrev_b64 v[34:35], 3, v[62:63]
	v_mov_b32_e32 v1, s41
	v_add_co_u32_e32 v34, vcc, s40, v34
	v_addc_co_u32_e32 v35, vcc, v1, v35, vcc
	s_waitcnt vmcnt(0)
	global_store_dwordx2 v[34:35], v[2:3], off
	s_branch .LBB149_2
.LBB149_67:
	s_endpgm
	.section	.rodata,"a",@progbits
	.p2align	6, 0x0
	.amdhsa_kernel _ZN9rocsolver6v33100L11stedc_copyCI19rocblas_complex_numIfEPS3_S4_EEviT0_iilT1_iil
		.amdhsa_group_segment_fixed_size 0
		.amdhsa_private_segment_fixed_size 0
		.amdhsa_kernarg_size 312
		.amdhsa_user_sgpr_count 6
		.amdhsa_user_sgpr_private_segment_buffer 1
		.amdhsa_user_sgpr_dispatch_ptr 0
		.amdhsa_user_sgpr_queue_ptr 0
		.amdhsa_user_sgpr_kernarg_segment_ptr 1
		.amdhsa_user_sgpr_dispatch_id 0
		.amdhsa_user_sgpr_flat_scratch_init 0
		.amdhsa_user_sgpr_kernarg_preload_length 0
		.amdhsa_user_sgpr_kernarg_preload_offset 0
		.amdhsa_user_sgpr_private_segment_size 0
		.amdhsa_uses_dynamic_stack 0
		.amdhsa_system_sgpr_private_segment_wavefront_offset 0
		.amdhsa_system_sgpr_workgroup_id_x 1
		.amdhsa_system_sgpr_workgroup_id_y 1
		.amdhsa_system_sgpr_workgroup_id_z 0
		.amdhsa_system_sgpr_workgroup_info 0
		.amdhsa_system_vgpr_workitem_id 0
		.amdhsa_next_free_vgpr 66
		.amdhsa_next_free_sgpr 57
		.amdhsa_accum_offset 68
		.amdhsa_reserve_vcc 1
		.amdhsa_reserve_flat_scratch 0
		.amdhsa_float_round_mode_32 0
		.amdhsa_float_round_mode_16_64 0
		.amdhsa_float_denorm_mode_32 3
		.amdhsa_float_denorm_mode_16_64 3
		.amdhsa_dx10_clamp 1
		.amdhsa_ieee_mode 1
		.amdhsa_fp16_overflow 0
		.amdhsa_tg_split 0
		.amdhsa_exception_fp_ieee_invalid_op 0
		.amdhsa_exception_fp_denorm_src 0
		.amdhsa_exception_fp_ieee_div_zero 0
		.amdhsa_exception_fp_ieee_overflow 0
		.amdhsa_exception_fp_ieee_underflow 0
		.amdhsa_exception_fp_ieee_inexact 0
		.amdhsa_exception_int_div_zero 0
	.end_amdhsa_kernel
	.section	.text._ZN9rocsolver6v33100L11stedc_copyCI19rocblas_complex_numIfEPS3_S4_EEviT0_iilT1_iil,"axG",@progbits,_ZN9rocsolver6v33100L11stedc_copyCI19rocblas_complex_numIfEPS3_S4_EEviT0_iilT1_iil,comdat
.Lfunc_end149:
	.size	_ZN9rocsolver6v33100L11stedc_copyCI19rocblas_complex_numIfEPS3_S4_EEviT0_iilT1_iil, .Lfunc_end149-_ZN9rocsolver6v33100L11stedc_copyCI19rocblas_complex_numIfEPS3_S4_EEviT0_iilT1_iil
                                        ; -- End function
	.section	.AMDGPU.csdata,"",@progbits
; Kernel info:
; codeLenInByte = 2444
; NumSgprs: 61
; NumVgprs: 66
; NumAgprs: 0
; TotalNumVgprs: 66
; ScratchSize: 0
; MemoryBound: 0
; FloatMode: 240
; IeeeMode: 1
; LDSByteSize: 0 bytes/workgroup (compile time only)
; SGPRBlocks: 7
; VGPRBlocks: 8
; NumSGPRsForWavesPerEU: 61
; NumVGPRsForWavesPerEU: 66
; AccumOffset: 68
; Occupancy: 7
; WaveLimiterHint : 0
; COMPUTE_PGM_RSRC2:SCRATCH_EN: 0
; COMPUTE_PGM_RSRC2:USER_SGPR: 6
; COMPUTE_PGM_RSRC2:TRAP_HANDLER: 0
; COMPUTE_PGM_RSRC2:TGID_X_EN: 1
; COMPUTE_PGM_RSRC2:TGID_Y_EN: 1
; COMPUTE_PGM_RSRC2:TGID_Z_EN: 0
; COMPUTE_PGM_RSRC2:TIDIG_COMP_CNT: 0
; COMPUTE_PGM_RSRC3_GFX90A:ACCUM_OFFSET: 16
; COMPUTE_PGM_RSRC3_GFX90A:TG_SPLIT: 0
	.section	.text._ZN9rocsolver6v33100L10stedc_sortI19rocblas_complex_numIfEfPS3_S4_EEviPT0_lS6_lT1_iilT2_iil,"axG",@progbits,_ZN9rocsolver6v33100L10stedc_sortI19rocblas_complex_numIfEfPS3_S4_EEviPT0_lS6_lT1_iilT2_iil,comdat
	.globl	_ZN9rocsolver6v33100L10stedc_sortI19rocblas_complex_numIfEfPS3_S4_EEviPT0_lS6_lT1_iilT2_iil ; -- Begin function _ZN9rocsolver6v33100L10stedc_sortI19rocblas_complex_numIfEfPS3_S4_EEviPT0_lS6_lT1_iilT2_iil
	.p2align	8
	.type	_ZN9rocsolver6v33100L10stedc_sortI19rocblas_complex_numIfEfPS3_S4_EEviPT0_lS6_lT1_iilT2_iil,@function
_ZN9rocsolver6v33100L10stedc_sortI19rocblas_complex_numIfEfPS3_S4_EEviPT0_lS6_lT1_iilT2_iil: ; @_ZN9rocsolver6v33100L10stedc_sortI19rocblas_complex_numIfEfPS3_S4_EEviPT0_lS6_lT1_iilT2_iil
; %bb.0:
	s_load_dwordx8 s[36:43], s[4:5], 0x8
	s_ashr_i32 s64, s7, 31
	s_load_dword s2, s[4:5], 0x64
	s_mov_b32 s33, s7
	s_load_dword s52, s[4:5], 0x0
	s_waitcnt lgkmcnt(0)
	s_mul_i32 s0, s7, s39
	s_mul_hi_u32 s1, s7, s38
	s_add_i32 s0, s1, s0
	s_mul_i32 s1, s64, s38
	s_add_i32 s1, s0, s1
	s_mul_i32 s0, s7, s38
	s_lshl_b64 s[0:1], s[0:1], 2
	s_add_u32 s66, s36, s0
	s_addc_u32 s67, s37, s1
	s_ashr_i32 s7, s6, 31
	s_lshl_b64 s[44:45], s[6:7], 2
	s_add_u32 s0, s66, s44
	s_addc_u32 s1, s67, s45
	s_and_b32 s50, s2, 0xffff
	s_lshl_b32 s51, s50, 4
	v_cvt_f32_u32_e32 v1, s51
	s_sub_i32 s2, 0, s51
	s_load_dwordx2 s[38:39], s[4:5], 0x28
	s_load_dword s65, s[0:1], 0x0
	s_add_i32 s0, s52, -1
	v_rcp_iflag_f32_e32 v1, v1
	s_ashr_i32 s1, s0, 31
	s_abs_i32 s0, s0
	v_mov_b32_e32 v18, 0
	v_mul_f32_e32 v1, 0x4f7ffffe, v1
	v_cvt_u32_f32_e32 v1, v1
	s_mul_i32 s53, s50, 3
	s_mul_i32 s54, s50, 5
	;; [unrolled: 1-line block ×3, first 2 shown]
	v_readfirstlane_b32 s3, v1
	s_mul_i32 s2, s2, s3
	s_mul_hi_u32 s2, s3, s2
	s_add_i32 s3, s3, s2
	s_mul_hi_u32 s2, s0, s3
	s_mul_i32 s3, s2, s51
	s_sub_i32 s0, s0, s3
	s_add_i32 s3, s2, 1
	s_sub_i32 s7, s0, s51
	s_cmp_ge_u32 s0, s51
	s_cselect_b32 s2, s3, s2
	s_cselect_b32 s0, s7, s0
	s_add_i32 s3, s2, 1
	s_cmp_ge_u32 s0, s51
	s_cselect_b32 s0, s3, s2
	s_xor_b32 s0, s0, s1
	s_sub_i32 s7, s0, s1
	s_cmp_gt_i32 s7, -1
	s_cselect_b64 s[46:47], -1, 0
	s_cmp_lt_i32 s7, 0
	s_mul_i32 s56, s50, 7
	s_mul_i32 s57, s50, 9
	;; [unrolled: 1-line block ×8, first 2 shown]
	s_cbranch_scc1 .LBB150_67
; %bb.1:
	s_add_i32 s68, s7, 1
	s_lshl_b32 s69, s50, 1
	s_lshl_b32 s70, s50, 2
	;; [unrolled: 1-line block ×3, first 2 shown]
	v_mov_b32_e32 v1, 0
	v_mov_b32_e32 v18, v0
	;; [unrolled: 1-line block ×4, first 2 shown]
                                        ; implicit-def: $vgpr3
                                        ; implicit-def: $vgpr5
                                        ; implicit-def: $vgpr7
                                        ; implicit-def: $vgpr9
                                        ; implicit-def: $vgpr11
                                        ; implicit-def: $vgpr13
                                        ; implicit-def: $vgpr15
                                        ; implicit-def: $vgpr17
	s_branch .LBB150_3
.LBB150_2:                              ;   in Loop: Header=BB150_3 Depth=1
	s_or_b64 exec, exec, s[2:3]
	s_add_i32 s68, s68, -1
	s_cmp_eq_u32 s68, 0
	v_add_u32_e32 v18, s51, v18
	s_cbranch_scc1 .LBB150_68
.LBB150_3:                              ; =>This Inner Loop Header: Depth=1
	v_cmp_gt_i32_e64 s[34:35], s52, v18
	s_and_saveexec_b64 s[0:1], s[34:35]
	s_cbranch_execz .LBB150_5
; %bb.4:                                ;   in Loop: Header=BB150_3 Depth=1
	v_ashrrev_i32_e32 v19, 31, v18
	v_lshlrev_b64 v[20:21], 2, v[18:19]
	s_waitcnt vmcnt(0)
	v_mov_b32_e32 v16, s67
	v_add_co_u32_e32 v20, vcc, s66, v20
	v_addc_co_u32_e32 v21, vcc, v16, v21, vcc
	global_load_dword v16, v[20:21], off
.LBB150_5:                              ;   in Loop: Header=BB150_3 Depth=1
	s_or_b64 exec, exec, s[0:1]
	v_add_u32_e32 v48, s50, v18
	v_cmp_gt_i32_e64 s[30:31], s52, v48
	s_and_saveexec_b64 s[0:1], s[30:31]
	s_cbranch_execz .LBB150_7
; %bb.6:                                ;   in Loop: Header=BB150_3 Depth=1
	v_ashrrev_i32_e32 v49, 31, v48
	v_lshlrev_b64 v[20:21], 2, v[48:49]
	s_waitcnt vmcnt(0)
	v_mov_b32_e32 v17, s67
	v_add_co_u32_e32 v20, vcc, s66, v20
	v_addc_co_u32_e32 v21, vcc, v17, v21, vcc
	global_load_dword v17, v[20:21], off
.LBB150_7:                              ;   in Loop: Header=BB150_3 Depth=1
	s_or_b64 exec, exec, s[0:1]
	v_add_u32_e32 v46, s69, v18
	;; [unrolled: 14-line block ×3, first 2 shown]
	v_cmp_gt_i32_e64 s[26:27], s52, v44
	s_and_saveexec_b64 s[0:1], s[26:27]
	s_cbranch_execz .LBB150_11
; %bb.10:                               ;   in Loop: Header=BB150_3 Depth=1
	v_ashrrev_i32_e32 v45, 31, v44
	v_lshlrev_b64 v[20:21], 2, v[44:45]
	s_waitcnt vmcnt(0)
	v_mov_b32_e32 v15, s67
	v_add_co_u32_e32 v20, vcc, s66, v20
	v_addc_co_u32_e32 v21, vcc, v15, v21, vcc
	global_load_dword v15, v[20:21], off
.LBB150_11:                             ;   in Loop: Header=BB150_3 Depth=1
	s_or_b64 exec, exec, s[0:1]
	v_add_u32_e32 v42, s70, v18
	v_cmp_gt_i32_e64 s[24:25], s52, v42
	s_and_saveexec_b64 s[0:1], s[24:25]
	s_cbranch_execz .LBB150_13
; %bb.12:                               ;   in Loop: Header=BB150_3 Depth=1
	v_ashrrev_i32_e32 v43, 31, v42
	v_lshlrev_b64 v[20:21], 2, v[42:43]
	s_waitcnt vmcnt(0)
	v_mov_b32_e32 v12, s67
	v_add_co_u32_e32 v20, vcc, s66, v20
	v_addc_co_u32_e32 v21, vcc, v12, v21, vcc
	global_load_dword v12, v[20:21], off
.LBB150_13:                             ;   in Loop: Header=BB150_3 Depth=1
	s_or_b64 exec, exec, s[0:1]
	v_add_u32_e32 v40, s54, v18
	;; [unrolled: 14-line block ×12, first 2 shown]
	v_cmp_gt_i32_e32 vcc, s52, v20
	s_and_saveexec_b64 s[48:49], vcc
	s_cbranch_execnz .LBB150_50
; %bb.34:                               ;   in Loop: Header=BB150_3 Depth=1
	s_or_b64 exec, exec, s[48:49]
	s_and_saveexec_b64 s[48:49], s[34:35]
	s_cbranch_execnz .LBB150_51
.LBB150_35:                             ;   in Loop: Header=BB150_3 Depth=1
	s_or_b64 exec, exec, s[48:49]
	s_and_saveexec_b64 s[36:37], s[30:31]
	s_cbranch_execnz .LBB150_52
.LBB150_36:                             ;   in Loop: Header=BB150_3 Depth=1
	s_or_b64 exec, exec, s[36:37]
	s_and_saveexec_b64 s[34:35], s[28:29]
	s_cbranch_execnz .LBB150_53
.LBB150_37:                             ;   in Loop: Header=BB150_3 Depth=1
	s_or_b64 exec, exec, s[34:35]
	s_and_saveexec_b64 s[30:31], s[26:27]
	s_cbranch_execnz .LBB150_54
.LBB150_38:                             ;   in Loop: Header=BB150_3 Depth=1
	s_or_b64 exec, exec, s[30:31]
	s_and_saveexec_b64 s[28:29], s[24:25]
	s_cbranch_execnz .LBB150_55
.LBB150_39:                             ;   in Loop: Header=BB150_3 Depth=1
	s_or_b64 exec, exec, s[28:29]
	s_and_saveexec_b64 s[26:27], s[22:23]
	s_cbranch_execnz .LBB150_56
.LBB150_40:                             ;   in Loop: Header=BB150_3 Depth=1
	s_or_b64 exec, exec, s[26:27]
	s_and_saveexec_b64 s[24:25], s[20:21]
	s_cbranch_execnz .LBB150_57
.LBB150_41:                             ;   in Loop: Header=BB150_3 Depth=1
	s_or_b64 exec, exec, s[24:25]
	s_and_saveexec_b64 s[22:23], s[18:19]
	s_cbranch_execnz .LBB150_58
.LBB150_42:                             ;   in Loop: Header=BB150_3 Depth=1
	s_or_b64 exec, exec, s[22:23]
	s_and_saveexec_b64 s[20:21], s[16:17]
	s_cbranch_execnz .LBB150_59
.LBB150_43:                             ;   in Loop: Header=BB150_3 Depth=1
	s_or_b64 exec, exec, s[20:21]
	s_and_saveexec_b64 s[18:19], s[14:15]
	s_cbranch_execnz .LBB150_60
.LBB150_44:                             ;   in Loop: Header=BB150_3 Depth=1
	s_or_b64 exec, exec, s[18:19]
	s_and_saveexec_b64 s[16:17], s[12:13]
	s_cbranch_execnz .LBB150_61
.LBB150_45:                             ;   in Loop: Header=BB150_3 Depth=1
	s_or_b64 exec, exec, s[16:17]
	s_and_saveexec_b64 s[14:15], s[10:11]
	s_cbranch_execnz .LBB150_62
.LBB150_46:                             ;   in Loop: Header=BB150_3 Depth=1
	s_or_b64 exec, exec, s[14:15]
	s_and_saveexec_b64 s[12:13], s[8:9]
	s_cbranch_execnz .LBB150_63
.LBB150_47:                             ;   in Loop: Header=BB150_3 Depth=1
	s_or_b64 exec, exec, s[12:13]
	s_and_saveexec_b64 s[10:11], s[2:3]
	s_cbranch_execnz .LBB150_64
.LBB150_48:                             ;   in Loop: Header=BB150_3 Depth=1
	s_or_b64 exec, exec, s[10:11]
	s_and_saveexec_b64 s[8:9], s[0:1]
	s_cbranch_execnz .LBB150_65
.LBB150_49:                             ;   in Loop: Header=BB150_3 Depth=1
	s_or_b64 exec, exec, s[8:9]
	s_and_saveexec_b64 s[2:3], vcc
	s_cbranch_execz .LBB150_2
	s_branch .LBB150_66
.LBB150_50:                             ;   in Loop: Header=BB150_3 Depth=1
	v_ashrrev_i32_e32 v21, 31, v20
	v_lshlrev_b64 v[52:53], 2, v[20:21]
	s_waitcnt vmcnt(0)
	v_mov_b32_e32 v3, s67
	v_add_co_u32_e64 v52, s[36:37], s66, v52
	v_addc_co_u32_e64 v53, s[36:37], v3, v53, s[36:37]
	global_load_dword v3, v[52:53], off
	s_or_b64 exec, exec, s[48:49]
	s_and_saveexec_b64 s[48:49], s[34:35]
	s_cbranch_execz .LBB150_35
.LBB150_51:                             ;   in Loop: Header=BB150_3 Depth=1
	s_waitcnt vmcnt(0)
	v_cmp_u_f32_e64 s[34:35], v16, v16
	v_addc_co_u32_e64 v1, s[34:35], 0, v1, s[34:35]
	s_waitcnt lgkmcnt(0)
	v_cmp_gt_f32_e64 s[34:35], s65, v16
	v_addc_co_u32_e64 v50, s[34:35], 0, v50, s[34:35]
	v_cmp_eq_f32_e64 s[34:35], s65, v16
	v_cmp_gt_i32_e64 s[36:37], s6, v18
	s_and_b64 s[34:35], s[36:37], s[34:35]
	v_addc_co_u32_e64 v51, s[34:35], 0, v51, s[34:35]
	s_or_b64 exec, exec, s[48:49]
	s_and_saveexec_b64 s[36:37], s[30:31]
	s_cbranch_execz .LBB150_36
.LBB150_52:                             ;   in Loop: Header=BB150_3 Depth=1
	s_waitcnt vmcnt(0)
	v_cmp_u_f32_e64 s[30:31], v17, v17
	v_addc_co_u32_e64 v1, s[30:31], 0, v1, s[30:31]
	s_waitcnt lgkmcnt(0)
	v_cmp_gt_f32_e64 s[30:31], s65, v17
	v_addc_co_u32_e64 v50, s[30:31], 0, v50, s[30:31]
	v_cmp_eq_f32_e64 s[30:31], s65, v17
	v_cmp_gt_i32_e64 s[34:35], s6, v48
	s_and_b64 s[30:31], s[34:35], s[30:31]
	v_addc_co_u32_e64 v51, s[30:31], 0, v51, s[30:31]
	s_or_b64 exec, exec, s[36:37]
	s_and_saveexec_b64 s[34:35], s[28:29]
	s_cbranch_execz .LBB150_37
.LBB150_53:                             ;   in Loop: Header=BB150_3 Depth=1
	s_waitcnt vmcnt(0)
	v_cmp_u_f32_e64 s[28:29], v14, v14
	v_addc_co_u32_e64 v1, s[28:29], 0, v1, s[28:29]
	s_waitcnt lgkmcnt(0)
	v_cmp_gt_f32_e64 s[28:29], s65, v14
	v_addc_co_u32_e64 v50, s[28:29], 0, v50, s[28:29]
	v_cmp_eq_f32_e64 s[28:29], s65, v14
	v_cmp_gt_i32_e64 s[30:31], s6, v46
	s_and_b64 s[28:29], s[30:31], s[28:29]
	v_addc_co_u32_e64 v51, s[28:29], 0, v51, s[28:29]
	s_or_b64 exec, exec, s[34:35]
	s_and_saveexec_b64 s[30:31], s[26:27]
	s_cbranch_execz .LBB150_38
.LBB150_54:                             ;   in Loop: Header=BB150_3 Depth=1
	s_waitcnt vmcnt(0)
	v_cmp_u_f32_e64 s[26:27], v15, v15
	v_addc_co_u32_e64 v1, s[26:27], 0, v1, s[26:27]
	s_waitcnt lgkmcnt(0)
	v_cmp_gt_f32_e64 s[26:27], s65, v15
	v_addc_co_u32_e64 v50, s[26:27], 0, v50, s[26:27]
	v_cmp_eq_f32_e64 s[26:27], s65, v15
	v_cmp_gt_i32_e64 s[28:29], s6, v44
	s_and_b64 s[26:27], s[28:29], s[26:27]
	v_addc_co_u32_e64 v51, s[26:27], 0, v51, s[26:27]
	s_or_b64 exec, exec, s[30:31]
	s_and_saveexec_b64 s[28:29], s[24:25]
	s_cbranch_execz .LBB150_39
.LBB150_55:                             ;   in Loop: Header=BB150_3 Depth=1
	s_waitcnt vmcnt(0)
	v_cmp_u_f32_e64 s[24:25], v12, v12
	v_addc_co_u32_e64 v1, s[24:25], 0, v1, s[24:25]
	s_waitcnt lgkmcnt(0)
	v_cmp_gt_f32_e64 s[24:25], s65, v12
	v_addc_co_u32_e64 v50, s[24:25], 0, v50, s[24:25]
	v_cmp_eq_f32_e64 s[24:25], s65, v12
	v_cmp_gt_i32_e64 s[26:27], s6, v42
	s_and_b64 s[24:25], s[26:27], s[24:25]
	v_addc_co_u32_e64 v51, s[24:25], 0, v51, s[24:25]
	s_or_b64 exec, exec, s[28:29]
	s_and_saveexec_b64 s[26:27], s[22:23]
	s_cbranch_execz .LBB150_40
.LBB150_56:                             ;   in Loop: Header=BB150_3 Depth=1
	s_waitcnt vmcnt(0)
	v_cmp_u_f32_e64 s[22:23], v13, v13
	v_addc_co_u32_e64 v1, s[22:23], 0, v1, s[22:23]
	s_waitcnt lgkmcnt(0)
	v_cmp_gt_f32_e64 s[22:23], s65, v13
	v_addc_co_u32_e64 v50, s[22:23], 0, v50, s[22:23]
	v_cmp_eq_f32_e64 s[22:23], s65, v13
	v_cmp_gt_i32_e64 s[24:25], s6, v40
	s_and_b64 s[22:23], s[24:25], s[22:23]
	v_addc_co_u32_e64 v51, s[22:23], 0, v51, s[22:23]
	s_or_b64 exec, exec, s[26:27]
	s_and_saveexec_b64 s[24:25], s[20:21]
	s_cbranch_execz .LBB150_41
.LBB150_57:                             ;   in Loop: Header=BB150_3 Depth=1
	s_waitcnt vmcnt(0)
	v_cmp_u_f32_e64 s[20:21], v10, v10
	v_addc_co_u32_e64 v1, s[20:21], 0, v1, s[20:21]
	s_waitcnt lgkmcnt(0)
	v_cmp_gt_f32_e64 s[20:21], s65, v10
	v_addc_co_u32_e64 v50, s[20:21], 0, v50, s[20:21]
	v_cmp_eq_f32_e64 s[20:21], s65, v10
	v_cmp_gt_i32_e64 s[22:23], s6, v38
	s_and_b64 s[20:21], s[22:23], s[20:21]
	v_addc_co_u32_e64 v51, s[20:21], 0, v51, s[20:21]
	s_or_b64 exec, exec, s[24:25]
	s_and_saveexec_b64 s[22:23], s[18:19]
	s_cbranch_execz .LBB150_42
.LBB150_58:                             ;   in Loop: Header=BB150_3 Depth=1
	s_waitcnt vmcnt(0)
	v_cmp_u_f32_e64 s[18:19], v11, v11
	v_addc_co_u32_e64 v1, s[18:19], 0, v1, s[18:19]
	s_waitcnt lgkmcnt(0)
	v_cmp_gt_f32_e64 s[18:19], s65, v11
	v_addc_co_u32_e64 v50, s[18:19], 0, v50, s[18:19]
	v_cmp_eq_f32_e64 s[18:19], s65, v11
	v_cmp_gt_i32_e64 s[20:21], s6, v36
	s_and_b64 s[18:19], s[20:21], s[18:19]
	v_addc_co_u32_e64 v51, s[18:19], 0, v51, s[18:19]
	s_or_b64 exec, exec, s[22:23]
	s_and_saveexec_b64 s[20:21], s[16:17]
	s_cbranch_execz .LBB150_43
.LBB150_59:                             ;   in Loop: Header=BB150_3 Depth=1
	s_waitcnt vmcnt(0)
	v_cmp_u_f32_e64 s[16:17], v8, v8
	v_addc_co_u32_e64 v1, s[16:17], 0, v1, s[16:17]
	s_waitcnt lgkmcnt(0)
	v_cmp_gt_f32_e64 s[16:17], s65, v8
	v_addc_co_u32_e64 v50, s[16:17], 0, v50, s[16:17]
	v_cmp_eq_f32_e64 s[16:17], s65, v8
	v_cmp_gt_i32_e64 s[18:19], s6, v34
	s_and_b64 s[16:17], s[18:19], s[16:17]
	v_addc_co_u32_e64 v51, s[16:17], 0, v51, s[16:17]
	s_or_b64 exec, exec, s[20:21]
	s_and_saveexec_b64 s[18:19], s[14:15]
	s_cbranch_execz .LBB150_44
.LBB150_60:                             ;   in Loop: Header=BB150_3 Depth=1
	s_waitcnt vmcnt(0)
	v_cmp_u_f32_e64 s[14:15], v9, v9
	v_addc_co_u32_e64 v1, s[14:15], 0, v1, s[14:15]
	s_waitcnt lgkmcnt(0)
	v_cmp_gt_f32_e64 s[14:15], s65, v9
	v_addc_co_u32_e64 v50, s[14:15], 0, v50, s[14:15]
	v_cmp_eq_f32_e64 s[14:15], s65, v9
	v_cmp_gt_i32_e64 s[16:17], s6, v32
	s_and_b64 s[14:15], s[16:17], s[14:15]
	v_addc_co_u32_e64 v51, s[14:15], 0, v51, s[14:15]
	s_or_b64 exec, exec, s[18:19]
	s_and_saveexec_b64 s[16:17], s[12:13]
	s_cbranch_execz .LBB150_45
.LBB150_61:                             ;   in Loop: Header=BB150_3 Depth=1
	s_waitcnt vmcnt(0)
	v_cmp_u_f32_e64 s[12:13], v6, v6
	v_addc_co_u32_e64 v1, s[12:13], 0, v1, s[12:13]
	s_waitcnt lgkmcnt(0)
	v_cmp_gt_f32_e64 s[12:13], s65, v6
	v_addc_co_u32_e64 v50, s[12:13], 0, v50, s[12:13]
	v_cmp_eq_f32_e64 s[12:13], s65, v6
	v_cmp_gt_i32_e64 s[14:15], s6, v30
	s_and_b64 s[12:13], s[14:15], s[12:13]
	v_addc_co_u32_e64 v51, s[12:13], 0, v51, s[12:13]
	s_or_b64 exec, exec, s[16:17]
	s_and_saveexec_b64 s[14:15], s[10:11]
	s_cbranch_execz .LBB150_46
.LBB150_62:                             ;   in Loop: Header=BB150_3 Depth=1
	s_waitcnt vmcnt(0)
	v_cmp_u_f32_e64 s[10:11], v7, v7
	v_addc_co_u32_e64 v1, s[10:11], 0, v1, s[10:11]
	s_waitcnt lgkmcnt(0)
	v_cmp_gt_f32_e64 s[10:11], s65, v7
	v_addc_co_u32_e64 v50, s[10:11], 0, v50, s[10:11]
	v_cmp_eq_f32_e64 s[10:11], s65, v7
	v_cmp_gt_i32_e64 s[12:13], s6, v28
	s_and_b64 s[10:11], s[12:13], s[10:11]
	v_addc_co_u32_e64 v51, s[10:11], 0, v51, s[10:11]
	s_or_b64 exec, exec, s[14:15]
	s_and_saveexec_b64 s[12:13], s[8:9]
	s_cbranch_execz .LBB150_47
.LBB150_63:                             ;   in Loop: Header=BB150_3 Depth=1
	s_waitcnt vmcnt(0)
	v_cmp_u_f32_e64 s[8:9], v4, v4
	v_addc_co_u32_e64 v1, s[8:9], 0, v1, s[8:9]
	s_waitcnt lgkmcnt(0)
	v_cmp_gt_f32_e64 s[8:9], s65, v4
	v_addc_co_u32_e64 v50, s[8:9], 0, v50, s[8:9]
	v_cmp_eq_f32_e64 s[8:9], s65, v4
	v_cmp_gt_i32_e64 s[10:11], s6, v26
	s_and_b64 s[8:9], s[10:11], s[8:9]
	v_addc_co_u32_e64 v51, s[8:9], 0, v51, s[8:9]
	s_or_b64 exec, exec, s[12:13]
	s_and_saveexec_b64 s[10:11], s[2:3]
	s_cbranch_execz .LBB150_48
.LBB150_64:                             ;   in Loop: Header=BB150_3 Depth=1
	s_waitcnt vmcnt(0)
	v_cmp_u_f32_e64 s[2:3], v5, v5
	v_addc_co_u32_e64 v1, s[2:3], 0, v1, s[2:3]
	s_waitcnt lgkmcnt(0)
	v_cmp_gt_f32_e64 s[2:3], s65, v5
	v_addc_co_u32_e64 v50, s[2:3], 0, v50, s[2:3]
	v_cmp_eq_f32_e64 s[2:3], s65, v5
	v_cmp_gt_i32_e64 s[8:9], s6, v24
	s_and_b64 s[2:3], s[8:9], s[2:3]
	v_addc_co_u32_e64 v51, s[2:3], 0, v51, s[2:3]
	s_or_b64 exec, exec, s[10:11]
	s_and_saveexec_b64 s[8:9], s[0:1]
	s_cbranch_execz .LBB150_49
.LBB150_65:                             ;   in Loop: Header=BB150_3 Depth=1
	s_waitcnt vmcnt(0)
	v_cmp_u_f32_e64 s[0:1], v2, v2
	v_addc_co_u32_e64 v1, s[0:1], 0, v1, s[0:1]
	s_waitcnt lgkmcnt(0)
	v_cmp_gt_f32_e64 s[0:1], s65, v2
	v_addc_co_u32_e64 v50, s[0:1], 0, v50, s[0:1]
	v_cmp_eq_f32_e64 s[0:1], s65, v2
	v_cmp_gt_i32_e64 s[2:3], s6, v22
	s_and_b64 s[0:1], s[2:3], s[0:1]
	v_addc_co_u32_e64 v51, s[0:1], 0, v51, s[0:1]
	s_or_b64 exec, exec, s[8:9]
	s_and_saveexec_b64 s[2:3], vcc
	s_cbranch_execz .LBB150_2
.LBB150_66:                             ;   in Loop: Header=BB150_3 Depth=1
	s_waitcnt vmcnt(0)
	v_cmp_u_f32_e32 vcc, v3, v3
	v_addc_co_u32_e32 v1, vcc, 0, v1, vcc
	s_waitcnt lgkmcnt(0)
	v_cmp_gt_f32_e32 vcc, s65, v3
	v_addc_co_u32_e32 v50, vcc, 0, v50, vcc
	v_cmp_eq_f32_e32 vcc, s65, v3
	v_cmp_gt_i32_e64 s[0:1], s6, v20
	s_and_b64 vcc, s[0:1], vcc
	v_addc_co_u32_e32 v51, vcc, 0, v51, vcc
	s_branch .LBB150_2
.LBB150_67:
	s_mov_b64 s[0:1], -1
                                        ; implicit-def: $vgpr16_vgpr17
                                        ; implicit-def: $vgpr14_vgpr15
                                        ; implicit-def: $vgpr12_vgpr13
                                        ; implicit-def: $vgpr10_vgpr11
                                        ; implicit-def: $vgpr8_vgpr9
                                        ; implicit-def: $vgpr6_vgpr7
                                        ; implicit-def: $vgpr4_vgpr5
                                        ; implicit-def: $vgpr2_vgpr3
	v_lshlrev_b32_e32 v1, 2, v0
	s_cmp_lt_u32 s50, 2
	ds_write_b32 v1, v18
	s_cbranch_scc0 .LBB150_69
	s_branch .LBB150_73
.LBB150_68:
	v_add_u32_e32 v18, v50, v51
	v_cmp_eq_u32_e64 s[0:1], 0, v1
	v_lshlrev_b32_e32 v1, 2, v0
	s_cmp_lt_u32 s50, 2
	ds_write_b32 v1, v18
	s_cbranch_scc1 .LBB150_73
.LBB150_69:
	s_mov_b32 s8, s50
	s_branch .LBB150_71
.LBB150_70:                             ;   in Loop: Header=BB150_71 Depth=1
	s_or_b64 exec, exec, s[2:3]
	s_cmp_lt_u32 s8, 4
	s_mov_b32 s8, s9
	s_cbranch_scc1 .LBB150_73
.LBB150_71:                             ; =>This Inner Loop Header: Depth=1
	s_lshr_b32 s9, s8, 1
	v_cmp_gt_u32_e32 vcc, s9, v0
	s_waitcnt lgkmcnt(0)
	s_barrier
	s_and_saveexec_b64 s[2:3], vcc
	s_cbranch_execz .LBB150_70
; %bb.72:                               ;   in Loop: Header=BB150_71 Depth=1
	v_lshl_add_u32 v19, s9, 2, v1
	ds_read_b32 v19, v19
	s_waitcnt lgkmcnt(0)
	v_add_u32_e32 v18, v19, v18
	ds_write_b32 v1, v18
	s_branch .LBB150_70
.LBB150_73:
	v_mov_b32_e32 v1, 0
	s_xor_b64 s[2:3], s[0:1], -1
	s_mul_i32 s0, s33, s43
	s_mul_hi_u32 s1, s33, s42
	s_waitcnt lgkmcnt(0)
	s_barrier
	ds_read_b32 v18, v1
	s_add_i32 s0, s1, s0
	s_mul_i32 s1, s64, s42
	s_add_i32 s1, s0, s1
	s_mul_i32 s0, s33, s42
	s_lshl_b64 s[0:1], s[0:1], 2
	s_add_u32 s10, s40, s0
	s_addc_u32 s11, s41, s1
	s_waitcnt lgkmcnt(0)
	v_readfirstlane_b32 s0, v18
	v_cmp_eq_u32_e32 vcc, 0, v0
	s_and_saveexec_b64 s[8:9], vcc
	s_cbranch_execnz .LBB150_76
; %bb.74:
	s_or_b64 exec, exec, s[8:9]
	s_and_saveexec_b64 s[8:9], s[2:3]
	s_cbranch_execnz .LBB150_77
.LBB150_75:
	s_or_b64 exec, exec, s[8:9]
	s_andn2_b64 vcc, exec, s[46:47]
	s_cbranch_vccz .LBB150_78
	s_branch .LBB150_144
.LBB150_76:
	s_ashr_i32 s1, s0, 31
	s_lshl_b64 s[12:13], s[0:1], 2
	s_add_u32 s12, s10, s12
	s_addc_u32 s13, s11, s13
	v_mov_b32_e32 v18, s65
	global_store_dword v1, v18, s[12:13]
	s_or_b64 exec, exec, s[8:9]
	s_and_saveexec_b64 s[8:9], s[2:3]
	s_cbranch_execz .LBB150_75
.LBB150_77:
	s_add_u32 s2, s10, s44
	s_addc_u32 s3, s11, s45
	v_mov_b32_e32 v1, 0
	v_mov_b32_e32 v18, 0x7fc00000
	global_store_dword v1, v18, s[2:3]
	s_or_b64 exec, exec, s[8:9]
	s_andn2_b64 vcc, exec, s[46:47]
	s_cbranch_vccnz .LBB150_144
.LBB150_78:
	s_load_dwordx2 s[2:3], s[4:5], 0x30
	s_load_dwordx8 s[8:15], s[4:5], 0x38
                                        ; implicit-def: $vgpr18_vgpr19
                                        ; implicit-def: $vgpr20_vgpr21
                                        ; implicit-def: $vgpr22_vgpr23
                                        ; implicit-def: $vgpr24_vgpr25
                                        ; implicit-def: $vgpr26_vgpr27
                                        ; implicit-def: $vgpr28_vgpr29
                                        ; implicit-def: $vgpr30_vgpr31
                                        ; implicit-def: $vgpr32_vgpr33
	s_waitcnt lgkmcnt(0)
	s_ashr_i32 s5, s2, 31
	s_mov_b32 s4, s2
	s_mul_i32 s1, s33, s9
	s_mul_hi_u32 s2, s33, s8
	s_add_i32 s1, s2, s1
	s_mul_i32 s2, s64, s8
	s_add_i32 s9, s1, s2
	s_mul_i32 s8, s33, s8
	s_lshl_b64 s[8:9], s[8:9], 3
	s_add_u32 s1, s38, s8
	s_addc_u32 s2, s39, s9
	s_lshl_b64 s[4:5], s[4:5], 3
	s_add_u32 s1, s1, s4
	s_addc_u32 s16, s2, s5
	s_mul_i32 s2, s33, s15
	s_mul_hi_u32 s8, s33, s14
	s_add_i32 s2, s8, s2
	s_mul_i32 s8, s64, s14
	s_add_i32 s9, s2, s8
	s_mul_i32 s8, s33, s14
	s_ashr_i32 s5, s12, 31
	s_lshl_b64 s[8:9], s[8:9], 3
	s_mov_b32 s4, s12
	s_add_u32 s2, s10, s8
	s_addc_u32 s8, s11, s9
	s_lshl_b64 s[4:5], s[4:5], 3
	s_add_u32 s4, s2, s4
	s_mul_i32 s2, s6, s3
	s_addc_u32 s5, s8, s5
	s_ashr_i32 s3, s2, 31
	s_lshl_b64 s[2:3], s[2:3], 3
	s_add_u32 s33, s1, s2
	s_mul_i32 s0, s0, s13
	s_addc_u32 s36, s16, s3
	s_ashr_i32 s1, s0, 31
	s_lshl_b64 s[0:1], s[0:1], 3
	s_add_u32 s37, s4, s0
	s_addc_u32 s38, s5, s1
	s_add_i32 s39, s7, 1
	s_lshl_b32 s40, s50, 1
	s_lshl_b32 s41, s50, 2
	;; [unrolled: 1-line block ×3, first 2 shown]
	s_branch .LBB150_80
.LBB150_79:                             ;   in Loop: Header=BB150_80 Depth=1
	s_or_b64 exec, exec, s[0:1]
	s_add_i32 s39, s39, -1
	s_cmp_eq_u32 s39, 0
	v_add_u32_e32 v0, s51, v0
	s_cbranch_scc1 .LBB150_144
.LBB150_80:                             ; =>This Inner Loop Header: Depth=1
	v_cmp_gt_i32_e32 vcc, s52, v0
	v_ashrrev_i32_e32 v1, 31, v0
	s_and_saveexec_b64 s[2:3], vcc
	s_cbranch_execz .LBB150_82
; %bb.81:                               ;   in Loop: Header=BB150_80 Depth=1
	s_waitcnt vmcnt(0)
	v_lshlrev_b64 v[16:17], 3, v[0:1]
	v_mov_b32_e32 v34, s36
	v_add_co_u32_e64 v16, s[0:1], s33, v16
	v_addc_co_u32_e64 v17, s[0:1], v34, v17, s[0:1]
	global_load_dwordx2 v[16:17], v[16:17], off
.LBB150_82:                             ;   in Loop: Header=BB150_80 Depth=1
	s_or_b64 exec, exec, s[2:3]
	v_add_u32_e32 v34, s50, v0
	v_cmp_gt_i32_e64 s[0:1], s52, v34
	v_ashrrev_i32_e32 v35, 31, v34
	s_and_saveexec_b64 s[4:5], s[0:1]
	s_cbranch_execz .LBB150_84
; %bb.83:                               ;   in Loop: Header=BB150_80 Depth=1
	s_waitcnt vmcnt(0)
	v_lshlrev_b64 v[14:15], 3, v[34:35]
	v_mov_b32_e32 v36, s36
	v_add_co_u32_e64 v14, s[2:3], s33, v14
	v_addc_co_u32_e64 v15, s[2:3], v36, v15, s[2:3]
	global_load_dwordx2 v[14:15], v[14:15], off
.LBB150_84:                             ;   in Loop: Header=BB150_80 Depth=1
	s_or_b64 exec, exec, s[4:5]
	v_add_u32_e32 v36, s40, v0
	v_add_u32_e32 v39, s50, v34
	v_cmp_gt_i32_e64 s[2:3], s52, v39
	v_ashrrev_i32_e32 v37, 31, v36
	s_and_saveexec_b64 s[6:7], s[2:3]
	s_cbranch_execz .LBB150_86
; %bb.85:                               ;   in Loop: Header=BB150_80 Depth=1
	s_waitcnt vmcnt(0)
	v_lshlrev_b64 v[12:13], 3, v[36:37]
	v_mov_b32_e32 v38, s36
	v_add_co_u32_e64 v12, s[4:5], s33, v12
	v_addc_co_u32_e64 v13, s[4:5], v38, v13, s[4:5]
	global_load_dwordx2 v[12:13], v[12:13], off
.LBB150_86:                             ;   in Loop: Header=BB150_80 Depth=1
	s_or_b64 exec, exec, s[6:7]
	v_add_u32_e32 v38, s53, v0
	;; [unrolled: 15-line block ×8, first 2 shown]
	v_add_u32_e32 v53, s50, v51
	v_cmp_gt_i32_e64 s[16:17], s52, v53
	v_ashrrev_i32_e32 v51, 31, v50
	s_and_saveexec_b64 s[20:21], s[16:17]
	s_cbranch_execz .LBB150_100
; %bb.99:                               ;   in Loop: Header=BB150_80 Depth=1
	s_waitcnt vmcnt(0)
	v_lshlrev_b64 v[30:31], 3, v[50:51]
	v_mov_b32_e32 v52, s36
	v_add_co_u32_e64 v30, s[18:19], s33, v30
	v_addc_co_u32_e64 v31, s[18:19], v52, v31, s[18:19]
	global_load_dwordx2 v[30:31], v[30:31], off
.LBB150_100:                            ;   in Loop: Header=BB150_80 Depth=1
	s_or_b64 exec, exec, s[20:21]
	v_add_u32_e32 v52, s58, v0
	v_add_u32_e32 v55, s50, v53
	v_cmp_gt_i32_e64 s[18:19], s52, v55
	v_ashrrev_i32_e32 v53, 31, v52
	s_and_saveexec_b64 s[22:23], s[18:19]
	s_cbranch_execz .LBB150_102
; %bb.101:                              ;   in Loop: Header=BB150_80 Depth=1
	s_waitcnt vmcnt(0)
	v_lshlrev_b64 v[28:29], 3, v[52:53]
	v_mov_b32_e32 v54, s36
	v_add_co_u32_e64 v28, s[20:21], s33, v28
	v_addc_co_u32_e64 v29, s[20:21], v54, v29, s[20:21]
	global_load_dwordx2 v[28:29], v[28:29], off
.LBB150_102:                            ;   in Loop: Header=BB150_80 Depth=1
	s_or_b64 exec, exec, s[22:23]
	v_add_u32_e32 v54, s59, v0
	v_add_u32_e32 v57, s50, v55
	v_cmp_gt_i32_e64 s[20:21], s52, v57
	v_ashrrev_i32_e32 v55, 31, v54
	s_and_saveexec_b64 s[24:25], s[20:21]
	s_cbranch_execz .LBB150_104
; %bb.103:                              ;   in Loop: Header=BB150_80 Depth=1
	s_waitcnt vmcnt(0)
	v_lshlrev_b64 v[26:27], 3, v[54:55]
	v_mov_b32_e32 v56, s36
	v_add_co_u32_e64 v26, s[22:23], s33, v26
	v_addc_co_u32_e64 v27, s[22:23], v56, v27, s[22:23]
	global_load_dwordx2 v[26:27], v[26:27], off
.LBB150_104:                            ;   in Loop: Header=BB150_80 Depth=1
	;; [unrolled: 15-line block ×5, first 2 shown]
	s_or_b64 exec, exec, s[30:31]
	v_add_u32_e32 v62, s63, v0
	v_add_u32_e32 v63, s50, v63
	v_cmp_gt_i32_e64 s[28:29], s52, v63
	v_ashrrev_i32_e32 v63, 31, v62
	s_and_saveexec_b64 s[34:35], s[28:29]
	s_cbranch_execnz .LBB150_127
; %bb.111:                              ;   in Loop: Header=BB150_80 Depth=1
	s_or_b64 exec, exec, s[34:35]
	s_and_saveexec_b64 s[30:31], vcc
	s_cbranch_execnz .LBB150_128
.LBB150_112:                            ;   in Loop: Header=BB150_80 Depth=1
	s_or_b64 exec, exec, s[30:31]
	s_and_saveexec_b64 s[30:31], s[0:1]
	s_cbranch_execnz .LBB150_129
.LBB150_113:                            ;   in Loop: Header=BB150_80 Depth=1
	s_or_b64 exec, exec, s[30:31]
	s_and_saveexec_b64 s[0:1], s[2:3]
	s_cbranch_execnz .LBB150_130
.LBB150_114:                            ;   in Loop: Header=BB150_80 Depth=1
	s_or_b64 exec, exec, s[0:1]
	s_and_saveexec_b64 s[0:1], s[4:5]
	s_cbranch_execnz .LBB150_131
.LBB150_115:                            ;   in Loop: Header=BB150_80 Depth=1
	s_or_b64 exec, exec, s[0:1]
	s_and_saveexec_b64 s[0:1], s[6:7]
	s_cbranch_execnz .LBB150_132
.LBB150_116:                            ;   in Loop: Header=BB150_80 Depth=1
	s_or_b64 exec, exec, s[0:1]
	s_and_saveexec_b64 s[0:1], s[8:9]
	s_cbranch_execnz .LBB150_133
.LBB150_117:                            ;   in Loop: Header=BB150_80 Depth=1
	s_or_b64 exec, exec, s[0:1]
	s_and_saveexec_b64 s[0:1], s[10:11]
	s_cbranch_execnz .LBB150_134
.LBB150_118:                            ;   in Loop: Header=BB150_80 Depth=1
	s_or_b64 exec, exec, s[0:1]
	s_and_saveexec_b64 s[0:1], s[12:13]
	s_cbranch_execnz .LBB150_135
.LBB150_119:                            ;   in Loop: Header=BB150_80 Depth=1
	s_or_b64 exec, exec, s[0:1]
	s_and_saveexec_b64 s[0:1], s[14:15]
	s_cbranch_execnz .LBB150_136
.LBB150_120:                            ;   in Loop: Header=BB150_80 Depth=1
	s_or_b64 exec, exec, s[0:1]
	s_and_saveexec_b64 s[0:1], s[16:17]
	s_cbranch_execnz .LBB150_137
.LBB150_121:                            ;   in Loop: Header=BB150_80 Depth=1
	s_or_b64 exec, exec, s[0:1]
	s_and_saveexec_b64 s[0:1], s[18:19]
	s_cbranch_execnz .LBB150_138
.LBB150_122:                            ;   in Loop: Header=BB150_80 Depth=1
	s_or_b64 exec, exec, s[0:1]
	s_and_saveexec_b64 s[0:1], s[20:21]
	s_cbranch_execnz .LBB150_139
.LBB150_123:                            ;   in Loop: Header=BB150_80 Depth=1
	s_or_b64 exec, exec, s[0:1]
	s_and_saveexec_b64 s[0:1], s[22:23]
	s_cbranch_execnz .LBB150_140
.LBB150_124:                            ;   in Loop: Header=BB150_80 Depth=1
	s_or_b64 exec, exec, s[0:1]
	s_and_saveexec_b64 s[0:1], s[24:25]
	s_cbranch_execnz .LBB150_141
.LBB150_125:                            ;   in Loop: Header=BB150_80 Depth=1
	s_or_b64 exec, exec, s[0:1]
	s_and_saveexec_b64 s[0:1], s[26:27]
	s_cbranch_execnz .LBB150_142
.LBB150_126:                            ;   in Loop: Header=BB150_80 Depth=1
	s_or_b64 exec, exec, s[0:1]
	s_and_saveexec_b64 s[0:1], s[28:29]
	s_cbranch_execz .LBB150_79
	s_branch .LBB150_143
.LBB150_127:                            ;   in Loop: Header=BB150_80 Depth=1
	s_waitcnt vmcnt(0)
	v_lshlrev_b64 v[18:19], 3, v[62:63]
	v_mov_b32_e32 v64, s36
	v_add_co_u32_e64 v18, s[30:31], s33, v18
	v_addc_co_u32_e64 v19, s[30:31], v64, v19, s[30:31]
	global_load_dwordx2 v[18:19], v[18:19], off
	s_or_b64 exec, exec, s[34:35]
	s_and_saveexec_b64 s[30:31], vcc
	s_cbranch_execz .LBB150_112
.LBB150_128:                            ;   in Loop: Header=BB150_80 Depth=1
	v_lshlrev_b64 v[64:65], 3, v[0:1]
	v_mov_b32_e32 v1, s38
	v_add_co_u32_e32 v64, vcc, s37, v64
	v_addc_co_u32_e32 v65, vcc, v1, v65, vcc
	s_waitcnt vmcnt(0)
	global_store_dwordx2 v[64:65], v[16:17], off
	s_or_b64 exec, exec, s[30:31]
	s_and_saveexec_b64 s[30:31], s[0:1]
	s_cbranch_execz .LBB150_113
.LBB150_129:                            ;   in Loop: Header=BB150_80 Depth=1
	v_lshlrev_b64 v[34:35], 3, v[34:35]
	v_mov_b32_e32 v1, s38
	v_add_co_u32_e32 v34, vcc, s37, v34
	v_addc_co_u32_e32 v35, vcc, v1, v35, vcc
	s_waitcnt vmcnt(0)
	global_store_dwordx2 v[34:35], v[14:15], off
	s_or_b64 exec, exec, s[30:31]
	s_and_saveexec_b64 s[0:1], s[2:3]
	s_cbranch_execz .LBB150_114
.LBB150_130:                            ;   in Loop: Header=BB150_80 Depth=1
	v_lshlrev_b64 v[34:35], 3, v[36:37]
	v_mov_b32_e32 v1, s38
	v_add_co_u32_e32 v34, vcc, s37, v34
	v_addc_co_u32_e32 v35, vcc, v1, v35, vcc
	s_waitcnt vmcnt(0)
	global_store_dwordx2 v[34:35], v[12:13], off
	s_or_b64 exec, exec, s[0:1]
	s_and_saveexec_b64 s[0:1], s[4:5]
	s_cbranch_execz .LBB150_115
.LBB150_131:                            ;   in Loop: Header=BB150_80 Depth=1
	v_lshlrev_b64 v[34:35], 3, v[38:39]
	v_mov_b32_e32 v1, s38
	v_add_co_u32_e32 v34, vcc, s37, v34
	v_addc_co_u32_e32 v35, vcc, v1, v35, vcc
	s_waitcnt vmcnt(0)
	global_store_dwordx2 v[34:35], v[10:11], off
	s_or_b64 exec, exec, s[0:1]
	s_and_saveexec_b64 s[0:1], s[6:7]
	s_cbranch_execz .LBB150_116
.LBB150_132:                            ;   in Loop: Header=BB150_80 Depth=1
	v_lshlrev_b64 v[34:35], 3, v[40:41]
	v_mov_b32_e32 v1, s38
	v_add_co_u32_e32 v34, vcc, s37, v34
	v_addc_co_u32_e32 v35, vcc, v1, v35, vcc
	s_waitcnt vmcnt(0)
	global_store_dwordx2 v[34:35], v[8:9], off
	s_or_b64 exec, exec, s[0:1]
	s_and_saveexec_b64 s[0:1], s[8:9]
	s_cbranch_execz .LBB150_117
.LBB150_133:                            ;   in Loop: Header=BB150_80 Depth=1
	v_lshlrev_b64 v[34:35], 3, v[42:43]
	v_mov_b32_e32 v1, s38
	v_add_co_u32_e32 v34, vcc, s37, v34
	v_addc_co_u32_e32 v35, vcc, v1, v35, vcc
	s_waitcnt vmcnt(0)
	global_store_dwordx2 v[34:35], v[6:7], off
	s_or_b64 exec, exec, s[0:1]
	s_and_saveexec_b64 s[0:1], s[10:11]
	s_cbranch_execz .LBB150_118
.LBB150_134:                            ;   in Loop: Header=BB150_80 Depth=1
	v_lshlrev_b64 v[34:35], 3, v[44:45]
	v_mov_b32_e32 v1, s38
	v_add_co_u32_e32 v34, vcc, s37, v34
	v_addc_co_u32_e32 v35, vcc, v1, v35, vcc
	s_waitcnt vmcnt(0)
	global_store_dwordx2 v[34:35], v[4:5], off
	s_or_b64 exec, exec, s[0:1]
	s_and_saveexec_b64 s[0:1], s[12:13]
	s_cbranch_execz .LBB150_119
.LBB150_135:                            ;   in Loop: Header=BB150_80 Depth=1
	v_lshlrev_b64 v[34:35], 3, v[46:47]
	v_mov_b32_e32 v1, s38
	v_add_co_u32_e32 v34, vcc, s37, v34
	v_addc_co_u32_e32 v35, vcc, v1, v35, vcc
	s_waitcnt vmcnt(0)
	global_store_dwordx2 v[34:35], v[2:3], off
	s_or_b64 exec, exec, s[0:1]
	s_and_saveexec_b64 s[0:1], s[14:15]
	s_cbranch_execz .LBB150_120
.LBB150_136:                            ;   in Loop: Header=BB150_80 Depth=1
	v_lshlrev_b64 v[34:35], 3, v[48:49]
	v_mov_b32_e32 v1, s38
	v_add_co_u32_e32 v34, vcc, s37, v34
	v_addc_co_u32_e32 v35, vcc, v1, v35, vcc
	s_waitcnt vmcnt(0)
	global_store_dwordx2 v[34:35], v[32:33], off
	s_or_b64 exec, exec, s[0:1]
	s_and_saveexec_b64 s[0:1], s[16:17]
	s_cbranch_execz .LBB150_121
.LBB150_137:                            ;   in Loop: Header=BB150_80 Depth=1
	v_lshlrev_b64 v[34:35], 3, v[50:51]
	v_mov_b32_e32 v1, s38
	v_add_co_u32_e32 v34, vcc, s37, v34
	v_addc_co_u32_e32 v35, vcc, v1, v35, vcc
	s_waitcnt vmcnt(0)
	global_store_dwordx2 v[34:35], v[30:31], off
	s_or_b64 exec, exec, s[0:1]
	s_and_saveexec_b64 s[0:1], s[18:19]
	s_cbranch_execz .LBB150_122
.LBB150_138:                            ;   in Loop: Header=BB150_80 Depth=1
	v_lshlrev_b64 v[34:35], 3, v[52:53]
	v_mov_b32_e32 v1, s38
	v_add_co_u32_e32 v34, vcc, s37, v34
	v_addc_co_u32_e32 v35, vcc, v1, v35, vcc
	s_waitcnt vmcnt(0)
	global_store_dwordx2 v[34:35], v[28:29], off
	s_or_b64 exec, exec, s[0:1]
	s_and_saveexec_b64 s[0:1], s[20:21]
	s_cbranch_execz .LBB150_123
.LBB150_139:                            ;   in Loop: Header=BB150_80 Depth=1
	v_lshlrev_b64 v[34:35], 3, v[54:55]
	v_mov_b32_e32 v1, s38
	v_add_co_u32_e32 v34, vcc, s37, v34
	v_addc_co_u32_e32 v35, vcc, v1, v35, vcc
	s_waitcnt vmcnt(0)
	global_store_dwordx2 v[34:35], v[26:27], off
	s_or_b64 exec, exec, s[0:1]
	s_and_saveexec_b64 s[0:1], s[22:23]
	s_cbranch_execz .LBB150_124
.LBB150_140:                            ;   in Loop: Header=BB150_80 Depth=1
	v_lshlrev_b64 v[34:35], 3, v[56:57]
	v_mov_b32_e32 v1, s38
	v_add_co_u32_e32 v34, vcc, s37, v34
	v_addc_co_u32_e32 v35, vcc, v1, v35, vcc
	s_waitcnt vmcnt(0)
	global_store_dwordx2 v[34:35], v[24:25], off
	s_or_b64 exec, exec, s[0:1]
	s_and_saveexec_b64 s[0:1], s[24:25]
	s_cbranch_execz .LBB150_125
.LBB150_141:                            ;   in Loop: Header=BB150_80 Depth=1
	v_lshlrev_b64 v[34:35], 3, v[58:59]
	v_mov_b32_e32 v1, s38
	v_add_co_u32_e32 v34, vcc, s37, v34
	v_addc_co_u32_e32 v35, vcc, v1, v35, vcc
	s_waitcnt vmcnt(0)
	global_store_dwordx2 v[34:35], v[22:23], off
	s_or_b64 exec, exec, s[0:1]
	s_and_saveexec_b64 s[0:1], s[26:27]
	s_cbranch_execz .LBB150_126
.LBB150_142:                            ;   in Loop: Header=BB150_80 Depth=1
	v_lshlrev_b64 v[34:35], 3, v[60:61]
	v_mov_b32_e32 v1, s38
	v_add_co_u32_e32 v34, vcc, s37, v34
	v_addc_co_u32_e32 v35, vcc, v1, v35, vcc
	s_waitcnt vmcnt(0)
	global_store_dwordx2 v[34:35], v[20:21], off
	s_or_b64 exec, exec, s[0:1]
	s_and_saveexec_b64 s[0:1], s[28:29]
	s_cbranch_execz .LBB150_79
.LBB150_143:                            ;   in Loop: Header=BB150_80 Depth=1
	v_lshlrev_b64 v[34:35], 3, v[62:63]
	v_mov_b32_e32 v1, s38
	v_add_co_u32_e32 v34, vcc, s37, v34
	v_addc_co_u32_e32 v35, vcc, v1, v35, vcc
	s_waitcnt vmcnt(0)
	global_store_dwordx2 v[34:35], v[18:19], off
	s_branch .LBB150_79
.LBB150_144:
	s_endpgm
	.section	.rodata,"a",@progbits
	.p2align	6, 0x0
	.amdhsa_kernel _ZN9rocsolver6v33100L10stedc_sortI19rocblas_complex_numIfEfPS3_S4_EEviPT0_lS6_lT1_iilT2_iil
		.amdhsa_group_segment_fixed_size 2048
		.amdhsa_private_segment_fixed_size 0
		.amdhsa_kernarg_size 344
		.amdhsa_user_sgpr_count 6
		.amdhsa_user_sgpr_private_segment_buffer 1
		.amdhsa_user_sgpr_dispatch_ptr 0
		.amdhsa_user_sgpr_queue_ptr 0
		.amdhsa_user_sgpr_kernarg_segment_ptr 1
		.amdhsa_user_sgpr_dispatch_id 0
		.amdhsa_user_sgpr_flat_scratch_init 0
		.amdhsa_user_sgpr_kernarg_preload_length 0
		.amdhsa_user_sgpr_kernarg_preload_offset 0
		.amdhsa_user_sgpr_private_segment_size 0
		.amdhsa_uses_dynamic_stack 0
		.amdhsa_system_sgpr_private_segment_wavefront_offset 0
		.amdhsa_system_sgpr_workgroup_id_x 1
		.amdhsa_system_sgpr_workgroup_id_y 1
		.amdhsa_system_sgpr_workgroup_id_z 0
		.amdhsa_system_sgpr_workgroup_info 0
		.amdhsa_system_vgpr_workitem_id 0
		.amdhsa_next_free_vgpr 66
		.amdhsa_next_free_sgpr 72
		.amdhsa_accum_offset 68
		.amdhsa_reserve_vcc 1
		.amdhsa_reserve_flat_scratch 0
		.amdhsa_float_round_mode_32 0
		.amdhsa_float_round_mode_16_64 0
		.amdhsa_float_denorm_mode_32 3
		.amdhsa_float_denorm_mode_16_64 3
		.amdhsa_dx10_clamp 1
		.amdhsa_ieee_mode 1
		.amdhsa_fp16_overflow 0
		.amdhsa_tg_split 0
		.amdhsa_exception_fp_ieee_invalid_op 0
		.amdhsa_exception_fp_denorm_src 0
		.amdhsa_exception_fp_ieee_div_zero 0
		.amdhsa_exception_fp_ieee_overflow 0
		.amdhsa_exception_fp_ieee_underflow 0
		.amdhsa_exception_fp_ieee_inexact 0
		.amdhsa_exception_int_div_zero 0
	.end_amdhsa_kernel
	.section	.text._ZN9rocsolver6v33100L10stedc_sortI19rocblas_complex_numIfEfPS3_S4_EEviPT0_lS6_lT1_iilT2_iil,"axG",@progbits,_ZN9rocsolver6v33100L10stedc_sortI19rocblas_complex_numIfEfPS3_S4_EEviPT0_lS6_lT1_iilT2_iil,comdat
.Lfunc_end150:
	.size	_ZN9rocsolver6v33100L10stedc_sortI19rocblas_complex_numIfEfPS3_S4_EEviPT0_lS6_lT1_iilT2_iil, .Lfunc_end150-_ZN9rocsolver6v33100L10stedc_sortI19rocblas_complex_numIfEfPS3_S4_EEviPT0_lS6_lT1_iilT2_iil
                                        ; -- End function
	.section	.AMDGPU.csdata,"",@progbits
; Kernel info:
; codeLenInByte = 5336
; NumSgprs: 76
; NumVgprs: 66
; NumAgprs: 0
; TotalNumVgprs: 66
; ScratchSize: 0
; MemoryBound: 0
; FloatMode: 240
; IeeeMode: 1
; LDSByteSize: 2048 bytes/workgroup (compile time only)
; SGPRBlocks: 9
; VGPRBlocks: 8
; NumSGPRsForWavesPerEU: 76
; NumVGPRsForWavesPerEU: 66
; AccumOffset: 68
; Occupancy: 7
; WaveLimiterHint : 0
; COMPUTE_PGM_RSRC2:SCRATCH_EN: 0
; COMPUTE_PGM_RSRC2:USER_SGPR: 6
; COMPUTE_PGM_RSRC2:TRAP_HANDLER: 0
; COMPUTE_PGM_RSRC2:TGID_X_EN: 1
; COMPUTE_PGM_RSRC2:TGID_Y_EN: 1
; COMPUTE_PGM_RSRC2:TGID_Z_EN: 0
; COMPUTE_PGM_RSRC2:TIDIG_COMP_CNT: 0
; COMPUTE_PGM_RSRC3_GFX90A:ACCUM_OFFSET: 16
; COMPUTE_PGM_RSRC3_GFX90A:TG_SPLIT: 0
	.section	.text._ZN9rocsolver6v33100L13conj_in_placeI19rocblas_complex_numIfEiPS3_TnNSt9enable_ifIX18rocblas_is_complexIT_EEiE4typeELi0EEEvT0_S9_T1_lS9_l,"axG",@progbits,_ZN9rocsolver6v33100L13conj_in_placeI19rocblas_complex_numIfEiPS3_TnNSt9enable_ifIX18rocblas_is_complexIT_EEiE4typeELi0EEEvT0_S9_T1_lS9_l,comdat
	.globl	_ZN9rocsolver6v33100L13conj_in_placeI19rocblas_complex_numIfEiPS3_TnNSt9enable_ifIX18rocblas_is_complexIT_EEiE4typeELi0EEEvT0_S9_T1_lS9_l ; -- Begin function _ZN9rocsolver6v33100L13conj_in_placeI19rocblas_complex_numIfEiPS3_TnNSt9enable_ifIX18rocblas_is_complexIT_EEiE4typeELi0EEEvT0_S9_T1_lS9_l
	.p2align	8
	.type	_ZN9rocsolver6v33100L13conj_in_placeI19rocblas_complex_numIfEiPS3_TnNSt9enable_ifIX18rocblas_is_complexIT_EEiE4typeELi0EEEvT0_S9_T1_lS9_l,@function
_ZN9rocsolver6v33100L13conj_in_placeI19rocblas_complex_numIfEiPS3_TnNSt9enable_ifIX18rocblas_is_complexIT_EEiE4typeELi0EEEvT0_S9_T1_lS9_l: ; @_ZN9rocsolver6v33100L13conj_in_placeI19rocblas_complex_numIfEiPS3_TnNSt9enable_ifIX18rocblas_is_complexIT_EEiE4typeELi0EEEvT0_S9_T1_lS9_l
; %bb.0:
	s_load_dword s2, s[4:5], 0x34
	s_load_dwordx2 s[0:1], s[4:5], 0x0
	v_and_b32_e32 v1, 0x3ff, v0
	v_bfe_u32 v0, v0, 10, 10
	s_waitcnt lgkmcnt(0)
	s_lshr_b32 s3, s2, 16
	s_and_b32 s2, s2, 0xffff
	s_mul_i32 s6, s6, s2
	s_mul_i32 s7, s7, s3
	v_add_u32_e32 v2, s6, v1
	v_add_u32_e32 v0, s7, v0
	v_cmp_gt_i32_e32 vcc, s0, v2
	v_cmp_gt_i32_e64 s[0:1], s1, v0
	s_and_b64 s[0:1], vcc, s[0:1]
	s_and_saveexec_b64 s[2:3], s[0:1]
	s_cbranch_execz .LBB151_2
; %bb.1:
	s_load_dwordx2 s[6:7], s[4:5], 0x20
	s_load_dwordx4 s[0:3], s[4:5], 0x8
	s_load_dword s9, s[4:5], 0x18
	s_ashr_i32 s4, s8, 31
	v_ashrrev_i32_e32 v3, 31, v2
	s_waitcnt lgkmcnt(0)
	s_mul_i32 s5, s8, s7
	s_mul_hi_u32 s7, s8, s6
	s_add_i32 s5, s7, s5
	s_mul_i32 s4, s4, s6
	s_add_i32 s5, s5, s4
	s_mul_i32 s4, s8, s6
	s_lshl_b64 s[4:5], s[4:5], 3
	s_add_u32 s4, s0, s4
	s_addc_u32 s5, s1, s5
	s_lshl_b64 s[0:1], s[2:3], 3
	s_add_u32 s2, s4, s0
	s_addc_u32 s3, s5, s1
	v_mad_i64_i32 v[0:1], s[0:1], v0, s9, 0
	v_lshlrev_b64 v[4:5], 3, v[0:1]
	v_mov_b32_e32 v1, s3
	v_add_co_u32_e32 v6, vcc, s2, v4
	v_addc_co_u32_e32 v1, vcc, v1, v5, vcc
	v_lshlrev_b64 v[4:5], 3, v[2:3]
	v_add_co_u32_e32 v4, vcc, v6, v4
	v_addc_co_u32_e32 v5, vcc, v1, v5, vcc
	global_load_dwordx2 v[4:5], v[4:5], off
	v_add_u32_e32 v0, v0, v2
	v_ashrrev_i32_e32 v1, 31, v0
	v_lshlrev_b64 v[0:1], 3, v[0:1]
	v_mov_b32_e32 v2, s3
	v_add_co_u32_e32 v0, vcc, s2, v0
	v_addc_co_u32_e32 v1, vcc, v2, v1, vcc
	s_waitcnt vmcnt(0)
	v_xor_b32_e32 v5, 0x80000000, v5
	global_store_dwordx2 v[0:1], v[4:5], off
.LBB151_2:
	s_endpgm
	.section	.rodata,"a",@progbits
	.p2align	6, 0x0
	.amdhsa_kernel _ZN9rocsolver6v33100L13conj_in_placeI19rocblas_complex_numIfEiPS3_TnNSt9enable_ifIX18rocblas_is_complexIT_EEiE4typeELi0EEEvT0_S9_T1_lS9_l
		.amdhsa_group_segment_fixed_size 0
		.amdhsa_private_segment_fixed_size 0
		.amdhsa_kernarg_size 296
		.amdhsa_user_sgpr_count 6
		.amdhsa_user_sgpr_private_segment_buffer 1
		.amdhsa_user_sgpr_dispatch_ptr 0
		.amdhsa_user_sgpr_queue_ptr 0
		.amdhsa_user_sgpr_kernarg_segment_ptr 1
		.amdhsa_user_sgpr_dispatch_id 0
		.amdhsa_user_sgpr_flat_scratch_init 0
		.amdhsa_user_sgpr_kernarg_preload_length 0
		.amdhsa_user_sgpr_kernarg_preload_offset 0
		.amdhsa_user_sgpr_private_segment_size 0
		.amdhsa_uses_dynamic_stack 0
		.amdhsa_system_sgpr_private_segment_wavefront_offset 0
		.amdhsa_system_sgpr_workgroup_id_x 1
		.amdhsa_system_sgpr_workgroup_id_y 1
		.amdhsa_system_sgpr_workgroup_id_z 1
		.amdhsa_system_sgpr_workgroup_info 0
		.amdhsa_system_vgpr_workitem_id 1
		.amdhsa_next_free_vgpr 7
		.amdhsa_next_free_sgpr 10
		.amdhsa_accum_offset 8
		.amdhsa_reserve_vcc 1
		.amdhsa_reserve_flat_scratch 0
		.amdhsa_float_round_mode_32 0
		.amdhsa_float_round_mode_16_64 0
		.amdhsa_float_denorm_mode_32 3
		.amdhsa_float_denorm_mode_16_64 3
		.amdhsa_dx10_clamp 1
		.amdhsa_ieee_mode 1
		.amdhsa_fp16_overflow 0
		.amdhsa_tg_split 0
		.amdhsa_exception_fp_ieee_invalid_op 0
		.amdhsa_exception_fp_denorm_src 0
		.amdhsa_exception_fp_ieee_div_zero 0
		.amdhsa_exception_fp_ieee_overflow 0
		.amdhsa_exception_fp_ieee_underflow 0
		.amdhsa_exception_fp_ieee_inexact 0
		.amdhsa_exception_int_div_zero 0
	.end_amdhsa_kernel
	.section	.text._ZN9rocsolver6v33100L13conj_in_placeI19rocblas_complex_numIfEiPS3_TnNSt9enable_ifIX18rocblas_is_complexIT_EEiE4typeELi0EEEvT0_S9_T1_lS9_l,"axG",@progbits,_ZN9rocsolver6v33100L13conj_in_placeI19rocblas_complex_numIfEiPS3_TnNSt9enable_ifIX18rocblas_is_complexIT_EEiE4typeELi0EEEvT0_S9_T1_lS9_l,comdat
.Lfunc_end151:
	.size	_ZN9rocsolver6v33100L13conj_in_placeI19rocblas_complex_numIfEiPS3_TnNSt9enable_ifIX18rocblas_is_complexIT_EEiE4typeELi0EEEvT0_S9_T1_lS9_l, .Lfunc_end151-_ZN9rocsolver6v33100L13conj_in_placeI19rocblas_complex_numIfEiPS3_TnNSt9enable_ifIX18rocblas_is_complexIT_EEiE4typeELi0EEEvT0_S9_T1_lS9_l
                                        ; -- End function
	.section	.AMDGPU.csdata,"",@progbits
; Kernel info:
; codeLenInByte = 276
; NumSgprs: 14
; NumVgprs: 7
; NumAgprs: 0
; TotalNumVgprs: 7
; ScratchSize: 0
; MemoryBound: 0
; FloatMode: 240
; IeeeMode: 1
; LDSByteSize: 0 bytes/workgroup (compile time only)
; SGPRBlocks: 1
; VGPRBlocks: 0
; NumSGPRsForWavesPerEU: 14
; NumVGPRsForWavesPerEU: 7
; AccumOffset: 8
; Occupancy: 8
; WaveLimiterHint : 0
; COMPUTE_PGM_RSRC2:SCRATCH_EN: 0
; COMPUTE_PGM_RSRC2:USER_SGPR: 6
; COMPUTE_PGM_RSRC2:TRAP_HANDLER: 0
; COMPUTE_PGM_RSRC2:TGID_X_EN: 1
; COMPUTE_PGM_RSRC2:TGID_Y_EN: 1
; COMPUTE_PGM_RSRC2:TGID_Z_EN: 1
; COMPUTE_PGM_RSRC2:TIDIG_COMP_CNT: 1
; COMPUTE_PGM_RSRC3_GFX90A:ACCUM_OFFSET: 1
; COMPUTE_PGM_RSRC3_GFX90A:TG_SPLIT: 0
	.section	.text._ZN9rocsolver6v33100L8set_diagI19rocblas_complex_numIfEiS3_PS3_TnNSt9enable_ifIXoont18rocblas_is_complexIT_E18rocblas_is_complexIT1_EEiE4typeELi0EEEvPS7_llT2_lT0_lSC_b,"axG",@progbits,_ZN9rocsolver6v33100L8set_diagI19rocblas_complex_numIfEiS3_PS3_TnNSt9enable_ifIXoont18rocblas_is_complexIT_E18rocblas_is_complexIT1_EEiE4typeELi0EEEvPS7_llT2_lT0_lSC_b,comdat
	.globl	_ZN9rocsolver6v33100L8set_diagI19rocblas_complex_numIfEiS3_PS3_TnNSt9enable_ifIXoont18rocblas_is_complexIT_E18rocblas_is_complexIT1_EEiE4typeELi0EEEvPS7_llT2_lT0_lSC_b ; -- Begin function _ZN9rocsolver6v33100L8set_diagI19rocblas_complex_numIfEiS3_PS3_TnNSt9enable_ifIXoont18rocblas_is_complexIT_E18rocblas_is_complexIT1_EEiE4typeELi0EEEvPS7_llT2_lT0_lSC_b
	.p2align	8
	.type	_ZN9rocsolver6v33100L8set_diagI19rocblas_complex_numIfEiS3_PS3_TnNSt9enable_ifIXoont18rocblas_is_complexIT_E18rocblas_is_complexIT1_EEiE4typeELi0EEEvPS7_llT2_lT0_lSC_b,@function
_ZN9rocsolver6v33100L8set_diagI19rocblas_complex_numIfEiS3_PS3_TnNSt9enable_ifIXoont18rocblas_is_complexIT_E18rocblas_is_complexIT1_EEiE4typeELi0EEEvPS7_llT2_lT0_lSC_b: ; @_ZN9rocsolver6v33100L8set_diagI19rocblas_complex_numIfEiS3_PS3_TnNSt9enable_ifIXoont18rocblas_is_complexIT_E18rocblas_is_complexIT1_EEiE4typeELi0EEEvPS7_llT2_lT0_lSC_b
; %bb.0:
	s_load_dword s2, s[4:5], 0x4c
	s_load_dwordx2 s[0:1], s[4:5], 0x38
	v_bfe_u32 v0, v0, 10, 10
	s_waitcnt lgkmcnt(0)
	s_lshr_b32 s2, s2, 16
	s_mul_i32 s7, s7, s2
	v_add_u32_e32 v0, s7, v0
	v_cmp_gt_i32_e32 vcc, s0, v0
	s_and_saveexec_b64 s[2:3], vcc
	s_cbranch_execz .LBB152_5
; %bb.1:
	s_load_dwordx2 s[2:3], s[4:5], 0x20
	s_load_dword s7, s[4:5], 0x28
	s_load_dwordx2 s[16:17], s[4:5], 0x30
	s_load_dwordx8 s[8:15], s[4:5], 0x0
	s_bitcmp1_b32 s1, 0
	s_cselect_b64 s[0:1], -1, 0
	s_ashr_i32 s18, s6, 31
	s_waitcnt lgkmcnt(0)
	s_mul_i32 s4, s6, s17
	s_mul_hi_u32 s5, s6, s16
	s_add_i32 s4, s5, s4
	s_mul_i32 s5, s18, s16
	s_add_i32 s5, s4, s5
	s_mul_i32 s4, s6, s16
	s_lshl_b64 s[4:5], s[4:5], 3
	s_add_u32 s4, s14, s4
	s_addc_u32 s5, s15, s5
	s_lshl_b64 s[2:3], s[2:3], 3
	s_add_u32 s4, s4, s2
	s_addc_u32 s5, s5, s3
	v_mad_u64_u32 v[2:3], s[2:3], v0, s7, v[0:1]
	v_ashrrev_i32_e32 v3, 31, v2
	v_lshlrev_b64 v[2:3], 3, v[2:3]
	v_mov_b32_e32 v1, s5
	v_add_co_u32_e32 v2, vcc, s4, v2
	v_addc_co_u32_e32 v3, vcc, v1, v3, vcc
	global_load_dwordx2 v[4:5], v[2:3], off
	s_mul_i32 s3, s6, s13
	s_mul_hi_u32 s4, s6, s12
	s_mul_i32 s18, s18, s12
	s_add_i32 s3, s4, s3
	s_mul_i32 s2, s6, s12
	s_add_i32 s3, s3, s18
	s_lshl_b64 s[2:3], s[2:3], 3
	s_add_u32 s4, s8, s2
	s_addc_u32 s5, s9, s3
	s_lshl_b64 s[2:3], s[10:11], 3
	v_ashrrev_i32_e32 v1, 31, v0
	s_add_u32 s2, s4, s2
	v_lshlrev_b64 v[0:1], 3, v[0:1]
	s_addc_u32 s3, s5, s3
	s_and_b64 vcc, exec, s[0:1]
	v_mov_b32_e32 v6, s3
	v_add_co_u32_e64 v0, s[0:1], s2, v0
	v_addc_co_u32_e64 v1, s[0:1], v6, v1, s[0:1]
	s_waitcnt vmcnt(0)
	global_store_dwordx2 v[0:1], v[4:5], off
	s_cbranch_vccnz .LBB152_3
; %bb.2:
	global_load_dwordx2 v[0:1], v[2:3], off
	s_branch .LBB152_4
.LBB152_3:
	v_mov_b32_e32 v0, 1.0
	v_mov_b32_e32 v1, 0
.LBB152_4:
	s_waitcnt vmcnt(0)
	global_store_dwordx2 v[2:3], v[0:1], off
.LBB152_5:
	s_endpgm
	.section	.rodata,"a",@progbits
	.p2align	6, 0x0
	.amdhsa_kernel _ZN9rocsolver6v33100L8set_diagI19rocblas_complex_numIfEiS3_PS3_TnNSt9enable_ifIXoont18rocblas_is_complexIT_E18rocblas_is_complexIT1_EEiE4typeELi0EEEvPS7_llT2_lT0_lSC_b
		.amdhsa_group_segment_fixed_size 0
		.amdhsa_private_segment_fixed_size 0
		.amdhsa_kernarg_size 320
		.amdhsa_user_sgpr_count 6
		.amdhsa_user_sgpr_private_segment_buffer 1
		.amdhsa_user_sgpr_dispatch_ptr 0
		.amdhsa_user_sgpr_queue_ptr 0
		.amdhsa_user_sgpr_kernarg_segment_ptr 1
		.amdhsa_user_sgpr_dispatch_id 0
		.amdhsa_user_sgpr_flat_scratch_init 0
		.amdhsa_user_sgpr_kernarg_preload_length 0
		.amdhsa_user_sgpr_kernarg_preload_offset 0
		.amdhsa_user_sgpr_private_segment_size 0
		.amdhsa_uses_dynamic_stack 0
		.amdhsa_system_sgpr_private_segment_wavefront_offset 0
		.amdhsa_system_sgpr_workgroup_id_x 1
		.amdhsa_system_sgpr_workgroup_id_y 1
		.amdhsa_system_sgpr_workgroup_id_z 0
		.amdhsa_system_sgpr_workgroup_info 0
		.amdhsa_system_vgpr_workitem_id 1
		.amdhsa_next_free_vgpr 7
		.amdhsa_next_free_sgpr 19
		.amdhsa_accum_offset 8
		.amdhsa_reserve_vcc 1
		.amdhsa_reserve_flat_scratch 0
		.amdhsa_float_round_mode_32 0
		.amdhsa_float_round_mode_16_64 0
		.amdhsa_float_denorm_mode_32 3
		.amdhsa_float_denorm_mode_16_64 3
		.amdhsa_dx10_clamp 1
		.amdhsa_ieee_mode 1
		.amdhsa_fp16_overflow 0
		.amdhsa_tg_split 0
		.amdhsa_exception_fp_ieee_invalid_op 0
		.amdhsa_exception_fp_denorm_src 0
		.amdhsa_exception_fp_ieee_div_zero 0
		.amdhsa_exception_fp_ieee_overflow 0
		.amdhsa_exception_fp_ieee_underflow 0
		.amdhsa_exception_fp_ieee_inexact 0
		.amdhsa_exception_int_div_zero 0
	.end_amdhsa_kernel
	.section	.text._ZN9rocsolver6v33100L8set_diagI19rocblas_complex_numIfEiS3_PS3_TnNSt9enable_ifIXoont18rocblas_is_complexIT_E18rocblas_is_complexIT1_EEiE4typeELi0EEEvPS7_llT2_lT0_lSC_b,"axG",@progbits,_ZN9rocsolver6v33100L8set_diagI19rocblas_complex_numIfEiS3_PS3_TnNSt9enable_ifIXoont18rocblas_is_complexIT_E18rocblas_is_complexIT1_EEiE4typeELi0EEEvPS7_llT2_lT0_lSC_b,comdat
.Lfunc_end152:
	.size	_ZN9rocsolver6v33100L8set_diagI19rocblas_complex_numIfEiS3_PS3_TnNSt9enable_ifIXoont18rocblas_is_complexIT_E18rocblas_is_complexIT1_EEiE4typeELi0EEEvPS7_llT2_lT0_lSC_b, .Lfunc_end152-_ZN9rocsolver6v33100L8set_diagI19rocblas_complex_numIfEiS3_PS3_TnNSt9enable_ifIXoont18rocblas_is_complexIT_E18rocblas_is_complexIT1_EEiE4typeELi0EEEvPS7_llT2_lT0_lSC_b
                                        ; -- End function
	.section	.AMDGPU.csdata,"",@progbits
; Kernel info:
; codeLenInByte = 324
; NumSgprs: 23
; NumVgprs: 7
; NumAgprs: 0
; TotalNumVgprs: 7
; ScratchSize: 0
; MemoryBound: 0
; FloatMode: 240
; IeeeMode: 1
; LDSByteSize: 0 bytes/workgroup (compile time only)
; SGPRBlocks: 2
; VGPRBlocks: 0
; NumSGPRsForWavesPerEU: 23
; NumVGPRsForWavesPerEU: 7
; AccumOffset: 8
; Occupancy: 8
; WaveLimiterHint : 0
; COMPUTE_PGM_RSRC2:SCRATCH_EN: 0
; COMPUTE_PGM_RSRC2:USER_SGPR: 6
; COMPUTE_PGM_RSRC2:TRAP_HANDLER: 0
; COMPUTE_PGM_RSRC2:TGID_X_EN: 1
; COMPUTE_PGM_RSRC2:TGID_Y_EN: 1
; COMPUTE_PGM_RSRC2:TGID_Z_EN: 0
; COMPUTE_PGM_RSRC2:TIDIG_COMP_CNT: 1
; COMPUTE_PGM_RSRC3_GFX90A:ACCUM_OFFSET: 1
; COMPUTE_PGM_RSRC3_GFX90A:TG_SPLIT: 0
	.section	.text._ZN9rocsolver6v33100L16larf_left_kernelILi1024E19rocblas_complex_numIfEiPS3_EEvT1_S5_T2_lS5_lPKT0_lS6_lS5_l,"axG",@progbits,_ZN9rocsolver6v33100L16larf_left_kernelILi1024E19rocblas_complex_numIfEiPS3_EEvT1_S5_T2_lS5_lPKT0_lS6_lS5_l,comdat
	.globl	_ZN9rocsolver6v33100L16larf_left_kernelILi1024E19rocblas_complex_numIfEiPS3_EEvT1_S5_T2_lS5_lPKT0_lS6_lS5_l ; -- Begin function _ZN9rocsolver6v33100L16larf_left_kernelILi1024E19rocblas_complex_numIfEiPS3_EEvT1_S5_T2_lS5_lPKT0_lS6_lS5_l
	.p2align	8
	.type	_ZN9rocsolver6v33100L16larf_left_kernelILi1024E19rocblas_complex_numIfEiPS3_EEvT1_S5_T2_lS5_lPKT0_lS6_lS5_l,@function
_ZN9rocsolver6v33100L16larf_left_kernelILi1024E19rocblas_complex_numIfEiPS3_EEvT1_S5_T2_lS5_lPKT0_lS6_lS5_l: ; @_ZN9rocsolver6v33100L16larf_left_kernelILi1024E19rocblas_complex_numIfEiPS3_EEvT1_S5_T2_lS5_lPKT0_lS6_lS5_l
; %bb.0:
	s_load_dwordx2 s[0:1], s[4:5], 0x50
	s_load_dwordx2 s[2:3], s[4:5], 0x40
	s_load_dword s6, s[4:5], 0x48
	s_load_dword s9, s[4:5], 0x0
	s_load_dwordx8 s[12:19], s[4:5], 0x20
	s_ashr_i32 s22, s8, 31
	s_waitcnt lgkmcnt(0)
	s_mul_i32 s1, s8, s1
	s_mul_hi_u32 s10, s8, s0
	s_add_i32 s1, s10, s1
	s_mul_i32 s10, s22, s0
	v_mov_b32_e32 v5, 0
	s_add_i32 s11, s1, s10
	s_mul_i32 s10, s8, s0
	s_mul_hi_i32 s21, s6, s7
	s_mul_i32 s20, s6, s7
	v_cmp_gt_i32_e64 s[0:1], s9, v0
	v_mov_b32_e32 v4, v5
	s_and_saveexec_b64 s[6:7], s[0:1]
	s_cbranch_execz .LBB153_6
; %bb.1:
	s_load_dword s28, s[4:5], 0x18
	s_load_dwordx4 s[24:27], s[4:5], 0x8
	s_sub_i32 s4, 1, s9
	s_mul_hi_u32 s30, s12, s8
	s_mul_i32 s13, s13, s8
	s_waitcnt lgkmcnt(0)
	s_ashr_i32 s29, s28, 31
	s_mul_i32 s23, s4, s28
	v_cmp_lt_i64_e64 s[4:5], s[28:29], 1
	s_and_b64 s[4:5], s[4:5], exec
	s_cselect_b32 s4, s23, 0
	s_mul_i32 s23, s12, s22
	s_add_i32 s23, s30, s23
	s_ashr_i32 s5, s4, 31
	s_add_i32 s13, s23, s13
	s_mul_i32 s12, s12, s8
	s_lshl_b64 s[12:13], s[12:13], 3
	s_lshl_b64 s[26:27], s[26:27], 3
	;; [unrolled: 1-line block ×3, first 2 shown]
	s_add_u32 s4, s24, s4
	s_addc_u32 s5, s25, s5
	s_add_u32 s4, s4, s26
	s_addc_u32 s5, s5, s27
	v_mad_i64_i32 v[2:3], s[30:31], s28, v0, 0
	s_add_u32 s4, s4, s12
	v_lshl_add_u32 v1, v0, 3, 0
	v_lshlrev_b64 v[2:3], 3, v[2:3]
	s_addc_u32 s5, s5, s13
	v_add_u32_e32 v1, 0x80, v1
	v_mov_b32_e32 v4, s5
	v_add_co_u32_e32 v2, vcc, s4, v2
	s_lshl_b64 s[12:13], s[28:29], 13
	v_addc_co_u32_e32 v3, vcc, v4, v3, vcc
	s_mov_b64 s[4:5], 0
	v_mov_b32_e32 v4, s13
	v_mov_b32_e32 v5, v1
	;; [unrolled: 1-line block ×3, first 2 shown]
.LBB153_2:                              ; =>This Inner Loop Header: Depth=1
	global_load_dwordx2 v[8:9], v[2:3], off
	v_add_co_u32_e32 v2, vcc, s12, v2
	v_add_u32_e32 v6, 0x400, v6
	v_addc_co_u32_e32 v3, vcc, v3, v4, vcc
	v_cmp_le_i32_e32 vcc, s9, v6
	s_or_b64 s[4:5], vcc, s[4:5]
	s_waitcnt vmcnt(0)
	ds_write_b64 v5, v[8:9]
	v_add_u32_e32 v5, 0x2000, v5
	s_andn2_b64 exec, exec, s[4:5]
	s_cbranch_execnz .LBB153_2
; %bb.3:
	s_or_b64 exec, exec, s[4:5]
	s_lshl_b64 s[4:5], s[10:11], 3
	s_lshl_b64 s[12:13], s[20:21], 3
	s_add_u32 s12, s4, s12
	s_addc_u32 s13, s5, s13
	s_lshl_b64 s[4:5], s[2:3], 3
	s_add_u32 s4, s12, s4
	s_addc_u32 s5, s13, s5
	s_add_u32 s4, s18, s4
	v_lshlrev_b32_e32 v2, 3, v0
	s_addc_u32 s5, s19, s5
	v_mov_b32_e32 v3, s5
	v_add_co_u32_e32 v4, vcc, s4, v2
	v_mov_b32_e32 v2, 0
	v_addc_co_u32_e32 v5, vcc, 0, v3, vcc
	s_mov_b64 s[4:5], 0
	v_mov_b32_e32 v6, v0
	v_mov_b32_e32 v3, v2
.LBB153_4:                              ; =>This Inner Loop Header: Depth=1
	global_load_dwordx2 v[8:9], v[4:5], off
	ds_read_b64 v[10:11], v1
	v_add_co_u32_e32 v4, vcc, 0x2000, v4
	v_add_u32_e32 v6, 0x400, v6
	v_addc_co_u32_e32 v5, vcc, 0, v5, vcc
	v_cmp_le_i32_e32 vcc, s9, v6
	v_add_u32_e32 v1, 0x2000, v1
	s_or_b64 s[4:5], vcc, s[4:5]
	s_waitcnt vmcnt(0)
	v_mov_b32_e32 v12, v9
	s_waitcnt lgkmcnt(0)
	v_pk_mul_f32 v[14:15], v[8:9], v[10:11] op_sel:[0,1] op_sel_hi:[1,0]
	v_pk_mul_f32 v[12:13], v[12:13], v[10:11] op_sel:[0,1] op_sel_hi:[1,0]
	v_mov_b32_e32 v14, v15
	v_pk_fma_f32 v[12:13], v[8:9], v[10:11], v[12:13]
	v_pk_fma_f32 v[8:9], v[8:9], v[10:11], v[14:15] op_sel:[0,1,0] op_sel_hi:[1,0,1] neg_lo:[0,0,1] neg_hi:[0,0,1]
	v_mov_b32_e32 v9, v12
	v_pk_add_f32 v[2:3], v[2:3], v[8:9]
	s_andn2_b64 exec, exec, s[4:5]
	s_cbranch_execnz .LBB153_4
; %bb.5:
	s_or_b64 exec, exec, s[4:5]
	v_mov_b32_e32 v5, v2
	v_mov_b32_e32 v4, v3
.LBB153_6:
	s_or_b64 exec, exec, s[6:7]
	v_mbcnt_lo_u32_b32 v1, -1, 0
	v_mbcnt_hi_u32_b32 v1, -1, v1
	v_and_b32_e32 v6, 63, v1
	v_cmp_ne_u32_e32 vcc, 63, v6
	v_addc_co_u32_e32 v2, vcc, 0, v1, vcc
	v_lshlrev_b32_e32 v3, 2, v2
	ds_bpermute_b32 v2, v3, v4
	ds_bpermute_b32 v3, v3, v5
	v_cmp_gt_u32_e32 vcc, 62, v6
	v_cndmask_b32_e64 v7, 0, 1, vcc
	v_lshlrev_b32_e32 v7, 1, v7
	v_add_lshl_u32 v7, v7, v1, 2
	s_waitcnt lgkmcnt(0)
	v_pk_add_f32 v[2:3], v[4:5], v[2:3]
	ds_bpermute_b32 v4, v7, v2
	ds_bpermute_b32 v5, v7, v3
	v_cmp_gt_u32_e32 vcc, 60, v6
	v_cndmask_b32_e64 v7, 0, 1, vcc
	v_lshlrev_b32_e32 v7, 2, v7
	v_add_lshl_u32 v7, v7, v1, 2
	s_waitcnt lgkmcnt(0)
	v_pk_add_f32 v[2:3], v[2:3], v[4:5]
	;; [unrolled: 8-line block ×5, first 2 shown]
	ds_bpermute_b32 v4, v1, v2
	ds_bpermute_b32 v5, v1, v3
	v_and_b32_e32 v1, 63, v0
	v_cmp_eq_u32_e32 vcc, 0, v1
	s_waitcnt lgkmcnt(0)
	v_pk_add_f32 v[2:3], v[2:3], v[4:5]
	s_and_saveexec_b64 s[4:5], vcc
	s_cbranch_execz .LBB153_8
; %bb.7:
	v_lshrrev_b32_e32 v1, 3, v0
	v_add_u32_e32 v1, 0, v1
	ds_write2_b32 v1, v2, v3 offset1:1
.LBB153_8:
	s_or_b64 exec, exec, s[4:5]
	v_cmp_eq_u32_e32 vcc, 0, v0
	s_waitcnt lgkmcnt(0)
	s_barrier
	s_and_saveexec_b64 s[4:5], vcc
	s_cbranch_execz .LBB153_10
; %bb.9:
	v_mov_b32_e32 v1, 0
	ds_read2_b64 v[4:7], v1 offset0:1 offset1:2
	ds_read2_b64 v[8:11], v1 offset0:3 offset1:4
	;; [unrolled: 1-line block ×4, first 2 shown]
	s_waitcnt lgkmcnt(3)
	v_pk_add_f32 v[2:3], v[2:3], v[4:5]
	v_pk_add_f32 v[2:3], v[2:3], v[6:7]
	s_waitcnt lgkmcnt(2)
	v_pk_add_f32 v[2:3], v[2:3], v[8:9]
	v_pk_add_f32 v[2:3], v[2:3], v[10:11]
	s_waitcnt lgkmcnt(1)
	v_pk_add_f32 v[6:7], v[2:3], v[12:13]
	ds_read2_b64 v[2:5], v1 offset0:9 offset1:10
	v_pk_add_f32 v[6:7], v[6:7], v[14:15]
	s_waitcnt lgkmcnt(1)
	v_pk_add_f32 v[6:7], v[6:7], v[16:17]
	v_pk_add_f32 v[10:11], v[6:7], v[18:19]
	ds_read2_b64 v[6:9], v1 offset0:11 offset1:12
	s_waitcnt lgkmcnt(1)
	v_pk_add_f32 v[2:3], v[10:11], v[2:3]
	ds_read2_b64 v[10:13], v1 offset0:13 offset1:14
	v_pk_add_f32 v[2:3], v[2:3], v[4:5]
	ds_read_b64 v[4:5], v1 offset:120
	s_waitcnt lgkmcnt(2)
	v_pk_add_f32 v[2:3], v[2:3], v[6:7]
	v_pk_add_f32 v[2:3], v[2:3], v[8:9]
	s_waitcnt lgkmcnt(1)
	v_pk_add_f32 v[2:3], v[2:3], v[10:11]
	v_pk_add_f32 v[2:3], v[2:3], v[12:13]
	s_waitcnt lgkmcnt(0)
	v_pk_add_f32 v[2:3], v[2:3], v[4:5]
	ds_write_b64 v1, v[2:3]
.LBB153_10:
	s_or_b64 exec, exec, s[4:5]
	s_waitcnt lgkmcnt(0)
	s_barrier
	s_and_saveexec_b64 s[4:5], s[0:1]
	s_cbranch_execz .LBB153_20
; %bb.11:
	s_mul_i32 s0, s8, s17
	s_mul_hi_u32 s1, s8, s16
	s_add_i32 s0, s1, s0
	s_mul_i32 s1, s22, s16
	s_add_i32 s1, s0, s1
	s_mul_i32 s0, s8, s16
	s_lshl_b64 s[0:1], s[0:1], 3
	s_add_u32 s0, s14, s0
	s_addc_u32 s1, s15, s1
	v_mov_b32_e32 v7, 0
	s_load_dwordx2 s[0:1], s[0:1], 0x0
	ds_read_b64 v[4:5], v7
	s_mov_b64 s[4:5], 0
	s_waitcnt lgkmcnt(0)
	v_mul_f32_e32 v1, s1, v5
	v_fma_f32 v2, v4, -s0, -v1
	v_mul_f32_e32 v1, s1, v4
	v_fma_f32 v4, s0, v5, -v1
	v_xad_u32 v1, v0, -1, s9
	s_movk_i32 s0, 0x3ff
	v_cmp_lt_u32_e32 vcc, s0, v1
	s_and_saveexec_b64 s[0:1], vcc
	s_xor_b64 s[0:1], exec, s[0:1]
	s_cbranch_execnz .LBB153_14
; %bb.12:
	s_andn2_saveexec_b64 s[0:1], s[0:1]
	s_cbranch_execnz .LBB153_17
.LBB153_13:
	s_or_b64 exec, exec, s[0:1]
	s_and_b64 exec, exec, s[4:5]
	s_cbranch_execnz .LBB153_18
	s_branch .LBB153_20
.LBB153_14:
	s_lshl_b64 s[4:5], s[10:11], 3
	s_add_u32 s6, s18, s4
	s_addc_u32 s7, s19, s5
	s_lshl_b64 s[4:5], s[2:3], 3
	s_add_u32 s6, s6, s4
	v_lshrrev_b32_e32 v1, 10, v1
	s_addc_u32 s7, s7, s5
	s_lshl_b64 s[4:5], s[20:21], 3
	v_add_u32_e32 v10, 1, v1
	s_add_u32 s6, s6, s4
	s_addc_u32 s7, s7, s5
	v_and_b32_e32 v11, 0x7ffffe, v10
	v_or_b32_e32 v1, 0x400, v0
	v_lshl_add_u32 v6, v0, 3, 0
	v_mov_b32_e32 v3, v2
	v_mov_b32_e32 v5, v4
	v_add_u32_e32 v12, 0x80, v6
	s_mov_b64 s[4:5], 0
	v_mov_b32_e32 v13, s7
	v_mov_b32_e32 v14, v11
	v_pk_mov_b32 v[8:9], v[0:1], v[0:1] op_sel:[0,1]
.LBB153_15:                             ; =>This Inner Loop Header: Depth=1
	v_mov_b32_e32 v6, v8
	v_lshlrev_b64 v[16:17], 3, v[6:7]
	v_mov_b32_e32 v6, v9
	v_add_co_u32_e32 v20, vcc, s6, v16
	v_addc_co_u32_e32 v21, vcc, v13, v17, vcc
	v_lshlrev_b64 v[16:17], 3, v[6:7]
	v_add_co_u32_e32 v22, vcc, s6, v16
	v_addc_co_u32_e32 v23, vcc, v13, v17, vcc
	global_load_dwordx2 v[24:25], v[20:21], off
	global_load_dwordx2 v[26:27], v[22:23], off
	ds_read2st64_b64 v[16:19], v12 offset1:16
	v_add_u32_e32 v14, -2, v14
	v_cmp_eq_u32_e32 vcc, 0, v14
	v_add_u32_e32 v8, 0x800, v8
	v_add_u32_e32 v12, 0x4000, v12
	s_waitcnt lgkmcnt(0)
	v_mov_b32_e32 v29, v18
	v_mov_b32_e32 v18, v17
	;; [unrolled: 1-line block ×3, first 2 shown]
	v_pk_mul_f32 v[16:17], v[4:5], v[18:19]
	v_pk_mul_f32 v[18:19], v[2:3], v[18:19]
	v_pk_fma_f32 v[16:17], v[2:3], v[28:29], v[16:17] neg_lo:[0,0,1] neg_hi:[0,0,1]
	v_pk_fma_f32 v[18:19], v[4:5], v[28:29], v[18:19]
	v_add_u32_e32 v9, 0x800, v9
	s_or_b64 s[4:5], vcc, s[4:5]
	s_waitcnt vmcnt(1)
	v_mov_b32_e32 v28, v24
	s_waitcnt vmcnt(0)
	v_mov_b32_e32 v29, v26
	v_mov_b32_e32 v26, v25
	v_pk_add_f32 v[16:17], v[28:29], v[16:17]
	v_pk_add_f32 v[18:19], v[26:27], v[18:19]
	v_mov_b32_e32 v24, v16
	v_mov_b32_e32 v25, v18
	;; [unrolled: 1-line block ×3, first 2 shown]
	global_store_dwordx2 v[20:21], v[24:25], off
	global_store_dwordx2 v[22:23], v[18:19], off
	s_andn2_b64 exec, exec, s[4:5]
	s_cbranch_execnz .LBB153_15
; %bb.16:
	s_or_b64 exec, exec, s[4:5]
	v_cmp_ne_u32_e32 vcc, v10, v11
	v_lshl_or_b32 v0, v11, 10, v0
	s_and_b64 s[4:5], vcc, exec
	s_andn2_saveexec_b64 s[0:1], s[0:1]
	s_cbranch_execz .LBB153_13
.LBB153_17:
	s_or_b64 s[4:5], s[4:5], exec
	s_or_b64 exec, exec, s[0:1]
	s_and_b64 exec, exec, s[4:5]
	s_cbranch_execz .LBB153_20
.LBB153_18:
	s_lshl_b64 s[0:1], s[10:11], 3
	s_lshl_b64 s[4:5], s[20:21], 3
	s_add_u32 s4, s0, s4
	s_addc_u32 s5, s1, s5
	s_lshl_b64 s[0:1], s[2:3], 3
	s_add_u32 s0, s4, s0
	v_lshl_add_u32 v1, v0, 3, 0
	s_addc_u32 s1, s5, s1
	v_add_u32_e32 v8, 0x80, v1
	v_mov_b32_e32 v1, 0
	s_add_u32 s0, s18, s0
	v_lshlrev_b64 v[6:7], 3, v[0:1]
	s_addc_u32 s1, s19, s1
	v_mov_b32_e32 v1, s1
	v_add_co_u32_e32 v6, vcc, s0, v6
	v_mov_b32_e32 v5, v4
	v_mov_b32_e32 v3, v2
	v_addc_co_u32_e32 v7, vcc, v1, v7, vcc
	s_mov_b64 s[0:1], 0
.LBB153_19:                             ; =>This Inner Loop Header: Depth=1
	global_load_dwordx2 v[10:11], v[6:7], off
	ds_read_b64 v[12:13], v8
	v_add_u32_e32 v0, 0x400, v0
	v_cmp_le_i32_e32 vcc, s9, v0
	s_or_b64 s[0:1], vcc, s[0:1]
	v_add_u32_e32 v8, 0x2000, v8
	s_waitcnt lgkmcnt(0)
	v_pk_mul_f32 v[14:15], v[4:5], v[12:13]
	v_pk_fma_f32 v[16:17], v[2:3], v[12:13], v[14:15] op_sel:[0,0,1] op_sel_hi:[1,1,0] neg_lo:[0,0,1] neg_hi:[0,0,1]
	v_pk_fma_f32 v[12:13], v[2:3], v[12:13], v[14:15] op_sel:[0,0,1] op_sel_hi:[1,1,0]
	v_mov_b32_e32 v17, v13
	s_waitcnt vmcnt(0)
	v_pk_add_f32 v[10:11], v[10:11], v[16:17]
	global_store_dwordx2 v[6:7], v[10:11], off
	v_add_co_u32_e32 v6, vcc, 0x2000, v6
	v_addc_co_u32_e32 v7, vcc, 0, v7, vcc
	s_andn2_b64 exec, exec, s[0:1]
	s_cbranch_execnz .LBB153_19
.LBB153_20:
	s_endpgm
	.section	.rodata,"a",@progbits
	.p2align	6, 0x0
	.amdhsa_kernel _ZN9rocsolver6v33100L16larf_left_kernelILi1024E19rocblas_complex_numIfEiPS3_EEvT1_S5_T2_lS5_lPKT0_lS6_lS5_l
		.amdhsa_group_segment_fixed_size 0
		.amdhsa_private_segment_fixed_size 0
		.amdhsa_kernarg_size 88
		.amdhsa_user_sgpr_count 6
		.amdhsa_user_sgpr_private_segment_buffer 1
		.amdhsa_user_sgpr_dispatch_ptr 0
		.amdhsa_user_sgpr_queue_ptr 0
		.amdhsa_user_sgpr_kernarg_segment_ptr 1
		.amdhsa_user_sgpr_dispatch_id 0
		.amdhsa_user_sgpr_flat_scratch_init 0
		.amdhsa_user_sgpr_kernarg_preload_length 0
		.amdhsa_user_sgpr_kernarg_preload_offset 0
		.amdhsa_user_sgpr_private_segment_size 0
		.amdhsa_uses_dynamic_stack 0
		.amdhsa_system_sgpr_private_segment_wavefront_offset 0
		.amdhsa_system_sgpr_workgroup_id_x 1
		.amdhsa_system_sgpr_workgroup_id_y 1
		.amdhsa_system_sgpr_workgroup_id_z 1
		.amdhsa_system_sgpr_workgroup_info 0
		.amdhsa_system_vgpr_workitem_id 0
		.amdhsa_next_free_vgpr 30
		.amdhsa_next_free_sgpr 32
		.amdhsa_accum_offset 32
		.amdhsa_reserve_vcc 1
		.amdhsa_reserve_flat_scratch 0
		.amdhsa_float_round_mode_32 0
		.amdhsa_float_round_mode_16_64 0
		.amdhsa_float_denorm_mode_32 3
		.amdhsa_float_denorm_mode_16_64 3
		.amdhsa_dx10_clamp 1
		.amdhsa_ieee_mode 1
		.amdhsa_fp16_overflow 0
		.amdhsa_tg_split 0
		.amdhsa_exception_fp_ieee_invalid_op 0
		.amdhsa_exception_fp_denorm_src 0
		.amdhsa_exception_fp_ieee_div_zero 0
		.amdhsa_exception_fp_ieee_overflow 0
		.amdhsa_exception_fp_ieee_underflow 0
		.amdhsa_exception_fp_ieee_inexact 0
		.amdhsa_exception_int_div_zero 0
	.end_amdhsa_kernel
	.section	.text._ZN9rocsolver6v33100L16larf_left_kernelILi1024E19rocblas_complex_numIfEiPS3_EEvT1_S5_T2_lS5_lPKT0_lS6_lS5_l,"axG",@progbits,_ZN9rocsolver6v33100L16larf_left_kernelILi1024E19rocblas_complex_numIfEiPS3_EEvT1_S5_T2_lS5_lPKT0_lS6_lS5_l,comdat
.Lfunc_end153:
	.size	_ZN9rocsolver6v33100L16larf_left_kernelILi1024E19rocblas_complex_numIfEiPS3_EEvT1_S5_T2_lS5_lPKT0_lS6_lS5_l, .Lfunc_end153-_ZN9rocsolver6v33100L16larf_left_kernelILi1024E19rocblas_complex_numIfEiPS3_EEvT1_S5_T2_lS5_lPKT0_lS6_lS5_l
                                        ; -- End function
	.section	.AMDGPU.csdata,"",@progbits
; Kernel info:
; codeLenInByte = 1884
; NumSgprs: 36
; NumVgprs: 30
; NumAgprs: 0
; TotalNumVgprs: 30
; ScratchSize: 0
; MemoryBound: 0
; FloatMode: 240
; IeeeMode: 1
; LDSByteSize: 0 bytes/workgroup (compile time only)
; SGPRBlocks: 4
; VGPRBlocks: 3
; NumSGPRsForWavesPerEU: 36
; NumVGPRsForWavesPerEU: 30
; AccumOffset: 32
; Occupancy: 8
; WaveLimiterHint : 0
; COMPUTE_PGM_RSRC2:SCRATCH_EN: 0
; COMPUTE_PGM_RSRC2:USER_SGPR: 6
; COMPUTE_PGM_RSRC2:TRAP_HANDLER: 0
; COMPUTE_PGM_RSRC2:TGID_X_EN: 1
; COMPUTE_PGM_RSRC2:TGID_Y_EN: 1
; COMPUTE_PGM_RSRC2:TGID_Z_EN: 1
; COMPUTE_PGM_RSRC2:TIDIG_COMP_CNT: 0
; COMPUTE_PGM_RSRC3_GFX90A:ACCUM_OFFSET: 7
; COMPUTE_PGM_RSRC3_GFX90A:TG_SPLIT: 0
	.section	.text._ZN9rocsolver6v33100L17larf_right_kernelILi1024E19rocblas_complex_numIfEiPS3_EEvT1_S5_T2_lS5_lPKT0_lS6_lS5_l,"axG",@progbits,_ZN9rocsolver6v33100L17larf_right_kernelILi1024E19rocblas_complex_numIfEiPS3_EEvT1_S5_T2_lS5_lPKT0_lS6_lS5_l,comdat
	.globl	_ZN9rocsolver6v33100L17larf_right_kernelILi1024E19rocblas_complex_numIfEiPS3_EEvT1_S5_T2_lS5_lPKT0_lS6_lS5_l ; -- Begin function _ZN9rocsolver6v33100L17larf_right_kernelILi1024E19rocblas_complex_numIfEiPS3_EEvT1_S5_T2_lS5_lPKT0_lS6_lS5_l
	.p2align	8
	.type	_ZN9rocsolver6v33100L17larf_right_kernelILi1024E19rocblas_complex_numIfEiPS3_EEvT1_S5_T2_lS5_lPKT0_lS6_lS5_l,@function
_ZN9rocsolver6v33100L17larf_right_kernelILi1024E19rocblas_complex_numIfEiPS3_EEvT1_S5_T2_lS5_lPKT0_lS6_lS5_l: ; @_ZN9rocsolver6v33100L17larf_right_kernelILi1024E19rocblas_complex_numIfEiPS3_EEvT1_S5_T2_lS5_lPKT0_lS6_lS5_l
; %bb.0:
	s_load_dword s9, s[4:5], 0x4
	s_load_dwordx8 s[12:19], s[4:5], 0x20
	s_load_dwordx2 s[10:11], s[4:5], 0x40
	s_load_dword s2, s[4:5], 0x48
	s_load_dwordx2 s[0:1], s[4:5], 0x50
	s_ashr_i32 s27, s8, 31
	v_mov_b32_e32 v3, 0
	s_mov_b32 s6, s7
	s_ashr_i32 s7, s7, 31
	s_waitcnt lgkmcnt(0)
	v_cmp_gt_i32_e32 vcc, s9, v0
	v_lshl_add_u32 v1, v0, 3, 0
	s_mul_i32 s24, s0, s27
	s_mul_hi_u32 s25, s0, s8
	s_mul_i32 s26, s1, s8
	s_mul_i32 s20, s0, s8
	v_mov_b32_e32 v2, v3
	s_and_saveexec_b64 s[22:23], vcc
	s_cbranch_execz .LBB154_6
; %bb.1:
	s_load_dword s34, s[4:5], 0x18
	s_load_dwordx4 s[28:31], s[4:5], 0x8
	s_sub_i32 s0, 1, s9
	s_mul_hi_u32 s4, s12, s8
	v_add_u32_e32 v6, 0x80, v1
	s_waitcnt lgkmcnt(0)
	s_ashr_i32 s35, s34, 31
	s_mul_i32 s3, s0, s34
	v_cmp_lt_i64_e64 s[0:1], s[34:35], 1
	s_and_b64 s[0:1], s[0:1], exec
	s_cselect_b32 s0, s3, 0
	s_mul_i32 s3, s12, s27
	s_add_i32 s3, s4, s3
	s_mul_i32 s4, s13, s8
	s_ashr_i32 s1, s0, 31
	s_add_i32 s5, s3, s4
	s_mul_i32 s4, s12, s8
	v_mad_i64_i32 v[2:3], s[12:13], s34, v0, 0
	s_lshl_b64 s[4:5], s[4:5], 3
	s_lshl_b64 s[12:13], s[30:31], 3
	s_lshl_b64 s[0:1], s[0:1], 3
	s_add_u32 s0, s28, s0
	s_addc_u32 s1, s29, s1
	s_add_u32 s0, s0, s12
	s_addc_u32 s1, s1, s13
	s_add_u32 s0, s0, s4
	v_lshlrev_b64 v[2:3], 3, v[2:3]
	s_addc_u32 s1, s1, s5
	v_mov_b32_e32 v4, s1
	v_add_co_u32_e64 v2, s[0:1], s0, v2
	s_lshl_b64 s[12:13], s[34:35], 13
	v_addc_co_u32_e64 v3, s[0:1], v4, v3, s[0:1]
	s_mov_b64 s[4:5], 0
	v_mov_b32_e32 v4, s13
	v_mov_b32_e32 v5, v6
	;; [unrolled: 1-line block ×3, first 2 shown]
.LBB154_2:                              ; =>This Inner Loop Header: Depth=1
	global_load_dwordx2 v[8:9], v[2:3], off
	v_add_co_u32_e64 v2, s[0:1], s12, v2
	v_add_u32_e32 v7, 0x400, v7
	v_addc_co_u32_e64 v3, s[0:1], v3, v4, s[0:1]
	v_cmp_le_i32_e64 s[0:1], s9, v7
	s_or_b64 s[4:5], s[0:1], s[4:5]
	s_waitcnt vmcnt(0)
	ds_write_b64 v5, v[8:9]
	v_add_u32_e32 v5, 0x2000, v5
	s_andn2_b64 exec, exec, s[4:5]
	s_cbranch_execnz .LBB154_2
; %bb.3:
	s_or_b64 exec, exec, s[4:5]
	s_add_i32 s0, s25, s24
	s_add_i32 s21, s0, s26
	v_mad_i64_i32 v[2:3], s[4:5], s2, v0, 0
	s_ashr_i32 s3, s2, 31
	s_lshl_b64 s[0:1], s[20:21], 3
	s_lshl_b64 s[4:5], s[10:11], 3
	;; [unrolled: 1-line block ×3, first 2 shown]
	s_add_u32 s12, s18, s12
	s_addc_u32 s13, s19, s13
	s_add_u32 s4, s12, s4
	s_addc_u32 s5, s13, s5
	s_add_u32 s0, s4, s0
	v_lshlrev_b64 v[2:3], 3, v[2:3]
	s_addc_u32 s1, s5, s1
	v_mov_b32_e32 v5, s1
	v_add_co_u32_e64 v4, s[0:1], s0, v2
	v_addc_co_u32_e64 v5, s[0:1], v5, v3, s[0:1]
	s_lshl_b64 s[12:13], s[2:3], 13
	v_mov_b32_e32 v3, 0
	s_mov_b64 s[4:5], 0
	v_mov_b32_e32 v7, s13
	v_mov_b32_e32 v8, v0
	;; [unrolled: 1-line block ×3, first 2 shown]
.LBB154_4:                              ; =>This Inner Loop Header: Depth=1
	global_load_dwordx2 v[10:11], v[4:5], off
	ds_read_b64 v[12:13], v6
	v_add_co_u32_e64 v4, s[0:1], s12, v4
	v_add_u32_e32 v8, 0x400, v8
	v_addc_co_u32_e64 v5, s[0:1], v5, v7, s[0:1]
	v_cmp_le_i32_e64 s[0:1], s9, v8
	v_add_u32_e32 v6, 0x2000, v6
	s_or_b64 s[4:5], s[0:1], s[4:5]
	s_waitcnt vmcnt(0) lgkmcnt(0)
	v_mul_f32_e32 v9, v13, v11
	v_mul_f32_e32 v11, v12, v11
	v_fma_f32 v9, v12, v10, -v9
	v_fmac_f32_e32 v11, v13, v10
	v_add_f32_e32 v2, v2, v9
	v_add_f32_e32 v3, v3, v11
	s_andn2_b64 exec, exec, s[4:5]
	s_cbranch_execnz .LBB154_4
; %bb.5:
	s_or_b64 exec, exec, s[4:5]
.LBB154_6:
	s_or_b64 exec, exec, s[22:23]
	v_mbcnt_lo_u32_b32 v4, -1, 0
	v_mbcnt_hi_u32_b32 v6, -1, v4
	v_and_b32_e32 v7, 63, v6
	v_cmp_ne_u32_e64 s[0:1], 63, v7
	v_addc_co_u32_e64 v4, s[0:1], 0, v6, s[0:1]
	v_lshlrev_b32_e32 v5, 2, v4
	ds_bpermute_b32 v4, v5, v2
	ds_bpermute_b32 v5, v5, v3
	v_cmp_gt_u32_e64 s[0:1], 62, v7
	v_cndmask_b32_e64 v8, 0, 1, s[0:1]
	v_lshlrev_b32_e32 v8, 1, v8
	v_add_lshl_u32 v8, v8, v6, 2
	s_waitcnt lgkmcnt(0)
	v_pk_add_f32 v[2:3], v[2:3], v[4:5]
	ds_bpermute_b32 v4, v8, v2
	ds_bpermute_b32 v5, v8, v3
	v_cmp_gt_u32_e64 s[0:1], 60, v7
	v_cndmask_b32_e64 v8, 0, 1, s[0:1]
	v_lshlrev_b32_e32 v8, 2, v8
	v_add_lshl_u32 v8, v8, v6, 2
	s_waitcnt lgkmcnt(0)
	v_pk_add_f32 v[2:3], v[2:3], v[4:5]
	ds_bpermute_b32 v4, v8, v2
	ds_bpermute_b32 v5, v8, v3
	v_cmp_gt_u32_e64 s[0:1], 56, v7
	v_cndmask_b32_e64 v8, 0, 1, s[0:1]
	v_lshlrev_b32_e32 v8, 3, v8
	v_add_lshl_u32 v8, v8, v6, 2
	s_waitcnt lgkmcnt(0)
	v_pk_add_f32 v[2:3], v[2:3], v[4:5]
	ds_bpermute_b32 v4, v8, v2
	ds_bpermute_b32 v5, v8, v3
	v_cmp_gt_u32_e64 s[0:1], 48, v7
	v_cndmask_b32_e64 v8, 0, 1, s[0:1]
	v_lshlrev_b32_e32 v8, 4, v8
	v_add_lshl_u32 v8, v8, v6, 2
	s_waitcnt lgkmcnt(0)
	v_pk_add_f32 v[2:3], v[2:3], v[4:5]
	ds_bpermute_b32 v4, v8, v2
	ds_bpermute_b32 v5, v8, v3
	v_cmp_gt_u32_e64 s[0:1], 32, v7
	v_cndmask_b32_e64 v7, 0, 1, s[0:1]
	v_lshlrev_b32_e32 v7, 5, v7
	v_add_lshl_u32 v6, v7, v6, 2
	s_waitcnt lgkmcnt(0)
	v_pk_add_f32 v[2:3], v[2:3], v[4:5]
	ds_bpermute_b32 v4, v6, v2
	ds_bpermute_b32 v5, v6, v3
	s_waitcnt lgkmcnt(0)
	v_pk_add_f32 v[2:3], v[2:3], v[4:5]
	v_and_b32_e32 v4, 63, v0
	v_cmp_eq_u32_e64 s[0:1], 0, v4
	s_and_saveexec_b64 s[4:5], s[0:1]
	s_cbranch_execz .LBB154_8
; %bb.7:
	v_lshrrev_b32_e32 v4, 3, v0
	v_add_u32_e32 v4, 0, v4
	ds_write2_b32 v4, v2, v3 offset1:1
.LBB154_8:
	s_or_b64 exec, exec, s[4:5]
	v_cmp_eq_u32_e64 s[0:1], 0, v0
	s_waitcnt lgkmcnt(0)
	s_barrier
	s_and_saveexec_b64 s[4:5], s[0:1]
	s_cbranch_execz .LBB154_10
; %bb.9:
	v_mov_b32_e32 v20, 0
	ds_read2_b64 v[4:7], v20 offset0:1 offset1:2
	ds_read2_b64 v[8:11], v20 offset0:3 offset1:4
	;; [unrolled: 1-line block ×4, first 2 shown]
	s_waitcnt lgkmcnt(3)
	v_pk_add_f32 v[2:3], v[2:3], v[4:5]
	v_pk_add_f32 v[2:3], v[2:3], v[6:7]
	s_waitcnt lgkmcnt(2)
	v_pk_add_f32 v[2:3], v[2:3], v[8:9]
	v_pk_add_f32 v[2:3], v[2:3], v[10:11]
	s_waitcnt lgkmcnt(1)
	v_pk_add_f32 v[6:7], v[2:3], v[12:13]
	ds_read2_b64 v[2:5], v20 offset0:9 offset1:10
	v_pk_add_f32 v[6:7], v[6:7], v[14:15]
	s_waitcnt lgkmcnt(1)
	v_pk_add_f32 v[6:7], v[6:7], v[16:17]
	v_pk_add_f32 v[10:11], v[6:7], v[18:19]
	ds_read2_b64 v[6:9], v20 offset0:11 offset1:12
	s_waitcnt lgkmcnt(1)
	v_pk_add_f32 v[2:3], v[10:11], v[2:3]
	ds_read2_b64 v[10:13], v20 offset0:13 offset1:14
	v_pk_add_f32 v[2:3], v[2:3], v[4:5]
	ds_read_b64 v[4:5], v20 offset:120
	s_waitcnt lgkmcnt(2)
	v_pk_add_f32 v[2:3], v[2:3], v[6:7]
	v_pk_add_f32 v[2:3], v[2:3], v[8:9]
	s_waitcnt lgkmcnt(1)
	v_pk_add_f32 v[2:3], v[2:3], v[10:11]
	v_pk_add_f32 v[2:3], v[2:3], v[12:13]
	s_waitcnt lgkmcnt(0)
	v_pk_add_f32 v[2:3], v[2:3], v[4:5]
	ds_write_b64 v20, v[2:3]
.LBB154_10:
	s_or_b64 exec, exec, s[4:5]
	s_waitcnt lgkmcnt(0)
	s_barrier
	s_and_saveexec_b64 s[0:1], vcc
	s_cbranch_execz .LBB154_13
; %bb.11:
	s_mul_i32 s0, s8, s17
	s_mul_hi_u32 s1, s8, s16
	s_add_i32 s0, s1, s0
	s_mul_i32 s1, s27, s16
	s_add_i32 s1, s0, s1
	s_mul_i32 s0, s8, s16
	s_lshl_b64 s[0:1], s[0:1], 3
	s_add_u32 s0, s14, s0
	s_addc_u32 s1, s15, s1
	v_mov_b32_e32 v2, 0
	ds_read_b64 v[4:5], v2
	s_load_dwordx2 s[0:1], s[0:1], 0x0
	v_mad_i64_i32 v[6:7], s[4:5], s2, v0, 0
	s_ashr_i32 s3, s2, 31
	s_lshl_b64 s[4:5], s[10:11], 3
	s_waitcnt lgkmcnt(0)
	v_mul_f32_e32 v2, s0, v5
	v_mul_f32_e32 v3, s0, v4
	s_add_i32 s0, s25, s24
	s_add_i32 s21, s0, s26
	v_fma_f32 v2, v4, -s1, -v2
	v_fma_f32 v4, s1, v5, -v3
	s_lshl_b64 s[0:1], s[20:21], 3
	s_lshl_b64 s[6:7], s[6:7], 3
	s_add_u32 s6, s18, s6
	s_addc_u32 s7, s19, s7
	s_add_u32 s4, s6, s4
	s_addc_u32 s5, s7, s5
	s_add_u32 s0, s4, s0
	v_lshlrev_b64 v[6:7], 3, v[6:7]
	s_addc_u32 s1, s5, s1
	v_mov_b32_e32 v8, s1
	v_add_co_u32_e32 v6, vcc, s0, v6
	s_lshl_b64 s[0:1], s[2:3], 13
	v_mov_b32_e32 v3, v2
	v_mov_b32_e32 v5, v4
	v_add_u32_e32 v1, 0x80, v1
	v_addc_co_u32_e32 v7, vcc, v8, v7, vcc
	s_mov_b64 s[2:3], 0
	v_mov_b32_e32 v8, s1
.LBB154_12:                             ; =>This Inner Loop Header: Depth=1
	global_load_dwordx2 v[10:11], v[6:7], off
	ds_read_b64 v[12:13], v1
	v_add_u32_e32 v0, 0x400, v0
	v_cmp_le_i32_e32 vcc, s9, v0
	s_or_b64 s[2:3], vcc, s[2:3]
	v_add_u32_e32 v1, 0x2000, v1
	s_waitcnt lgkmcnt(0)
	v_pk_mul_f32 v[14:15], v[2:3], v[12:13]
	v_pk_fma_f32 v[16:17], v[4:5], v[12:13], v[14:15] op_sel:[0,0,1] op_sel_hi:[1,1,0]
	v_pk_fma_f32 v[12:13], v[4:5], v[12:13], v[14:15] op_sel:[0,0,1] op_sel_hi:[1,1,0] neg_lo:[1,0,0] neg_hi:[1,0,0]
	v_mov_b32_e32 v17, v13
	s_waitcnt vmcnt(0)
	v_pk_add_f32 v[10:11], v[10:11], v[16:17]
	global_store_dwordx2 v[6:7], v[10:11], off
	v_add_co_u32_e32 v6, vcc, s0, v6
	v_addc_co_u32_e32 v7, vcc, v7, v8, vcc
	s_andn2_b64 exec, exec, s[2:3]
	s_cbranch_execnz .LBB154_12
.LBB154_13:
	s_endpgm
	.section	.rodata,"a",@progbits
	.p2align	6, 0x0
	.amdhsa_kernel _ZN9rocsolver6v33100L17larf_right_kernelILi1024E19rocblas_complex_numIfEiPS3_EEvT1_S5_T2_lS5_lPKT0_lS6_lS5_l
		.amdhsa_group_segment_fixed_size 0
		.amdhsa_private_segment_fixed_size 0
		.amdhsa_kernarg_size 88
		.amdhsa_user_sgpr_count 6
		.amdhsa_user_sgpr_private_segment_buffer 1
		.amdhsa_user_sgpr_dispatch_ptr 0
		.amdhsa_user_sgpr_queue_ptr 0
		.amdhsa_user_sgpr_kernarg_segment_ptr 1
		.amdhsa_user_sgpr_dispatch_id 0
		.amdhsa_user_sgpr_flat_scratch_init 0
		.amdhsa_user_sgpr_kernarg_preload_length 0
		.amdhsa_user_sgpr_kernarg_preload_offset 0
		.amdhsa_user_sgpr_private_segment_size 0
		.amdhsa_uses_dynamic_stack 0
		.amdhsa_system_sgpr_private_segment_wavefront_offset 0
		.amdhsa_system_sgpr_workgroup_id_x 1
		.amdhsa_system_sgpr_workgroup_id_y 1
		.amdhsa_system_sgpr_workgroup_id_z 1
		.amdhsa_system_sgpr_workgroup_info 0
		.amdhsa_system_vgpr_workitem_id 0
		.amdhsa_next_free_vgpr 21
		.amdhsa_next_free_sgpr 36
		.amdhsa_accum_offset 24
		.amdhsa_reserve_vcc 1
		.amdhsa_reserve_flat_scratch 0
		.amdhsa_float_round_mode_32 0
		.amdhsa_float_round_mode_16_64 0
		.amdhsa_float_denorm_mode_32 3
		.amdhsa_float_denorm_mode_16_64 3
		.amdhsa_dx10_clamp 1
		.amdhsa_ieee_mode 1
		.amdhsa_fp16_overflow 0
		.amdhsa_tg_split 0
		.amdhsa_exception_fp_ieee_invalid_op 0
		.amdhsa_exception_fp_denorm_src 0
		.amdhsa_exception_fp_ieee_div_zero 0
		.amdhsa_exception_fp_ieee_overflow 0
		.amdhsa_exception_fp_ieee_underflow 0
		.amdhsa_exception_fp_ieee_inexact 0
		.amdhsa_exception_int_div_zero 0
	.end_amdhsa_kernel
	.section	.text._ZN9rocsolver6v33100L17larf_right_kernelILi1024E19rocblas_complex_numIfEiPS3_EEvT1_S5_T2_lS5_lPKT0_lS6_lS5_l,"axG",@progbits,_ZN9rocsolver6v33100L17larf_right_kernelILi1024E19rocblas_complex_numIfEiPS3_EEvT1_S5_T2_lS5_lPKT0_lS6_lS5_l,comdat
.Lfunc_end154:
	.size	_ZN9rocsolver6v33100L17larf_right_kernelILi1024E19rocblas_complex_numIfEiPS3_EEvT1_S5_T2_lS5_lPKT0_lS6_lS5_l, .Lfunc_end154-_ZN9rocsolver6v33100L17larf_right_kernelILi1024E19rocblas_complex_numIfEiPS3_EEvT1_S5_T2_lS5_lPKT0_lS6_lS5_l
                                        ; -- End function
	.section	.AMDGPU.csdata,"",@progbits
; Kernel info:
; codeLenInByte = 1528
; NumSgprs: 40
; NumVgprs: 21
; NumAgprs: 0
; TotalNumVgprs: 21
; ScratchSize: 0
; MemoryBound: 0
; FloatMode: 240
; IeeeMode: 1
; LDSByteSize: 0 bytes/workgroup (compile time only)
; SGPRBlocks: 4
; VGPRBlocks: 2
; NumSGPRsForWavesPerEU: 40
; NumVGPRsForWavesPerEU: 21
; AccumOffset: 24
; Occupancy: 8
; WaveLimiterHint : 0
; COMPUTE_PGM_RSRC2:SCRATCH_EN: 0
; COMPUTE_PGM_RSRC2:USER_SGPR: 6
; COMPUTE_PGM_RSRC2:TRAP_HANDLER: 0
; COMPUTE_PGM_RSRC2:TGID_X_EN: 1
; COMPUTE_PGM_RSRC2:TGID_Y_EN: 1
; COMPUTE_PGM_RSRC2:TGID_Z_EN: 1
; COMPUTE_PGM_RSRC2:TIDIG_COMP_CNT: 0
; COMPUTE_PGM_RSRC3_GFX90A:ACCUM_OFFSET: 5
; COMPUTE_PGM_RSRC3_GFX90A:TG_SPLIT: 0
	.section	.text._ZN9rocsolver6v33100L12restore_diagI19rocblas_complex_numIfEiS3_PS3_EEvPT1_llT2_lT0_lS8_,"axG",@progbits,_ZN9rocsolver6v33100L12restore_diagI19rocblas_complex_numIfEiS3_PS3_EEvPT1_llT2_lT0_lS8_,comdat
	.globl	_ZN9rocsolver6v33100L12restore_diagI19rocblas_complex_numIfEiS3_PS3_EEvPT1_llT2_lT0_lS8_ ; -- Begin function _ZN9rocsolver6v33100L12restore_diagI19rocblas_complex_numIfEiS3_PS3_EEvPT1_llT2_lT0_lS8_
	.p2align	8
	.type	_ZN9rocsolver6v33100L12restore_diagI19rocblas_complex_numIfEiS3_PS3_EEvPT1_llT2_lT0_lS8_,@function
_ZN9rocsolver6v33100L12restore_diagI19rocblas_complex_numIfEiS3_PS3_EEvPT1_llT2_lT0_lS8_: ; @_ZN9rocsolver6v33100L12restore_diagI19rocblas_complex_numIfEiS3_PS3_EEvPT1_llT2_lT0_lS8_
; %bb.0:
	s_load_dword s0, s[4:5], 0x4c
	s_load_dword s1, s[4:5], 0x38
	v_bfe_u32 v0, v0, 10, 10
	s_waitcnt lgkmcnt(0)
	s_lshr_b32 s0, s0, 16
	s_mul_i32 s7, s7, s0
	v_add_u32_e32 v0, s7, v0
	v_cmp_gt_i32_e32 vcc, s1, v0
	s_and_saveexec_b64 s[0:1], vcc
	s_cbranch_execz .LBB155_2
; %bb.1:
	s_load_dwordx2 s[0:1], s[4:5], 0x30
	s_load_dwordx2 s[2:3], s[4:5], 0x20
	s_load_dword s7, s[4:5], 0x28
	s_load_dwordx8 s[8:15], s[4:5], 0x0
	s_ashr_i32 s4, s6, 31
	s_waitcnt lgkmcnt(0)
	s_mul_i32 s1, s6, s1
	s_mul_hi_u32 s5, s6, s0
	s_add_i32 s1, s5, s1
	s_mul_i32 s5, s4, s0
	s_add_i32 s1, s1, s5
	s_mul_i32 s0, s6, s0
	s_lshl_b64 s[0:1], s[0:1], 3
	s_add_u32 s5, s14, s0
	s_addc_u32 s14, s15, s1
	s_lshl_b64 s[0:1], s[2:3], 3
	s_add_u32 s2, s5, s0
	s_addc_u32 s3, s14, s1
	s_mul_i32 s0, s6, s13
	s_mul_hi_u32 s1, s6, s12
	s_add_i32 s0, s1, s0
	s_mul_i32 s4, s4, s12
	s_add_i32 s1, s0, s4
	s_mul_i32 s0, s6, s12
	s_lshl_b64 s[0:1], s[0:1], 3
	s_add_u32 s4, s8, s0
	s_addc_u32 s5, s9, s1
	s_lshl_b64 s[0:1], s[10:11], 3
	s_add_u32 s4, s4, s0
	s_addc_u32 s5, s5, s1
	v_mad_u64_u32 v[2:3], s[0:1], v0, s7, v[0:1]
	v_ashrrev_i32_e32 v1, 31, v0
	v_lshlrev_b64 v[0:1], 3, v[0:1]
	v_mov_b32_e32 v3, s5
	v_add_co_u32_e32 v0, vcc, s4, v0
	v_addc_co_u32_e32 v1, vcc, v3, v1, vcc
	global_load_dwordx2 v[0:1], v[0:1], off
	v_ashrrev_i32_e32 v3, 31, v2
	v_lshlrev_b64 v[2:3], 3, v[2:3]
	v_mov_b32_e32 v4, s3
	v_add_co_u32_e32 v2, vcc, s2, v2
	v_addc_co_u32_e32 v3, vcc, v4, v3, vcc
	s_waitcnt vmcnt(0)
	global_store_dwordx2 v[2:3], v[0:1], off
.LBB155_2:
	s_endpgm
	.section	.rodata,"a",@progbits
	.p2align	6, 0x0
	.amdhsa_kernel _ZN9rocsolver6v33100L12restore_diagI19rocblas_complex_numIfEiS3_PS3_EEvPT1_llT2_lT0_lS8_
		.amdhsa_group_segment_fixed_size 0
		.amdhsa_private_segment_fixed_size 0
		.amdhsa_kernarg_size 320
		.amdhsa_user_sgpr_count 6
		.amdhsa_user_sgpr_private_segment_buffer 1
		.amdhsa_user_sgpr_dispatch_ptr 0
		.amdhsa_user_sgpr_queue_ptr 0
		.amdhsa_user_sgpr_kernarg_segment_ptr 1
		.amdhsa_user_sgpr_dispatch_id 0
		.amdhsa_user_sgpr_flat_scratch_init 0
		.amdhsa_user_sgpr_kernarg_preload_length 0
		.amdhsa_user_sgpr_kernarg_preload_offset 0
		.amdhsa_user_sgpr_private_segment_size 0
		.amdhsa_uses_dynamic_stack 0
		.amdhsa_system_sgpr_private_segment_wavefront_offset 0
		.amdhsa_system_sgpr_workgroup_id_x 1
		.amdhsa_system_sgpr_workgroup_id_y 1
		.amdhsa_system_sgpr_workgroup_id_z 0
		.amdhsa_system_sgpr_workgroup_info 0
		.amdhsa_system_vgpr_workitem_id 1
		.amdhsa_next_free_vgpr 5
		.amdhsa_next_free_sgpr 16
		.amdhsa_accum_offset 8
		.amdhsa_reserve_vcc 1
		.amdhsa_reserve_flat_scratch 0
		.amdhsa_float_round_mode_32 0
		.amdhsa_float_round_mode_16_64 0
		.amdhsa_float_denorm_mode_32 3
		.amdhsa_float_denorm_mode_16_64 3
		.amdhsa_dx10_clamp 1
		.amdhsa_ieee_mode 1
		.amdhsa_fp16_overflow 0
		.amdhsa_tg_split 0
		.amdhsa_exception_fp_ieee_invalid_op 0
		.amdhsa_exception_fp_denorm_src 0
		.amdhsa_exception_fp_ieee_div_zero 0
		.amdhsa_exception_fp_ieee_overflow 0
		.amdhsa_exception_fp_ieee_underflow 0
		.amdhsa_exception_fp_ieee_inexact 0
		.amdhsa_exception_int_div_zero 0
	.end_amdhsa_kernel
	.section	.text._ZN9rocsolver6v33100L12restore_diagI19rocblas_complex_numIfEiS3_PS3_EEvPT1_llT2_lT0_lS8_,"axG",@progbits,_ZN9rocsolver6v33100L12restore_diagI19rocblas_complex_numIfEiS3_PS3_EEvPT1_llT2_lT0_lS8_,comdat
.Lfunc_end155:
	.size	_ZN9rocsolver6v33100L12restore_diagI19rocblas_complex_numIfEiS3_PS3_EEvPT1_llT2_lT0_lS8_, .Lfunc_end155-_ZN9rocsolver6v33100L12restore_diagI19rocblas_complex_numIfEiS3_PS3_EEvPT1_llT2_lT0_lS8_
                                        ; -- End function
	.section	.AMDGPU.csdata,"",@progbits
; Kernel info:
; codeLenInByte = 268
; NumSgprs: 20
; NumVgprs: 5
; NumAgprs: 0
; TotalNumVgprs: 5
; ScratchSize: 0
; MemoryBound: 0
; FloatMode: 240
; IeeeMode: 1
; LDSByteSize: 0 bytes/workgroup (compile time only)
; SGPRBlocks: 2
; VGPRBlocks: 0
; NumSGPRsForWavesPerEU: 20
; NumVGPRsForWavesPerEU: 5
; AccumOffset: 8
; Occupancy: 8
; WaveLimiterHint : 0
; COMPUTE_PGM_RSRC2:SCRATCH_EN: 0
; COMPUTE_PGM_RSRC2:USER_SGPR: 6
; COMPUTE_PGM_RSRC2:TRAP_HANDLER: 0
; COMPUTE_PGM_RSRC2:TGID_X_EN: 1
; COMPUTE_PGM_RSRC2:TGID_Y_EN: 1
; COMPUTE_PGM_RSRC2:TGID_Z_EN: 0
; COMPUTE_PGM_RSRC2:TIDIG_COMP_CNT: 1
; COMPUTE_PGM_RSRC3_GFX90A:ACCUM_OFFSET: 1
; COMPUTE_PGM_RSRC3_GFX90A:TG_SPLIT: 0
	.section	.text._ZN9rocsolver6v33100L14set_triangularI19rocblas_complex_numIfEPS3_TnNSt9enable_ifIX18rocblas_is_complexIT_EEiE4typeELi0EEEviiT0_iilPS6_lSA_il15rocblas_direct_15rocblas_storev_b,"axG",@progbits,_ZN9rocsolver6v33100L14set_triangularI19rocblas_complex_numIfEPS3_TnNSt9enable_ifIX18rocblas_is_complexIT_EEiE4typeELi0EEEviiT0_iilPS6_lSA_il15rocblas_direct_15rocblas_storev_b,comdat
	.globl	_ZN9rocsolver6v33100L14set_triangularI19rocblas_complex_numIfEPS3_TnNSt9enable_ifIX18rocblas_is_complexIT_EEiE4typeELi0EEEviiT0_iilPS6_lSA_il15rocblas_direct_15rocblas_storev_b ; -- Begin function _ZN9rocsolver6v33100L14set_triangularI19rocblas_complex_numIfEPS3_TnNSt9enable_ifIX18rocblas_is_complexIT_EEiE4typeELi0EEEviiT0_iilPS6_lSA_il15rocblas_direct_15rocblas_storev_b
	.p2align	8
	.type	_ZN9rocsolver6v33100L14set_triangularI19rocblas_complex_numIfEPS3_TnNSt9enable_ifIX18rocblas_is_complexIT_EEiE4typeELi0EEEviiT0_iilPS6_lSA_il15rocblas_direct_15rocblas_storev_b,@function
_ZN9rocsolver6v33100L14set_triangularI19rocblas_complex_numIfEPS3_TnNSt9enable_ifIX18rocblas_is_complexIT_EEiE4typeELi0EEEviiT0_iilPS6_lSA_il15rocblas_direct_15rocblas_storev_b: ; @_ZN9rocsolver6v33100L14set_triangularI19rocblas_complex_numIfEPS3_TnNSt9enable_ifIX18rocblas_is_complexIT_EEiE4typeELi0EEEviiT0_iilPS6_lSA_il15rocblas_direct_15rocblas_storev_b
; %bb.0:
	s_load_dword s0, s[4:5], 0x64
	s_load_dwordx2 s[20:21], s[4:5], 0x0
	v_and_b32_e32 v1, 0x3ff, v0
	v_bfe_u32 v0, v0, 10, 10
	s_waitcnt lgkmcnt(0)
	s_lshr_b32 s1, s0, 16
	s_and_b32 s0, s0, 0xffff
	s_mul_i32 s6, s6, s0
	s_mul_i32 s7, s7, s1
	v_add_u32_e32 v2, s6, v1
	v_add_u32_e32 v0, s7, v0
	v_max_u32_e32 v1, v2, v0
	v_cmp_gt_u32_e32 vcc, s21, v1
	s_and_saveexec_b64 s[0:1], vcc
	s_cbranch_execz .LBB156_36
; %bb.1:
	s_load_dwordx8 s[12:19], s[4:5], 0x18
	s_load_dword s22, s[4:5], 0x38
	s_load_dwordx2 s[0:1], s[4:5], 0x40
	v_cmp_ne_u32_e32 vcc, v0, v2
	s_waitcnt lgkmcnt(0)
	s_mul_i32 s3, s8, s17
	s_mul_hi_u32 s6, s8, s16
	s_mul_i32 s2, s8, s16
	s_add_i32 s3, s6, s3
	s_lshl_b64 s[2:3], s[2:3], 3
	s_add_u32 s16, s14, s2
	s_mul_i32 s1, s8, s1
	s_mul_hi_u32 s2, s8, s0
	s_addc_u32 s17, s15, s3
	s_add_i32 s1, s2, s1
	s_mul_i32 s0, s8, s0
	s_lshl_b64 s[0:1], s[0:1], 3
	s_add_u32 s14, s18, s0
	s_addc_u32 s15, s19, s1
	s_and_saveexec_b64 s[0:1], vcc
	s_xor_b64 s[10:11], exec, s[0:1]
	s_cbranch_execz .LBB156_34
; %bb.2:
	s_load_dwordx4 s[0:3], s[4:5], 0x8
	s_mul_i32 s9, s8, s13
	s_mul_hi_u32 s13, s8, s12
	s_add_i32 s9, s13, s9
	s_mul_i32 s8, s8, s12
	s_load_dwordx4 s[4:7], s[4:5], 0x48
	s_waitcnt lgkmcnt(0)
	s_ashr_i32 s19, s2, 31
	s_lshl_b64 s[8:9], s[8:9], 3
	s_mov_b32 s18, s2
	s_add_u32 s2, s0, s8
	s_addc_u32 s7, s1, s9
	s_lshl_b64 s[0:1], s[18:19], 3
	s_add_u32 s2, s2, s0
	s_addc_u32 s12, s7, s1
	s_bitcmp1_b32 s6, 0
	s_cselect_b64 s[0:1], -1, 0
	s_xor_b64 s[0:1], s[0:1], -1
	s_mov_b64 s[6:7], -1
	s_cmpk_lg_i32 s4, 0xab
	v_mov_b32_e32 v3, 0
	s_cbranch_scc0 .LBB156_18
; %bb.3:
	v_cmp_le_u32_e32 vcc, v0, v2
	s_and_saveexec_b64 s[6:7], vcc
	s_xor_b64 s[6:7], exec, s[6:7]
	s_cbranch_execz .LBB156_5
; %bb.4:
	v_mad_u64_u32 v[4:5], s[8:9], v2, s22, 0
	s_ashr_i32 s4, s22, 31
	v_mov_b32_e32 v6, v5
	v_mad_u64_u32 v[6:7], s[8:9], v2, s4, v[6:7]
	v_mov_b32_e32 v5, v6
	v_lshlrev_b64 v[4:5], 3, v[4:5]
	v_mov_b32_e32 v1, 0
	v_mov_b32_e32 v6, s15
	v_add_co_u32_e32 v7, vcc, s14, v4
	v_addc_co_u32_e32 v6, vcc, v6, v5, vcc
	v_lshlrev_b64 v[4:5], 3, v[0:1]
	v_add_co_u32_e32 v4, vcc, v7, v4
	v_addc_co_u32_e32 v5, vcc, v6, v5, vcc
	v_mov_b32_e32 v6, v1
	v_mov_b32_e32 v7, v1
	global_store_dwordx2 v[4:5], v[6:7], off
.LBB156_5:
	s_andn2_saveexec_b64 s[6:7], s[6:7]
	s_cbranch_execz .LBB156_17
; %bb.6:
	v_lshlrev_b64 v[4:5], 3, v[2:3]
	v_mov_b32_e32 v1, s17
	v_add_co_u32_e32 v4, vcc, s16, v4
	v_addc_co_u32_e32 v5, vcc, v1, v5, vcc
	global_load_dwordx2 v[4:5], v[4:5], off
	s_cmpk_lg_i32 s5, 0xb5
	s_mov_b64 s[8:9], -1
	s_cbranch_scc0 .LBB156_12
; %bb.7:
	v_mov_b32_e32 v1, 0
	s_andn2_b64 vcc, exec, s[0:1]
	v_lshlrev_b64 v[6:7], 3, v[0:1]
	s_cbranch_vccnz .LBB156_9
; %bb.8:
	s_sub_i32 s4, s20, s21
	v_add_u32_e32 v1, s4, v2
	v_mad_u64_u32 v[8:9], s[8:9], v1, s3, 0
	s_ashr_i32 s4, s3, 31
	v_mov_b32_e32 v10, v9
	v_mad_u64_u32 v[10:11], s[8:9], v1, s4, v[10:11]
	v_mov_b32_e32 v9, v10
	v_lshlrev_b64 v[8:9], 3, v[8:9]
	v_mov_b32_e32 v1, s12
	v_add_co_u32_e32 v8, vcc, s2, v8
	v_addc_co_u32_e32 v1, vcc, v1, v9, vcc
	v_add_co_u32_e32 v8, vcc, v8, v6
	v_addc_co_u32_e32 v9, vcc, v1, v7, vcc
	global_load_dwordx2 v[8:9], v[8:9], off
	v_mad_u64_u32 v[10:11], s[8:9], v2, s22, 0
	s_ashr_i32 s4, s22, 31
	v_mov_b32_e32 v14, v11
	v_mad_u64_u32 v[14:15], s[8:9], v2, s4, v[14:15]
	v_mov_b32_e32 v11, v14
	v_lshlrev_b64 v[10:11], 3, v[10:11]
	v_mov_b32_e32 v1, s15
	v_add_co_u32_e32 v10, vcc, s14, v10
	s_waitcnt vmcnt(1)
	v_mov_b32_e32 v12, v5
	v_addc_co_u32_e32 v1, vcc, v1, v11, vcc
	v_add_co_u32_e32 v10, vcc, v10, v6
	v_addc_co_u32_e32 v11, vcc, v1, v7, vcc
	s_mov_b64 s[8:9], 0
	s_waitcnt vmcnt(0)
	v_pk_mul_f32 v[12:13], v[12:13], v[8:9] op_sel_hi:[0,1] neg_lo:[1,0]
	v_pk_fma_f32 v[8:9], v[4:5], v[8:9], v[12:13] op_sel:[0,0,1] op_sel_hi:[0,1,0] neg_lo:[1,0,0] neg_hi:[1,0,0]
	global_store_dwordx2 v[10:11], v[8:9], off
.LBB156_9:
	s_andn2_b64 vcc, exec, s[8:9]
	s_cbranch_vccnz .LBB156_11
; %bb.10:
	v_mad_u64_u32 v[8:9], s[8:9], v2, s22, 0
	s_ashr_i32 s4, s22, 31
	v_mov_b32_e32 v10, v9
	v_mad_u64_u32 v[10:11], s[8:9], v2, s4, v[10:11]
	v_mov_b32_e32 v9, v10
	v_lshlrev_b64 v[8:9], 3, v[8:9]
	v_mov_b32_e32 v1, s15
	v_add_co_u32_e32 v8, vcc, s14, v8
	v_addc_co_u32_e32 v1, vcc, v1, v9, vcc
	v_add_co_u32_e32 v8, vcc, v8, v6
	s_sub_i32 s4, s20, s21
	v_addc_co_u32_e32 v9, vcc, v1, v7, vcc
	v_add_u32_e32 v1, s4, v2
	v_mad_u64_u32 v[10:11], s[8:9], v1, s3, 0
	s_ashr_i32 s4, s3, 31
	v_mov_b32_e32 v12, v11
	v_mad_u64_u32 v[12:13], s[8:9], v1, s4, v[12:13]
	v_mov_b32_e32 v11, v12
	v_lshlrev_b64 v[10:11], 3, v[10:11]
	v_mov_b32_e32 v1, s12
	v_add_co_u32_e32 v10, vcc, s2, v10
	v_addc_co_u32_e32 v1, vcc, v1, v11, vcc
	v_add_co_u32_e32 v6, vcc, v10, v6
	v_addc_co_u32_e32 v7, vcc, v1, v7, vcc
	global_load_dwordx2 v[10:11], v[8:9], off
	global_load_dwordx2 v[12:13], v[6:7], off
	s_waitcnt vmcnt(2)
	v_mov_b32_e32 v6, v5
	s_waitcnt vmcnt(0)
	v_pk_add_f32 v[10:11], v[12:13], v[10:11]
	v_pk_mul_f32 v[12:13], v[4:5], v[10:11] op_sel_hi:[0,1]
	v_pk_fma_f32 v[6:7], v[6:7], v[10:11], v[12:13] op_sel:[0,0,1] op_sel_hi:[0,1,0] neg_lo:[1,0,1] neg_hi:[0,0,1]
	v_mov_b32_e32 v10, v7
	v_mov_b32_e32 v11, v6
	global_store_dwordx2 v[8:9], v[10:11], off
.LBB156_11:
	s_mov_b64 s[8:9], 0
.LBB156_12:
	s_andn2_b64 vcc, exec, s[8:9]
	s_cbranch_vccnz .LBB156_17
; %bb.13:
	s_andn2_b64 vcc, exec, s[0:1]
	s_mov_b64 s[8:9], -1
	s_cbranch_vccnz .LBB156_15
; %bb.14:
	s_sub_i32 s4, s20, s21
	v_mad_u64_u32 v[8:9], s[8:9], v0, s3, 0
	v_add_u32_e32 v6, s4, v2
	s_ashr_i32 s4, s3, 31
	v_mov_b32_e32 v10, v9
	v_mad_u64_u32 v[10:11], s[8:9], v0, s4, v[10:11]
	v_mov_b32_e32 v9, v10
	v_lshlrev_b64 v[8:9], 3, v[8:9]
	v_mov_b32_e32 v7, 0
	v_mov_b32_e32 v1, s12
	v_add_co_u32_e32 v10, vcc, s2, v8
	v_addc_co_u32_e32 v1, vcc, v1, v9, vcc
	v_lshlrev_b64 v[8:9], 3, v[6:7]
	v_add_co_u32_e32 v8, vcc, v10, v8
	v_addc_co_u32_e32 v9, vcc, v1, v9, vcc
	global_load_dwordx2 v[8:9], v[8:9], off
	v_mad_u64_u32 v[10:11], s[8:9], v2, s22, 0
	s_ashr_i32 s4, s22, 31
	v_mov_b32_e32 v12, v11
	v_mad_u64_u32 v[12:13], s[8:9], v2, s4, v[12:13]
	v_mov_b32_e32 v11, v12
	v_mov_b32_e32 v1, v7
	v_lshlrev_b64 v[10:11], 3, v[10:11]
	v_mov_b32_e32 v16, s15
	v_lshlrev_b64 v[14:15], 3, v[0:1]
	v_add_co_u32_e32 v1, vcc, s14, v10
	v_addc_co_u32_e32 v7, vcc, v16, v11, vcc
	s_waitcnt vmcnt(1)
	v_mov_b32_e32 v6, v5
	v_add_co_u32_e32 v10, vcc, v1, v14
	v_addc_co_u32_e32 v11, vcc, v7, v15, vcc
	s_mov_b64 s[8:9], 0
	s_waitcnt vmcnt(0)
	v_pk_mul_f32 v[6:7], v[6:7], v[8:9] op_sel_hi:[0,1]
	v_pk_fma_f32 v[6:7], v[8:9], v[4:5], v[6:7] op_sel:[0,0,1] op_sel_hi:[1,0,0] neg_lo:[0,1,1] neg_hi:[0,0,1]
	global_store_dwordx2 v[10:11], v[6:7], off
.LBB156_15:
	s_andn2_b64 vcc, exec, s[8:9]
	s_cbranch_vccnz .LBB156_17
; %bb.16:
	v_mad_u64_u32 v[6:7], s[8:9], v2, s22, 0
	s_ashr_i32 s4, s22, 31
	v_mov_b32_e32 v8, v7
	v_mad_u64_u32 v[8:9], s[8:9], v2, s4, v[8:9]
	v_mov_b32_e32 v7, v8
	v_lshlrev_b64 v[6:7], 3, v[6:7]
	v_mov_b32_e32 v1, 0
	v_mov_b32_e32 v8, s15
	v_add_co_u32_e32 v9, vcc, s14, v6
	v_addc_co_u32_e32 v8, vcc, v8, v7, vcc
	v_lshlrev_b64 v[6:7], 3, v[0:1]
	v_add_co_u32_e32 v6, vcc, v9, v6
	s_sub_i32 s4, s20, s21
	v_mad_u64_u32 v[10:11], s[8:9], v0, s3, 0
	v_addc_co_u32_e32 v7, vcc, v8, v7, vcc
	v_add_u32_e32 v8, s4, v2
	s_ashr_i32 s4, s3, 31
	v_mov_b32_e32 v12, v11
	v_mad_u64_u32 v[12:13], s[8:9], v0, s4, v[12:13]
	v_mov_b32_e32 v11, v12
	v_lshlrev_b64 v[10:11], 3, v[10:11]
	v_mov_b32_e32 v9, v1
	v_mov_b32_e32 v1, s12
	v_add_co_u32_e32 v10, vcc, s2, v10
	v_addc_co_u32_e32 v1, vcc, v1, v11, vcc
	v_lshlrev_b64 v[8:9], 3, v[8:9]
	v_add_co_u32_e32 v8, vcc, v10, v8
	v_addc_co_u32_e32 v9, vcc, v1, v9, vcc
	global_load_dwordx2 v[10:11], v[6:7], off
	global_load_dwordx2 v[12:13], v[8:9], off
	s_waitcnt vmcnt(2)
	v_mov_b32_e32 v8, v5
	s_waitcnt vmcnt(0)
	v_pk_add_f32 v[14:15], v[10:11], v[12:13] op_sel:[1,1] op_sel_hi:[0,0] neg_lo:[0,1] neg_hi:[0,1]
	v_pk_add_f32 v[10:11], v[12:13], v[10:11] op_sel:[1,1] op_sel_hi:[0,0]
	v_mov_b32_e32 v15, v11
	v_mov_b32_e32 v10, v11
	;; [unrolled: 1-line block ×3, first 2 shown]
	v_pk_mul_f32 v[4:5], v[4:5], v[10:11] op_sel_hi:[0,1]
	v_pk_fma_f32 v[4:5], v[8:9], v[14:15], v[4:5] op_sel_hi:[0,1,1] neg_lo:[0,0,1] neg_hi:[1,0,1]
	global_store_dwordx2 v[6:7], v[4:5], off
.LBB156_17:
	s_or_b64 exec, exec, s[6:7]
	s_mov_b64 s[6:7], 0
.LBB156_18:
	s_andn2_b64 vcc, exec, s[6:7]
	s_cbranch_vccnz .LBB156_34
; %bb.19:
	v_cmp_ge_u32_e32 vcc, v0, v2
	s_and_saveexec_b64 s[6:7], vcc
	s_xor_b64 s[6:7], exec, s[6:7]
	s_cbranch_execz .LBB156_21
; %bb.20:
	s_waitcnt vmcnt(0)
	v_mad_u64_u32 v[4:5], s[8:9], v2, s22, 0
	s_ashr_i32 s4, s22, 31
	v_mov_b32_e32 v6, v5
	v_mad_u64_u32 v[2:3], s[8:9], v2, s4, v[6:7]
	v_mov_b32_e32 v5, v2
	v_lshlrev_b64 v[2:3], 3, v[4:5]
	v_mov_b32_e32 v1, 0
	v_mov_b32_e32 v4, s15
	v_add_co_u32_e32 v5, vcc, s14, v2
	v_addc_co_u32_e32 v4, vcc, v4, v3, vcc
	v_lshlrev_b64 v[2:3], 3, v[0:1]
	v_add_co_u32_e32 v2, vcc, v5, v2
	v_addc_co_u32_e32 v3, vcc, v4, v3, vcc
	v_mov_b32_e32 v0, v1
	global_store_dwordx2 v[2:3], v[0:1], off
                                        ; implicit-def: $vgpr2_vgpr3
                                        ; implicit-def: $vgpr0
.LBB156_21:
	s_andn2_saveexec_b64 s[6:7], s[6:7]
	s_cbranch_execz .LBB156_33
; %bb.22:
	v_lshlrev_b64 v[6:7], 3, v[2:3]
	v_mov_b32_e32 v1, s17
	s_waitcnt vmcnt(0)
	v_add_co_u32_e32 v4, vcc, s16, v6
	v_addc_co_u32_e32 v5, vcc, v1, v7, vcc
	global_load_dwordx2 v[4:5], v[4:5], off
	v_cndmask_b32_e64 v1, 0, 1, s[0:1]
	s_cmpk_lg_i32 s5, 0xb5
	s_mov_b64 s[4:5], -1
	v_cmp_ne_u32_e64 s[0:1], 1, v1
	s_cbranch_scc0 .LBB156_28
; %bb.23:
	v_mov_b32_e32 v1, 0
	s_and_b64 vcc, exec, s[0:1]
	v_lshlrev_b64 v[8:9], 3, v[0:1]
	s_cbranch_vccnz .LBB156_25
; %bb.24:
	v_mad_u64_u32 v[10:11], s[4:5], v2, s3, 0
	s_ashr_i32 s8, s3, 31
	v_mov_b32_e32 v12, v11
	v_mad_u64_u32 v[12:13], s[4:5], v2, s8, v[12:13]
	v_mov_b32_e32 v11, v12
	v_lshlrev_b64 v[10:11], 3, v[10:11]
	v_mov_b32_e32 v1, s12
	v_add_co_u32_e32 v3, vcc, s2, v10
	v_addc_co_u32_e32 v1, vcc, v1, v11, vcc
	v_add_co_u32_e32 v10, vcc, v3, v8
	v_addc_co_u32_e32 v11, vcc, v1, v9, vcc
	global_load_dwordx2 v[10:11], v[10:11], off
	v_mad_u64_u32 v[12:13], s[4:5], v2, s22, 0
	s_ashr_i32 s8, s22, 31
	v_mov_b32_e32 v16, v13
	v_mad_u64_u32 v[16:17], s[4:5], v2, s8, v[16:17]
	v_mov_b32_e32 v13, v16
	v_lshlrev_b64 v[12:13], 3, v[12:13]
	v_mov_b32_e32 v1, s15
	v_add_co_u32_e32 v3, vcc, s14, v12
	s_waitcnt vmcnt(1)
	v_mov_b32_e32 v14, v5
	v_addc_co_u32_e32 v1, vcc, v1, v13, vcc
	v_add_co_u32_e32 v12, vcc, v3, v8
	v_addc_co_u32_e32 v13, vcc, v1, v9, vcc
	s_mov_b64 s[4:5], 0
	s_waitcnt vmcnt(0)
	v_pk_mul_f32 v[14:15], v[14:15], v[10:11] op_sel_hi:[0,1] neg_lo:[1,0]
	v_pk_fma_f32 v[10:11], v[4:5], v[10:11], v[14:15] op_sel:[0,0,1] op_sel_hi:[0,1,0] neg_lo:[1,0,0] neg_hi:[1,0,0]
	global_store_dwordx2 v[12:13], v[10:11], off
.LBB156_25:
	s_andn2_b64 vcc, exec, s[4:5]
	s_cbranch_vccnz .LBB156_27
; %bb.26:
	v_mad_u64_u32 v[10:11], s[4:5], v2, s22, 0
	s_ashr_i32 s8, s22, 31
	v_mov_b32_e32 v12, v11
	v_mad_u64_u32 v[12:13], s[4:5], v2, s8, v[12:13]
	v_mov_b32_e32 v11, v12
	v_lshlrev_b64 v[10:11], 3, v[10:11]
	v_mad_u64_u32 v[12:13], s[4:5], v2, s3, 0
	v_mov_b32_e32 v1, s15
	v_add_co_u32_e32 v3, vcc, s14, v10
	s_ashr_i32 s8, s3, 31
	v_mov_b32_e32 v14, v13
	v_addc_co_u32_e32 v1, vcc, v1, v11, vcc
	v_mad_u64_u32 v[14:15], s[4:5], v2, s8, v[14:15]
	v_add_co_u32_e32 v10, vcc, v3, v8
	v_mov_b32_e32 v13, v14
	v_addc_co_u32_e32 v11, vcc, v1, v9, vcc
	v_lshlrev_b64 v[12:13], 3, v[12:13]
	v_mov_b32_e32 v1, s12
	v_add_co_u32_e32 v3, vcc, s2, v12
	v_addc_co_u32_e32 v1, vcc, v1, v13, vcc
	v_add_co_u32_e32 v8, vcc, v3, v8
	v_addc_co_u32_e32 v9, vcc, v1, v9, vcc
	global_load_dwordx2 v[12:13], v[10:11], off
	global_load_dwordx2 v[14:15], v[8:9], off
	s_waitcnt vmcnt(2)
	v_mov_b32_e32 v8, v5
	s_waitcnt vmcnt(0)
	v_pk_add_f32 v[12:13], v[14:15], v[12:13]
	v_pk_mul_f32 v[14:15], v[4:5], v[12:13] op_sel_hi:[0,1]
	v_pk_fma_f32 v[8:9], v[8:9], v[12:13], v[14:15] op_sel:[0,0,1] op_sel_hi:[0,1,0] neg_lo:[1,0,1] neg_hi:[0,0,1]
	v_mov_b32_e32 v12, v9
	v_mov_b32_e32 v13, v8
	global_store_dwordx2 v[10:11], v[12:13], off
.LBB156_27:
	s_mov_b64 s[4:5], 0
.LBB156_28:
	s_andn2_b64 vcc, exec, s[4:5]
	s_cbranch_vccnz .LBB156_33
; %bb.29:
	v_mov_b32_e32 v1, 0
	s_mov_b64 s[4:5], -1
	s_and_b64 vcc, exec, s[0:1]
	v_lshlrev_b64 v[8:9], 3, v[0:1]
	s_cbranch_vccnz .LBB156_31
; %bb.30:
	v_mad_u64_u32 v[10:11], s[0:1], v0, s3, 0
	s_ashr_i32 s4, s3, 31
	v_mov_b32_e32 v12, v11
	v_mad_u64_u32 v[12:13], s[0:1], v0, s4, v[12:13]
	v_mov_b32_e32 v11, v12
	v_lshlrev_b64 v[10:11], 3, v[10:11]
	v_mov_b32_e32 v1, s12
	v_add_co_u32_e32 v3, vcc, s2, v10
	v_addc_co_u32_e32 v1, vcc, v1, v11, vcc
	v_add_co_u32_e32 v10, vcc, v3, v6
	v_addc_co_u32_e32 v11, vcc, v1, v7, vcc
	global_load_dwordx2 v[10:11], v[10:11], off
	v_mad_u64_u32 v[12:13], s[0:1], v2, s22, 0
	s_ashr_i32 s4, s22, 31
	v_mov_b32_e32 v16, v13
	v_mad_u64_u32 v[16:17], s[0:1], v2, s4, v[16:17]
	v_mov_b32_e32 v13, v16
	v_lshlrev_b64 v[12:13], 3, v[12:13]
	v_mov_b32_e32 v1, s15
	v_add_co_u32_e32 v3, vcc, s14, v12
	s_waitcnt vmcnt(1)
	v_mov_b32_e32 v14, v5
	v_addc_co_u32_e32 v1, vcc, v1, v13, vcc
	v_add_co_u32_e32 v12, vcc, v3, v8
	v_addc_co_u32_e32 v13, vcc, v1, v9, vcc
	s_mov_b64 s[4:5], 0
	s_waitcnt vmcnt(0)
	v_pk_mul_f32 v[14:15], v[14:15], v[10:11] op_sel_hi:[0,1]
	v_pk_fma_f32 v[10:11], v[10:11], v[4:5], v[14:15] op_sel:[0,0,1] op_sel_hi:[1,0,0] neg_lo:[0,1,1] neg_hi:[0,0,1]
	global_store_dwordx2 v[12:13], v[10:11], off
.LBB156_31:
	s_andn2_b64 vcc, exec, s[4:5]
	s_cbranch_vccnz .LBB156_33
; %bb.32:
	v_mad_u64_u32 v[10:11], s[0:1], v2, s22, 0
	s_ashr_i32 s4, s22, 31
	v_mov_b32_e32 v12, v11
	v_mad_u64_u32 v[2:3], s[0:1], v2, s4, v[12:13]
	v_mov_b32_e32 v11, v2
	v_lshlrev_b64 v[2:3], 3, v[10:11]
	v_mov_b32_e32 v1, s15
	v_add_co_u32_e32 v2, vcc, s14, v2
	v_addc_co_u32_e32 v1, vcc, v1, v3, vcc
	v_add_co_u32_e32 v2, vcc, v2, v8
	v_addc_co_u32_e32 v3, vcc, v1, v9, vcc
	v_mad_u64_u32 v[8:9], s[0:1], v0, s3, 0
	s_ashr_i32 s4, s3, 31
	v_mov_b32_e32 v10, v9
	v_mad_u64_u32 v[0:1], s[0:1], v0, s4, v[10:11]
	v_mov_b32_e32 v9, v0
	v_lshlrev_b64 v[0:1], 3, v[8:9]
	v_mov_b32_e32 v8, s12
	v_add_co_u32_e32 v0, vcc, s2, v0
	v_addc_co_u32_e32 v1, vcc, v8, v1, vcc
	v_add_co_u32_e32 v0, vcc, v0, v6
	v_addc_co_u32_e32 v1, vcc, v1, v7, vcc
	global_load_dwordx2 v[6:7], v[2:3], off
	global_load_dwordx2 v[8:9], v[0:1], off
	s_waitcnt vmcnt(2)
	v_mov_b32_e32 v0, v5
	s_waitcnt vmcnt(0)
	v_pk_add_f32 v[10:11], v[6:7], v[8:9] op_sel:[1,1] op_sel_hi:[0,0] neg_lo:[0,1] neg_hi:[0,1]
	v_pk_add_f32 v[6:7], v[8:9], v[6:7] op_sel:[1,1] op_sel_hi:[0,0]
	v_mov_b32_e32 v11, v7
	v_mov_b32_e32 v6, v7
	;; [unrolled: 1-line block ×3, first 2 shown]
	v_pk_mul_f32 v[4:5], v[4:5], v[6:7] op_sel_hi:[0,1]
	v_pk_fma_f32 v[0:1], v[0:1], v[10:11], v[4:5] op_sel_hi:[0,1,1] neg_lo:[0,0,1] neg_hi:[1,0,1]
	global_store_dwordx2 v[2:3], v[0:1], off
.LBB156_33:
	s_or_b64 exec, exec, s[6:7]
                                        ; implicit-def: $vgpr2
.LBB156_34:
	s_andn2_saveexec_b64 s[0:1], s[10:11]
	s_cbranch_execz .LBB156_36
; %bb.35:
	v_mov_b32_e32 v3, 0
	v_lshlrev_b64 v[0:1], 3, v[2:3]
	v_mov_b32_e32 v3, s17
	s_waitcnt vmcnt(0)
	v_add_co_u32_e32 v4, vcc, s16, v0
	v_addc_co_u32_e32 v5, vcc, v3, v1, vcc
	global_load_dwordx2 v[4:5], v[4:5], off
	v_mad_u64_u32 v[6:7], s[0:1], v2, s22, 0
	s_ashr_i32 s2, s22, 31
	v_mov_b32_e32 v8, v7
	v_mad_u64_u32 v[2:3], s[0:1], v2, s2, v[8:9]
	v_mov_b32_e32 v7, v2
	v_lshlrev_b64 v[2:3], 3, v[6:7]
	v_mov_b32_e32 v6, s15
	v_add_co_u32_e32 v2, vcc, s14, v2
	v_addc_co_u32_e32 v3, vcc, v6, v3, vcc
	v_add_co_u32_e32 v0, vcc, v2, v0
	v_addc_co_u32_e32 v1, vcc, v3, v1, vcc
	s_waitcnt vmcnt(0)
	global_store_dwordx2 v[0:1], v[4:5], off
.LBB156_36:
	s_endpgm
	.section	.rodata,"a",@progbits
	.p2align	6, 0x0
	.amdhsa_kernel _ZN9rocsolver6v33100L14set_triangularI19rocblas_complex_numIfEPS3_TnNSt9enable_ifIX18rocblas_is_complexIT_EEiE4typeELi0EEEviiT0_iilPS6_lSA_il15rocblas_direct_15rocblas_storev_b
		.amdhsa_group_segment_fixed_size 0
		.amdhsa_private_segment_fixed_size 0
		.amdhsa_kernarg_size 344
		.amdhsa_user_sgpr_count 6
		.amdhsa_user_sgpr_private_segment_buffer 1
		.amdhsa_user_sgpr_dispatch_ptr 0
		.amdhsa_user_sgpr_queue_ptr 0
		.amdhsa_user_sgpr_kernarg_segment_ptr 1
		.amdhsa_user_sgpr_dispatch_id 0
		.amdhsa_user_sgpr_flat_scratch_init 0
		.amdhsa_user_sgpr_kernarg_preload_length 0
		.amdhsa_user_sgpr_kernarg_preload_offset 0
		.amdhsa_user_sgpr_private_segment_size 0
		.amdhsa_uses_dynamic_stack 0
		.amdhsa_system_sgpr_private_segment_wavefront_offset 0
		.amdhsa_system_sgpr_workgroup_id_x 1
		.amdhsa_system_sgpr_workgroup_id_y 1
		.amdhsa_system_sgpr_workgroup_id_z 1
		.amdhsa_system_sgpr_workgroup_info 0
		.amdhsa_system_vgpr_workitem_id 1
		.amdhsa_next_free_vgpr 18
		.amdhsa_next_free_sgpr 23
		.amdhsa_accum_offset 20
		.amdhsa_reserve_vcc 1
		.amdhsa_reserve_flat_scratch 0
		.amdhsa_float_round_mode_32 0
		.amdhsa_float_round_mode_16_64 0
		.amdhsa_float_denorm_mode_32 3
		.amdhsa_float_denorm_mode_16_64 3
		.amdhsa_dx10_clamp 1
		.amdhsa_ieee_mode 1
		.amdhsa_fp16_overflow 0
		.amdhsa_tg_split 0
		.amdhsa_exception_fp_ieee_invalid_op 0
		.amdhsa_exception_fp_denorm_src 0
		.amdhsa_exception_fp_ieee_div_zero 0
		.amdhsa_exception_fp_ieee_overflow 0
		.amdhsa_exception_fp_ieee_underflow 0
		.amdhsa_exception_fp_ieee_inexact 0
		.amdhsa_exception_int_div_zero 0
	.end_amdhsa_kernel
	.section	.text._ZN9rocsolver6v33100L14set_triangularI19rocblas_complex_numIfEPS3_TnNSt9enable_ifIX18rocblas_is_complexIT_EEiE4typeELi0EEEviiT0_iilPS6_lSA_il15rocblas_direct_15rocblas_storev_b,"axG",@progbits,_ZN9rocsolver6v33100L14set_triangularI19rocblas_complex_numIfEPS3_TnNSt9enable_ifIX18rocblas_is_complexIT_EEiE4typeELi0EEEviiT0_iilPS6_lSA_il15rocblas_direct_15rocblas_storev_b,comdat
.Lfunc_end156:
	.size	_ZN9rocsolver6v33100L14set_triangularI19rocblas_complex_numIfEPS3_TnNSt9enable_ifIX18rocblas_is_complexIT_EEiE4typeELi0EEEviiT0_iilPS6_lSA_il15rocblas_direct_15rocblas_storev_b, .Lfunc_end156-_ZN9rocsolver6v33100L14set_triangularI19rocblas_complex_numIfEPS3_TnNSt9enable_ifIX18rocblas_is_complexIT_EEiE4typeELi0EEEviiT0_iilPS6_lSA_il15rocblas_direct_15rocblas_storev_b
                                        ; -- End function
	.section	.AMDGPU.csdata,"",@progbits
; Kernel info:
; codeLenInByte = 2324
; NumSgprs: 27
; NumVgprs: 18
; NumAgprs: 0
; TotalNumVgprs: 18
; ScratchSize: 0
; MemoryBound: 0
; FloatMode: 240
; IeeeMode: 1
; LDSByteSize: 0 bytes/workgroup (compile time only)
; SGPRBlocks: 3
; VGPRBlocks: 2
; NumSGPRsForWavesPerEU: 27
; NumVGPRsForWavesPerEU: 18
; AccumOffset: 20
; Occupancy: 8
; WaveLimiterHint : 0
; COMPUTE_PGM_RSRC2:SCRATCH_EN: 0
; COMPUTE_PGM_RSRC2:USER_SGPR: 6
; COMPUTE_PGM_RSRC2:TRAP_HANDLER: 0
; COMPUTE_PGM_RSRC2:TGID_X_EN: 1
; COMPUTE_PGM_RSRC2:TGID_Y_EN: 1
; COMPUTE_PGM_RSRC2:TGID_Z_EN: 1
; COMPUTE_PGM_RSRC2:TIDIG_COMP_CNT: 1
; COMPUTE_PGM_RSRC3_GFX90A:ACCUM_OFFSET: 4
; COMPUTE_PGM_RSRC3_GFX90A:TG_SPLIT: 0
	.section	.text._ZN9rocsolver6v33100L7set_tauI19rocblas_complex_numIfEEEviPT_l,"axG",@progbits,_ZN9rocsolver6v33100L7set_tauI19rocblas_complex_numIfEEEviPT_l,comdat
	.globl	_ZN9rocsolver6v33100L7set_tauI19rocblas_complex_numIfEEEviPT_l ; -- Begin function _ZN9rocsolver6v33100L7set_tauI19rocblas_complex_numIfEEEviPT_l
	.p2align	8
	.type	_ZN9rocsolver6v33100L7set_tauI19rocblas_complex_numIfEEEviPT_l,@function
_ZN9rocsolver6v33100L7set_tauI19rocblas_complex_numIfEEEviPT_l: ; @_ZN9rocsolver6v33100L7set_tauI19rocblas_complex_numIfEEEviPT_l
; %bb.0:
	s_load_dword s0, s[4:5], 0x24
	s_load_dword s1, s[4:5], 0x0
	s_waitcnt lgkmcnt(0)
	s_and_b32 s0, s0, 0xffff
	s_mul_i32 s6, s6, s0
	v_add_u32_e32 v0, s6, v0
	v_cmp_gt_u32_e32 vcc, s1, v0
	s_and_saveexec_b64 s[0:1], vcc
	s_cbranch_execz .LBB157_2
; %bb.1:
	s_load_dwordx4 s[0:3], s[4:5], 0x8
	v_mov_b32_e32 v1, 0
	v_lshlrev_b64 v[0:1], 3, v[0:1]
	s_waitcnt lgkmcnt(0)
	s_mul_i32 s3, s7, s3
	s_mul_hi_u32 s4, s7, s2
	s_mul_i32 s2, s7, s2
	s_add_i32 s3, s4, s3
	s_lshl_b64 s[2:3], s[2:3], 3
	s_add_u32 s0, s0, s2
	s_addc_u32 s1, s1, s3
	v_mov_b32_e32 v2, s1
	v_add_co_u32_e32 v0, vcc, s0, v0
	v_addc_co_u32_e32 v1, vcc, v2, v1, vcc
	global_load_dwordx2 v[2:3], v[0:1], off
	s_waitcnt vmcnt(0)
	v_pk_add_f32 v[2:3], v[2:3], 0 neg_lo:[1,1] neg_hi:[1,1]
	global_store_dwordx2 v[0:1], v[2:3], off
.LBB157_2:
	s_endpgm
	.section	.rodata,"a",@progbits
	.p2align	6, 0x0
	.amdhsa_kernel _ZN9rocsolver6v33100L7set_tauI19rocblas_complex_numIfEEEviPT_l
		.amdhsa_group_segment_fixed_size 0
		.amdhsa_private_segment_fixed_size 0
		.amdhsa_kernarg_size 280
		.amdhsa_user_sgpr_count 6
		.amdhsa_user_sgpr_private_segment_buffer 1
		.amdhsa_user_sgpr_dispatch_ptr 0
		.amdhsa_user_sgpr_queue_ptr 0
		.amdhsa_user_sgpr_kernarg_segment_ptr 1
		.amdhsa_user_sgpr_dispatch_id 0
		.amdhsa_user_sgpr_flat_scratch_init 0
		.amdhsa_user_sgpr_kernarg_preload_length 0
		.amdhsa_user_sgpr_kernarg_preload_offset 0
		.amdhsa_user_sgpr_private_segment_size 0
		.amdhsa_uses_dynamic_stack 0
		.amdhsa_system_sgpr_private_segment_wavefront_offset 0
		.amdhsa_system_sgpr_workgroup_id_x 1
		.amdhsa_system_sgpr_workgroup_id_y 1
		.amdhsa_system_sgpr_workgroup_id_z 0
		.amdhsa_system_sgpr_workgroup_info 0
		.amdhsa_system_vgpr_workitem_id 0
		.amdhsa_next_free_vgpr 4
		.amdhsa_next_free_sgpr 8
		.amdhsa_accum_offset 4
		.amdhsa_reserve_vcc 1
		.amdhsa_reserve_flat_scratch 0
		.amdhsa_float_round_mode_32 0
		.amdhsa_float_round_mode_16_64 0
		.amdhsa_float_denorm_mode_32 3
		.amdhsa_float_denorm_mode_16_64 3
		.amdhsa_dx10_clamp 1
		.amdhsa_ieee_mode 1
		.amdhsa_fp16_overflow 0
		.amdhsa_tg_split 0
		.amdhsa_exception_fp_ieee_invalid_op 0
		.amdhsa_exception_fp_denorm_src 0
		.amdhsa_exception_fp_ieee_div_zero 0
		.amdhsa_exception_fp_ieee_overflow 0
		.amdhsa_exception_fp_ieee_underflow 0
		.amdhsa_exception_fp_ieee_inexact 0
		.amdhsa_exception_int_div_zero 0
	.end_amdhsa_kernel
	.section	.text._ZN9rocsolver6v33100L7set_tauI19rocblas_complex_numIfEEEviPT_l,"axG",@progbits,_ZN9rocsolver6v33100L7set_tauI19rocblas_complex_numIfEEEviPT_l,comdat
.Lfunc_end157:
	.size	_ZN9rocsolver6v33100L7set_tauI19rocblas_complex_numIfEEEviPT_l, .Lfunc_end157-_ZN9rocsolver6v33100L7set_tauI19rocblas_complex_numIfEEEviPT_l
                                        ; -- End function
	.section	.AMDGPU.csdata,"",@progbits
; Kernel info:
; codeLenInByte = 144
; NumSgprs: 12
; NumVgprs: 4
; NumAgprs: 0
; TotalNumVgprs: 4
; ScratchSize: 0
; MemoryBound: 0
; FloatMode: 240
; IeeeMode: 1
; LDSByteSize: 0 bytes/workgroup (compile time only)
; SGPRBlocks: 1
; VGPRBlocks: 0
; NumSGPRsForWavesPerEU: 12
; NumVGPRsForWavesPerEU: 4
; AccumOffset: 4
; Occupancy: 8
; WaveLimiterHint : 0
; COMPUTE_PGM_RSRC2:SCRATCH_EN: 0
; COMPUTE_PGM_RSRC2:USER_SGPR: 6
; COMPUTE_PGM_RSRC2:TRAP_HANDLER: 0
; COMPUTE_PGM_RSRC2:TGID_X_EN: 1
; COMPUTE_PGM_RSRC2:TGID_Y_EN: 1
; COMPUTE_PGM_RSRC2:TGID_Z_EN: 0
; COMPUTE_PGM_RSRC2:TIDIG_COMP_CNT: 0
; COMPUTE_PGM_RSRC3_GFX90A:ACCUM_OFFSET: 0
; COMPUTE_PGM_RSRC3_GFX90A:TG_SPLIT: 0
	.section	.text._ZN9rocsolver6v33100L20larft_kernel_forwardI19rocblas_complex_numIfEPS3_EEv15rocblas_storev_iiT0_iilPT_lS8_il,"axG",@progbits,_ZN9rocsolver6v33100L20larft_kernel_forwardI19rocblas_complex_numIfEPS3_EEv15rocblas_storev_iiT0_iilPT_lS8_il,comdat
	.globl	_ZN9rocsolver6v33100L20larft_kernel_forwardI19rocblas_complex_numIfEPS3_EEv15rocblas_storev_iiT0_iilPT_lS8_il ; -- Begin function _ZN9rocsolver6v33100L20larft_kernel_forwardI19rocblas_complex_numIfEPS3_EEv15rocblas_storev_iiT0_iilPT_lS8_il
	.p2align	8
	.type	_ZN9rocsolver6v33100L20larft_kernel_forwardI19rocblas_complex_numIfEPS3_EEv15rocblas_storev_iiT0_iilPT_lS8_il,@function
_ZN9rocsolver6v33100L20larft_kernel_forwardI19rocblas_complex_numIfEPS3_EEv15rocblas_storev_iiT0_iilPT_lS8_il: ; @_ZN9rocsolver6v33100L20larft_kernel_forwardI19rocblas_complex_numIfEPS3_EEv15rocblas_storev_iiT0_iilPT_lS8_il
; %bb.0:
	s_load_dword s2, s[4:5], 0x5c
	s_load_dword s33, s[4:5], 0x40
	s_load_dwordx2 s[0:1], s[4:5], 0x48
	s_load_dwordx4 s[16:19], s[4:5], 0x0
	s_load_dwordx8 s[8:15], s[4:5], 0x20
	s_waitcnt lgkmcnt(0)
	s_and_b32 s19, s2, 0xffff
	s_ashr_i32 s6, s7, 31
	s_mul_i32 s1, s7, s1
	s_mul_hi_u32 s2, s7, s0
	s_add_i32 s1, s2, s1
	s_mul_i32 s2, s6, s0
	s_add_i32 s1, s1, s2
	s_mul_i32 s0, s7, s0
	s_lshl_b64 s[0:1], s[0:1], 3
	s_add_u32 s36, s14, s0
	s_addc_u32 s37, s15, s1
	v_cmp_gt_i32_e64 s[0:1], s18, v0
	v_lshlrev_b32_e32 v1, 3, v0
	s_and_saveexec_b64 s[2:3], s[0:1]
	s_cbranch_execz .LBB158_5
; %bb.1:
	v_add_u32_e32 v2, 8, v1
	v_mul_lo_u32 v2, s18, v2
	s_lshl_b32 s22, s18, 3
	v_add3_u32 v6, v2, v1, 0
	s_add_i32 s23, s22, 8
	s_add_i32 s24, s33, 1
	v_mad_u64_u32 v[2:3], s[14:15], v0, s33, v[0:1]
	s_mul_i32 s23, s23, s19
	s_mul_i32 s24, s24, s19
	s_mov_b64 s[14:15], 0
	v_mov_b32_e32 v3, s37
	v_mov_b32_e32 v7, v0
.LBB158_2:                              ; =>This Loop Header: Depth=1
                                        ;     Child Loop BB158_3 Depth 2
	s_mov_b64 s[20:21], 0
	v_mov_b32_e32 v4, v2
	v_mov_b32_e32 v8, v6
	v_mov_b32_e32 v9, v7
.LBB158_3:                              ;   Parent Loop BB158_2 Depth=1
                                        ; =>  This Inner Loop Header: Depth=2
	v_ashrrev_i32_e32 v5, 31, v4
	v_lshlrev_b64 v[10:11], 3, v[4:5]
	v_add_co_u32_e32 v10, vcc, s36, v10
	v_addc_co_u32_e32 v11, vcc, v3, v11, vcc
	global_load_dwordx2 v[10:11], v[10:11], off
	v_add_u32_e32 v9, 1, v9
	v_cmp_le_i32_e32 vcc, s18, v9
	v_add_u32_e32 v4, s33, v4
	s_or_b64 s[20:21], vcc, s[20:21]
	s_waitcnt vmcnt(0)
	ds_write_b64 v8, v[10:11]
	v_add_u32_e32 v8, s22, v8
	s_andn2_b64 exec, exec, s[20:21]
	s_cbranch_execnz .LBB158_3
; %bb.4:                                ;   in Loop: Header=BB158_2 Depth=1
	s_or_b64 exec, exec, s[20:21]
	v_add_u32_e32 v7, s19, v7
	v_cmp_le_i32_e32 vcc, s18, v7
	v_add_u32_e32 v6, s23, v6
	s_or_b64 s[14:15], vcc, s[14:15]
	v_add_u32_e32 v2, s24, v2
	s_andn2_b64 exec, exec, s[14:15]
	s_cbranch_execnz .LBB158_2
.LBB158_5:
	s_or_b64 exec, exec, s[2:3]
	s_cmp_lt_i32 s18, 2
	s_waitcnt lgkmcnt(0)
	s_barrier
	s_cbranch_scc1 .LBB158_29
; %bb.6:
	s_load_dwordx4 s[20:23], s[4:5], 0x10
	s_mul_i32 s2, s7, s13
	s_mul_hi_u32 s3, s7, s12
	s_add_i32 s4, s3, s2
	s_mul_i32 s5, s6, s12
	s_add_i32 s5, s4, s5
	s_mul_i32 s4, s7, s12
	s_waitcnt lgkmcnt(0)
	s_ashr_i32 s3, s22, 31
	s_lshl_b64 s[4:5], s[4:5], 3
	s_mov_b32 s2, s22
	s_add_u32 s22, s10, s4
	s_addc_u32 s38, s11, s5
	s_lshl_b32 s39, s18, 3
	s_add_i32 s40, s39, 0
	s_cmpk_lg_i32 s16, 0xb5
	s_mul_i32 s4, s8, s6
	s_mul_hi_u32 s6, s8, s7
	s_cselect_b64 s[10:11], -1, 0
	s_add_i32 s4, s6, s4
	s_mul_i32 s6, s9, s7
	s_add_i32 s9, s4, s6
	s_mul_i32 s8, s8, s7
	s_lshl_b64 s[12:13], s[8:9], 3
	s_add_u32 s16, s12, 8
	s_addc_u32 s41, s13, 0
	s_lshl_b64 s[2:3], s[2:3], 3
	s_add_u32 s42, s20, s2
	s_addc_u32 s43, s21, s3
	s_ashr_i32 s9, s23, 31
	s_mov_b32 s8, s23
	s_lshl_b32 s6, s23, 1
	s_lshl_b64 s[8:9], s[8:9], 3
	s_lshl_b32 s44, s19, 3
	s_add_u32 s2, s12, s2
	s_addc_u32 s3, s13, s3
	s_add_u32 s2, s2, s20
	s_addc_u32 s3, s3, s21
	v_add_co_u32_e32 v2, vcc, s12, v1
	s_add_u32 s12, s2, 16
	v_add_u32_e32 v4, 8, v1
	s_mov_b32 s5, 0
	v_mov_b32_e32 v3, s13
	s_addc_u32 s13, s3, 0
	v_mul_lo_u32 v4, s18, v4
	s_add_i32 s47, s39, 8
	s_mov_b32 s4, 1
	v_addc_co_u32_e32 v3, vcc, 0, v3, vcc
	s_mov_b32 s45, s5
	v_mul_lo_u32 v10, v0, s23
	s_mul_i32 s46, s23, s19
	v_add3_u32 v11, v4, v1, 0
	s_mul_i32 s47, s47, s19
	v_add_u32_e32 v12, 0, v1
	s_mov_b32 s14, s23
	s_branch .LBB158_8
.LBB158_7:                              ;   in Loop: Header=BB158_8 Depth=1
	s_or_b64 exec, exec, s[2:3]
	s_add_i32 s4, s4, 1
	s_add_u32 s16, s16, 8
	s_addc_u32 s41, s41, 0
	s_add_i32 s6, s6, s23
	s_add_u32 s12, s12, 8
	s_addc_u32 s13, s13, 0
	s_add_i32 s14, s14, s23
	s_cmp_eq_u32 s4, s18
	s_waitcnt lgkmcnt(0)
	s_barrier
	s_cbranch_scc1 .LBB158_29
.LBB158_8:                              ; =>This Loop Header: Depth=1
                                        ;     Child Loop BB158_12 Depth 2
                                        ;       Child Loop BB158_14 Depth 3
                                        ;     Child Loop BB158_20 Depth 2
                                        ;       Child Loop BB158_22 Depth 3
	;; [unrolled: 2-line block ×3, first 2 shown]
	s_mul_i32 s2, s4, s18
	s_not_b32 s49, s4
	s_lshl_b32 s2, s2, 3
	s_add_i32 s49, s49, s17
	s_add_i32 s48, s40, s2
	s_mov_b64 s[20:21], -1
	s_and_b64 vcc, exec, s[10:11]
	v_cmp_gt_u32_e64 s[2:3], s4, v0
	s_cbranch_vccz .LBB158_16
; %bb.9:                                ;   in Loop: Header=BB158_8 Depth=1
	s_and_saveexec_b64 s[20:21], s[2:3]
	s_cbranch_execz .LBB158_15
; %bb.10:                               ;   in Loop: Header=BB158_8 Depth=1
	s_ashr_i32 s7, s6, 31
	s_lshl_b64 s[2:3], s[6:7], 3
	s_add_u32 s2, s42, s2
	s_addc_u32 s3, s43, s3
	s_cmp_gt_i32 s49, 0
	s_cselect_b64 s[24:25], -1, 0
	s_lshl_b64 s[26:27], s[4:5], 3
	s_add_u32 s26, s22, s26
	s_addc_u32 s27, s38, s27
	s_load_dwordx2 s[26:27], s[26:27], 0x0
	s_mov_b64 s[28:29], 0
	v_pk_mov_b32 v[4:5], v[2:3], v[2:3] op_sel:[0,1]
	v_mov_b32_e32 v8, v0
	s_waitcnt lgkmcnt(0)
	s_mov_b32 s30, s26
	s_mov_b32 s31, s26
	;; [unrolled: 1-line block ×3, first 2 shown]
	s_branch .LBB158_12
.LBB158_11:                             ;   in Loop: Header=BB158_12 Depth=2
	v_lshlrev_b32_e32 v9, 3, v8
	v_add_u32_e32 v13, s48, v9
	ds_read_b64 v[16:17], v13
	v_pk_mul_f32 v[14:15], v[6:7], s[26:27]
	v_pk_fma_f32 v[18:19], v[6:7], s[30:31], v[14:15] op_sel:[0,0,1] op_sel_hi:[1,1,0] neg_lo:[0,0,1] neg_hi:[0,0,1]
	v_pk_fma_f32 v[6:7], v[6:7], s[30:31], v[14:15] op_sel:[0,0,1] op_sel_hi:[1,1,0]
	v_mov_b32_e32 v19, v7
	v_add_u32_e32 v8, s19, v8
	v_add_u32_e32 v9, 0, v9
	s_waitcnt lgkmcnt(0)
	v_pk_add_f32 v[6:7], v[16:17], v[18:19]
	v_cmp_le_u32_e32 vcc, s4, v8
	ds_write_b64 v9, v[6:7]
	v_mov_b32_e32 v6, s45
	s_or_b64 s[28:29], vcc, s[28:29]
	v_add_co_u32_e32 v4, vcc, s44, v4
	v_addc_co_u32_e32 v5, vcc, v5, v6, vcc
	s_andn2_b64 exec, exec, s[28:29]
	s_cbranch_execz .LBB158_15
.LBB158_12:                             ;   Parent Loop BB158_8 Depth=1
                                        ; =>  This Loop Header: Depth=2
                                        ;       Child Loop BB158_14 Depth 3
	v_mov_b32_e32 v7, 0
	s_andn2_b64 vcc, exec, s[24:25]
	v_mov_b32_e32 v6, v7
	s_cbranch_vccnz .LBB158_11
; %bb.13:                               ;   in Loop: Header=BB158_12 Depth=2
	v_mov_b32_e32 v6, 0
	s_mov_b32 s7, 0
	s_mov_b64 s[34:35], s[2:3]
	v_mov_b32_e32 v7, v6
.LBB158_14:                             ;   Parent Loop BB158_8 Depth=1
                                        ;     Parent Loop BB158_12 Depth=2
                                        ; =>    This Inner Loop Header: Depth=3
	v_mov_b32_e32 v9, s35
	v_add_co_u32_e32 v14, vcc, s34, v4
	v_addc_co_u32_e32 v15, vcc, v9, v5, vcc
	global_load_dwordx2 v[14:15], v[14:15], off
	s_add_u32 s50, s34, s16
	s_addc_u32 s51, s35, s41
	s_load_dwordx2 s[50:51], s[50:51], 0x0
	s_add_i32 s7, s7, 1
	s_add_u32 s34, s34, s8
	s_addc_u32 s35, s35, s9
	s_cmp_ge_i32 s7, s49
	s_waitcnt vmcnt(0) lgkmcnt(0)
	v_pk_mul_f32 v[16:17], s[50:51], v[14:15] op_sel:[0,1]
	v_pk_fma_f32 v[18:19], s[50:51], v[14:15], v[16:17] op_sel:[0,0,1] op_sel_hi:[1,1,0]
	v_pk_fma_f32 v[14:15], s[50:51], v[14:15], v[16:17] op_sel:[0,0,1] op_sel_hi:[1,0,0] neg_lo:[1,0,0] neg_hi:[1,0,0]
	v_mov_b32_e32 v19, v15
	v_pk_add_f32 v[6:7], v[6:7], v[18:19]
	s_cbranch_scc0 .LBB158_14
	s_branch .LBB158_11
.LBB158_15:                             ;   in Loop: Header=BB158_8 Depth=1
	s_or_b64 exec, exec, s[20:21]
	s_mov_b64 s[20:21], 0
.LBB158_16:                             ;   in Loop: Header=BB158_8 Depth=1
	s_andn2_b64 vcc, exec, s[20:21]
	s_cbranch_vccnz .LBB158_24
; %bb.17:                               ;   in Loop: Header=BB158_8 Depth=1
	v_cmp_gt_u32_e32 vcc, s4, v0
	s_and_saveexec_b64 s[2:3], vcc
	s_cbranch_execz .LBB158_23
; %bb.18:                               ;   in Loop: Header=BB158_8 Depth=1
	s_ashr_i32 s15, s14, 31
	s_lshl_b64 s[20:21], s[14:15], 3
	s_cmp_gt_i32 s49, 0
	s_cselect_b64 s[24:25], -1, 0
	s_lshl_b64 s[26:27], s[4:5], 3
	s_add_u32 s26, s22, s26
	s_addc_u32 s27, s38, s27
	s_load_dwordx2 s[26:27], s[26:27], 0x0
	s_mov_b64 s[28:29], 0
	v_mov_b32_e32 v4, v10
	v_mov_b32_e32 v13, v0
	s_waitcnt lgkmcnt(0)
	s_mov_b32 s30, s26
	s_mov_b32 s31, s26
	;; [unrolled: 1-line block ×3, first 2 shown]
	s_branch .LBB158_20
.LBB158_19:                             ;   in Loop: Header=BB158_20 Depth=2
	v_lshlrev_b32_e32 v5, 3, v13
	v_add_u32_e32 v14, s48, v5
	ds_read_b64 v[14:15], v14
	v_pk_mul_f32 v[8:9], v[6:7], s[26:27]
	v_pk_fma_f32 v[16:17], v[6:7], s[30:31], v[8:9] op_sel:[0,0,1] op_sel_hi:[1,1,0] neg_lo:[0,0,1] neg_hi:[0,0,1]
	v_pk_fma_f32 v[6:7], v[6:7], s[30:31], v[8:9] op_sel:[0,0,1] op_sel_hi:[1,1,0]
	v_add_u32_e32 v13, s19, v13
	v_mov_b32_e32 v17, v7
	v_cmp_le_u32_e32 vcc, s4, v13
	v_add_u32_e32 v5, 0, v5
	s_waitcnt lgkmcnt(0)
	v_pk_add_f32 v[6:7], v[14:15], v[16:17]
	s_or_b64 s[28:29], vcc, s[28:29]
	v_add_u32_e32 v4, s46, v4
	ds_write_b64 v5, v[6:7]
	s_andn2_b64 exec, exec, s[28:29]
	s_cbranch_execz .LBB158_23
.LBB158_20:                             ;   Parent Loop BB158_8 Depth=1
                                        ; =>  This Loop Header: Depth=2
                                        ;       Child Loop BB158_22 Depth 3
	v_mov_b32_e32 v7, 0
	s_andn2_b64 vcc, exec, s[24:25]
	v_mov_b32_e32 v6, v7
	s_cbranch_vccnz .LBB158_19
; %bb.21:                               ;   in Loop: Header=BB158_20 Depth=2
	v_ashrrev_i32_e32 v5, 31, v4
	v_mov_b32_e32 v6, 0
	v_lshlrev_b64 v[8:9], 3, v[4:5]
	s_mov_b32 s7, 0
	s_mov_b64 s[34:35], s[12:13]
	v_mov_b32_e32 v7, v6
.LBB158_22:                             ;   Parent Loop BB158_8 Depth=1
                                        ;     Parent Loop BB158_20 Depth=2
                                        ; =>    This Inner Loop Header: Depth=3
	v_mov_b32_e32 v5, s35
	v_add_co_u32_e32 v14, vcc, s34, v8
	v_addc_co_u32_e32 v15, vcc, v5, v9, vcc
	global_load_dwordx2 v[14:15], v[14:15], off
	s_add_u32 s50, s34, s20
	s_addc_u32 s51, s35, s21
	s_load_dwordx2 s[50:51], s[50:51], 0x0
	s_add_i32 s7, s7, 1
	s_add_u32 s34, s34, 8
	s_addc_u32 s35, s35, 0
	s_cmp_ge_i32 s7, s49
	s_waitcnt vmcnt(0) lgkmcnt(0)
	v_pk_mul_f32 v[16:17], v[14:15], s[50:51] op_sel:[1,0]
	v_pk_fma_f32 v[18:19], v[14:15], s[50:51], v[16:17] op_sel:[0,0,1] op_sel_hi:[1,1,0]
	v_pk_fma_f32 v[14:15], v[14:15], s[50:51], v[16:17] op_sel:[0,0,1] op_sel_hi:[0,1,0] neg_lo:[0,0,1] neg_hi:[0,0,1]
	v_mov_b32_e32 v19, v15
	v_pk_add_f32 v[6:7], v[6:7], v[18:19]
	s_cbranch_scc0 .LBB158_22
	s_branch .LBB158_19
.LBB158_23:                             ;   in Loop: Header=BB158_8 Depth=1
	s_or_b64 exec, exec, s[2:3]
.LBB158_24:                             ;   in Loop: Header=BB158_8 Depth=1
	v_cmp_gt_u32_e32 vcc, s4, v0
	s_waitcnt lgkmcnt(0)
	s_barrier
	s_and_saveexec_b64 s[2:3], vcc
	s_cbranch_execz .LBB158_7
; %bb.25:                               ;   in Loop: Header=BB158_8 Depth=1
	s_mov_b64 s[20:21], 0
	v_mov_b32_e32 v6, v12
	v_mov_b32_e32 v7, v11
	;; [unrolled: 1-line block ×3, first 2 shown]
.LBB158_26:                             ;   Parent Loop BB158_8 Depth=1
                                        ; =>  This Loop Header: Depth=2
                                        ;       Child Loop BB158_27 Depth 3
	v_mov_b32_e32 v4, 0
	s_mov_b64 s[24:25], 0
	v_mov_b32_e32 v9, v6
	v_mov_b32_e32 v13, v7
	;; [unrolled: 1-line block ×4, first 2 shown]
.LBB158_27:                             ;   Parent Loop BB158_8 Depth=1
                                        ;     Parent Loop BB158_26 Depth=2
                                        ; =>    This Inner Loop Header: Depth=3
	ds_read_b64 v[16:17], v13
	ds_read_b64 v[18:19], v9
	v_add_u32_e32 v14, 1, v14
	v_cmp_le_u32_e32 vcc, s4, v14
	v_add_u32_e32 v13, s39, v13
	v_add_u32_e32 v9, 8, v9
	s_waitcnt lgkmcnt(0)
	v_pk_mul_f32 v[20:21], v[18:19], v[16:17] op_sel:[0,1]
	v_pk_fma_f32 v[22:23], v[18:19], v[16:17], v[20:21] op_sel:[0,0,1] op_sel_hi:[1,1,0] neg_lo:[0,0,1] neg_hi:[0,0,1]
	v_pk_fma_f32 v[16:17], v[18:19], v[16:17], v[20:21] op_sel:[0,0,1] op_sel_hi:[1,0,0]
	v_mov_b32_e32 v23, v17
	s_or_b64 s[24:25], vcc, s[24:25]
	v_pk_add_f32 v[4:5], v[4:5], v[22:23]
	s_andn2_b64 exec, exec, s[24:25]
	s_cbranch_execnz .LBB158_27
; %bb.28:                               ;   in Loop: Header=BB158_26 Depth=2
	s_or_b64 exec, exec, s[24:25]
	v_lshl_add_u32 v9, v8, 3, s48
	v_add_u32_e32 v8, s19, v8
	v_cmp_le_u32_e32 vcc, s4, v8
	v_add_u32_e32 v7, s47, v7
	s_or_b64 s[20:21], vcc, s[20:21]
	v_add_u32_e32 v6, s44, v6
	ds_write_b64 v9, v[4:5]
	s_andn2_b64 exec, exec, s[20:21]
	s_cbranch_execnz .LBB158_26
	s_branch .LBB158_7
.LBB158_29:
	s_and_saveexec_b64 s[2:3], s[0:1]
	s_cbranch_execz .LBB158_34
; %bb.30:
	v_mad_u64_u32 v[2:3], s[0:1], v0, s33, v[0:1]
	v_add_u32_e32 v3, 8, v1
	s_lshl_b32 s7, s18, 3
	s_add_i32 s6, s33, 1
	v_mul_lo_u32 v3, s18, v3
	s_add_i32 s8, s7, 8
	s_mul_i32 s6, s6, s19
	v_add3_u32 v1, v3, v1, 0
	s_mul_i32 s8, s8, s19
	s_mov_b64 s[2:3], 0
	v_mov_b32_e32 v3, s37
.LBB158_31:                             ; =>This Loop Header: Depth=1
                                        ;     Child Loop BB158_32 Depth 2
	s_mov_b64 s[4:5], 0
	v_mov_b32_e32 v6, v1
	v_mov_b32_e32 v4, v2
	;; [unrolled: 1-line block ×3, first 2 shown]
.LBB158_32:                             ;   Parent Loop BB158_31 Depth=1
                                        ; =>  This Inner Loop Header: Depth=2
	ds_read_b64 v[8:9], v6
	v_ashrrev_i32_e32 v5, 31, v4
	v_add_u32_e32 v7, 1, v7
	v_lshlrev_b64 v[10:11], 3, v[4:5]
	v_cmp_le_i32_e32 vcc, s18, v7
	v_add_co_u32_e64 v10, s[0:1], s36, v10
	v_add_u32_e32 v6, s7, v6
	v_add_u32_e32 v4, s33, v4
	v_addc_co_u32_e64 v11, s[0:1], v3, v11, s[0:1]
	s_or_b64 s[4:5], vcc, s[4:5]
	s_waitcnt lgkmcnt(0)
	global_store_dwordx2 v[10:11], v[8:9], off
	s_andn2_b64 exec, exec, s[4:5]
	s_cbranch_execnz .LBB158_32
; %bb.33:                               ;   in Loop: Header=BB158_31 Depth=1
	s_or_b64 exec, exec, s[4:5]
	v_add_u32_e32 v0, s19, v0
	v_cmp_le_i32_e32 vcc, s18, v0
	v_add_u32_e32 v2, s6, v2
	s_or_b64 s[2:3], vcc, s[2:3]
	v_add_u32_e32 v1, s8, v1
	s_andn2_b64 exec, exec, s[2:3]
	s_cbranch_execnz .LBB158_31
.LBB158_34:
	s_endpgm
	.section	.rodata,"a",@progbits
	.p2align	6, 0x0
	.amdhsa_kernel _ZN9rocsolver6v33100L20larft_kernel_forwardI19rocblas_complex_numIfEPS3_EEv15rocblas_storev_iiT0_iilPT_lS8_il
		.amdhsa_group_segment_fixed_size 0
		.amdhsa_private_segment_fixed_size 0
		.amdhsa_kernarg_size 336
		.amdhsa_user_sgpr_count 6
		.amdhsa_user_sgpr_private_segment_buffer 1
		.amdhsa_user_sgpr_dispatch_ptr 0
		.amdhsa_user_sgpr_queue_ptr 0
		.amdhsa_user_sgpr_kernarg_segment_ptr 1
		.amdhsa_user_sgpr_dispatch_id 0
		.amdhsa_user_sgpr_flat_scratch_init 0
		.amdhsa_user_sgpr_kernarg_preload_length 0
		.amdhsa_user_sgpr_kernarg_preload_offset 0
		.amdhsa_user_sgpr_private_segment_size 0
		.amdhsa_uses_dynamic_stack 0
		.amdhsa_system_sgpr_private_segment_wavefront_offset 0
		.amdhsa_system_sgpr_workgroup_id_x 1
		.amdhsa_system_sgpr_workgroup_id_y 1
		.amdhsa_system_sgpr_workgroup_id_z 0
		.amdhsa_system_sgpr_workgroup_info 0
		.amdhsa_system_vgpr_workitem_id 0
		.amdhsa_next_free_vgpr 24
		.amdhsa_next_free_sgpr 52
		.amdhsa_accum_offset 24
		.amdhsa_reserve_vcc 1
		.amdhsa_reserve_flat_scratch 0
		.amdhsa_float_round_mode_32 0
		.amdhsa_float_round_mode_16_64 0
		.amdhsa_float_denorm_mode_32 3
		.amdhsa_float_denorm_mode_16_64 3
		.amdhsa_dx10_clamp 1
		.amdhsa_ieee_mode 1
		.amdhsa_fp16_overflow 0
		.amdhsa_tg_split 0
		.amdhsa_exception_fp_ieee_invalid_op 0
		.amdhsa_exception_fp_denorm_src 0
		.amdhsa_exception_fp_ieee_div_zero 0
		.amdhsa_exception_fp_ieee_overflow 0
		.amdhsa_exception_fp_ieee_underflow 0
		.amdhsa_exception_fp_ieee_inexact 0
		.amdhsa_exception_int_div_zero 0
	.end_amdhsa_kernel
	.section	.text._ZN9rocsolver6v33100L20larft_kernel_forwardI19rocblas_complex_numIfEPS3_EEv15rocblas_storev_iiT0_iilPT_lS8_il,"axG",@progbits,_ZN9rocsolver6v33100L20larft_kernel_forwardI19rocblas_complex_numIfEPS3_EEv15rocblas_storev_iiT0_iilPT_lS8_il,comdat
.Lfunc_end158:
	.size	_ZN9rocsolver6v33100L20larft_kernel_forwardI19rocblas_complex_numIfEPS3_EEv15rocblas_storev_iiT0_iilPT_lS8_il, .Lfunc_end158-_ZN9rocsolver6v33100L20larft_kernel_forwardI19rocblas_complex_numIfEPS3_EEv15rocblas_storev_iiT0_iilPT_lS8_il
                                        ; -- End function
	.section	.AMDGPU.csdata,"",@progbits
; Kernel info:
; codeLenInByte = 1680
; NumSgprs: 56
; NumVgprs: 24
; NumAgprs: 0
; TotalNumVgprs: 24
; ScratchSize: 0
; MemoryBound: 0
; FloatMode: 240
; IeeeMode: 1
; LDSByteSize: 0 bytes/workgroup (compile time only)
; SGPRBlocks: 6
; VGPRBlocks: 2
; NumSGPRsForWavesPerEU: 56
; NumVGPRsForWavesPerEU: 24
; AccumOffset: 24
; Occupancy: 8
; WaveLimiterHint : 0
; COMPUTE_PGM_RSRC2:SCRATCH_EN: 0
; COMPUTE_PGM_RSRC2:USER_SGPR: 6
; COMPUTE_PGM_RSRC2:TRAP_HANDLER: 0
; COMPUTE_PGM_RSRC2:TGID_X_EN: 1
; COMPUTE_PGM_RSRC2:TGID_Y_EN: 1
; COMPUTE_PGM_RSRC2:TGID_Z_EN: 0
; COMPUTE_PGM_RSRC2:TIDIG_COMP_CNT: 0
; COMPUTE_PGM_RSRC3_GFX90A:ACCUM_OFFSET: 5
; COMPUTE_PGM_RSRC3_GFX90A:TG_SPLIT: 0
	.section	.text._ZN9rocsolver6v33100L21larft_kernel_backwardI19rocblas_complex_numIfEPS3_EEv15rocblas_storev_iiT0_iilPT_lS8_il,"axG",@progbits,_ZN9rocsolver6v33100L21larft_kernel_backwardI19rocblas_complex_numIfEPS3_EEv15rocblas_storev_iiT0_iilPT_lS8_il,comdat
	.globl	_ZN9rocsolver6v33100L21larft_kernel_backwardI19rocblas_complex_numIfEPS3_EEv15rocblas_storev_iiT0_iilPT_lS8_il ; -- Begin function _ZN9rocsolver6v33100L21larft_kernel_backwardI19rocblas_complex_numIfEPS3_EEv15rocblas_storev_iiT0_iilPT_lS8_il
	.p2align	8
	.type	_ZN9rocsolver6v33100L21larft_kernel_backwardI19rocblas_complex_numIfEPS3_EEv15rocblas_storev_iiT0_iilPT_lS8_il,@function
_ZN9rocsolver6v33100L21larft_kernel_backwardI19rocblas_complex_numIfEPS3_EEv15rocblas_storev_iiT0_iilPT_lS8_il: ; @_ZN9rocsolver6v33100L21larft_kernel_backwardI19rocblas_complex_numIfEPS3_EEv15rocblas_storev_iiT0_iilPT_lS8_il
; %bb.0:
	s_load_dword s2, s[4:5], 0x5c
	s_load_dword s30, s[4:5], 0x40
	s_load_dwordx2 s[0:1], s[4:5], 0x48
	s_load_dwordx4 s[16:19], s[4:5], 0x0
	s_load_dwordx8 s[8:15], s[4:5], 0x20
	s_waitcnt lgkmcnt(0)
	s_and_b32 s19, s2, 0xffff
	s_ashr_i32 s6, s7, 31
	s_mul_i32 s1, s7, s1
	s_mul_hi_u32 s2, s7, s0
	s_add_i32 s1, s2, s1
	s_mul_i32 s2, s6, s0
	s_add_i32 s1, s1, s2
	s_mul_i32 s0, s7, s0
	s_lshl_b64 s[0:1], s[0:1], 3
	s_add_u32 s31, s14, s0
	s_addc_u32 s33, s15, s1
	v_cmp_gt_i32_e64 s[0:1], s18, v0
	v_add_u32_e32 v1, 1, v0
	s_and_saveexec_b64 s[2:3], s[0:1]
	s_cbranch_execz .LBB159_5
; %bb.1:
	s_lshl_b32 s22, s18, 3
	s_add_i32 s14, s22, 0
	v_add_u32_e32 v4, 1, v0
	v_lshl_add_u32 v5, v0, 3, s14
	s_lshl_b32 s23, s19, 3
	s_mov_b64 s[14:15], 0
	v_mov_b32_e32 v6, s33
	v_mov_b32_e32 v7, v0
.LBB159_2:                              ; =>This Loop Header: Depth=1
                                        ;     Child Loop BB159_3 Depth 2
	s_mov_b64 s[20:21], 0
	v_mov_b32_e32 v2, v7
	v_mov_b32_e32 v8, v5
	s_mov_b32 s24, 0
.LBB159_3:                              ;   Parent Loop BB159_2 Depth=1
                                        ; =>  This Inner Loop Header: Depth=2
	v_ashrrev_i32_e32 v3, 31, v2
	v_lshlrev_b64 v[10:11], 3, v[2:3]
	v_add_co_u32_e32 v10, vcc, s31, v10
	v_addc_co_u32_e32 v11, vcc, v6, v11, vcc
	global_load_dwordx2 v[10:11], v[10:11], off
	s_add_i32 s24, s24, 1
	v_cmp_eq_u32_e32 vcc, s24, v4
	v_add_u32_e32 v2, s30, v2
	s_or_b64 s[20:21], vcc, s[20:21]
	s_waitcnt vmcnt(0)
	ds_write_b64 v8, v[10:11]
	v_add_u32_e32 v8, s22, v8
	s_andn2_b64 exec, exec, s[20:21]
	s_cbranch_execnz .LBB159_3
; %bb.4:                                ;   in Loop: Header=BB159_2 Depth=1
	s_or_b64 exec, exec, s[20:21]
	v_add_u32_e32 v7, s19, v7
	v_cmp_le_i32_e32 vcc, s18, v7
	v_add_u32_e32 v4, s19, v4
	s_or_b64 s[14:15], vcc, s[14:15]
	v_add_u32_e32 v5, s23, v5
	s_andn2_b64 exec, exec, s[14:15]
	s_cbranch_execnz .LBB159_2
.LBB159_5:
	s_or_b64 exec, exec, s[2:3]
	s_cmp_lt_i32 s18, 2
	s_waitcnt lgkmcnt(0)
	s_barrier
	s_cbranch_scc1 .LBB159_29
; %bb.6:
	s_load_dwordx4 s[20:23], s[4:5], 0x10
	s_mul_i32 s2, s7, s13
	s_mul_hi_u32 s3, s7, s12
	s_add_i32 s4, s3, s2
	s_mul_i32 s5, s6, s12
	s_add_i32 s5, s4, s5
	s_mul_i32 s4, s7, s12
	s_waitcnt lgkmcnt(0)
	s_ashr_i32 s3, s22, 31
	s_lshl_b64 s[4:5], s[4:5], 3
	s_mov_b32 s2, s22
	s_add_u32 s22, s10, s4
	s_addc_u32 s34, s11, s5
	s_lshl_b32 s35, s18, 3
	s_add_i32 s36, s35, 0
	s_add_i32 s4, s18, -2
	s_sub_i32 s37, s17, s18
	s_cmpk_lg_i32 s16, 0xb5
	s_mul_i32 s6, s8, s6
	s_mul_hi_u32 s12, s8, s7
	s_cselect_b64 s[10:11], -1, 0
	s_add_i32 s6, s12, s6
	s_mul_i32 s9, s9, s7
	s_add_i32 s9, s6, s9
	s_mul_i32 s8, s8, s7
	s_lshl_b64 s[6:7], s[8:9], 3
	s_lshl_b64 s[2:3], s[2:3], 3
	s_mov_b32 s5, 0
	s_add_u32 s8, s6, s2
	s_addc_u32 s9, s7, s3
	s_lshl_b64 s[2:3], s[4:5], 3
	s_add_u32 s6, s8, s2
	s_addc_u32 s7, s9, s3
	s_add_u32 s38, s20, s6
	s_addc_u32 s39, s21, s7
	s_ashr_i32 s7, s23, 31
	s_mov_b32 s6, s23
	s_lshl_b64 s[6:7], s[6:7], 3
	s_add_u32 s40, s20, s8
	s_addc_u32 s41, s21, s9
	s_add_u32 s2, s40, s2
	s_addc_u32 s3, s41, s3
	s_lshl_b32 s42, s19, 3
	v_lshlrev_b32_e32 v4, 3, v0
	s_add_u32 s44, s40, 4
	v_add_co_u32_e32 v3, vcc, s2, v4
	s_addc_u32 s45, s41, 0
	s_add_i32 s2, s18, -1
	v_mov_b32_e32 v2, s3
	s_mul_i32 s12, s23, s2
	s_add_i32 s2, s35, 8
	v_addc_co_u32_e32 v5, vcc, 0, v2, vcc
	s_mul_i32 s2, s18, s2
	v_add_co_u32_e32 v2, vcc, 8, v3
	s_add_i32 s2, s2, 0
	v_addc_co_u32_e32 v3, vcc, 0, v5, vcc
	s_mov_b32 s43, s5
	s_mul_i32 s8, s23, s4
	v_mul_lo_u32 v10, v0, s23
	s_mul_i32 s46, s23, s19
	v_add3_u32 v11, s2, v4, -8
	s_xor_b32 s47, s35, -8
	s_branch .LBB159_8
.LBB159_7:                              ;   in Loop: Header=BB159_8 Depth=1
	s_or_b64 exec, exec, s[2:3]
	s_add_i32 s2, s4, -1
	s_add_u32 s38, s38, -8
	s_addc_u32 s39, s39, -1
	v_add_co_u32_e32 v2, vcc, -8, v2
	s_sub_i32 s8, s8, s23
	s_sub_i32 s12, s12, s23
	v_addc_co_u32_e32 v3, vcc, -1, v3, vcc
	v_add_u32_e32 v11, s47, v11
	s_cmp_lt_i32 s4, 1
	s_mov_b32 s4, s2
	s_waitcnt lgkmcnt(0)
	s_barrier
	s_cbranch_scc1 .LBB159_29
.LBB159_8:                              ; =>This Loop Header: Depth=1
                                        ;     Child Loop BB159_12 Depth 2
                                        ;       Child Loop BB159_14 Depth 3
                                        ;     Child Loop BB159_20 Depth 2
                                        ;       Child Loop BB159_22 Depth 3
	;; [unrolled: 2-line block ×3, first 2 shown]
	s_lshl_b32 s2, s4, 3
	s_not_b32 s48, s4
	s_add_i32 s49, s36, s2
	s_mul_i32 s2, s4, s18
	s_add_i32 s48, s48, s18
	s_lshl_b32 s2, s2, 3
	s_add_i32 s50, s4, s37
	s_add_i32 s49, s49, s2
	s_mov_b64 s[14:15], -1
	s_and_b64 vcc, exec, s[10:11]
	v_cmp_gt_i32_e64 s[2:3], s48, v0
	s_cbranch_vccz .LBB159_16
; %bb.9:                                ;   in Loop: Header=BB159_8 Depth=1
	s_and_saveexec_b64 s[14:15], s[2:3]
	s_cbranch_execz .LBB159_15
; %bb.10:                               ;   in Loop: Header=BB159_8 Depth=1
	s_cmp_gt_i32 s50, 0
	s_cselect_b64 s[2:3], -1, 0
	s_lshl_b64 s[16:17], s[4:5], 3
	s_add_u32 s16, s22, s16
	s_addc_u32 s17, s34, s17
	s_load_dwordx2 s[16:17], s[16:17], 0x0
	s_add_i32 s9, s49, 8
	s_mov_b64 s[24:25], 0
	v_pk_mov_b32 v[4:5], v[2:3], v[2:3] op_sel:[0,1]
	v_mov_b32_e32 v8, v0
	s_waitcnt lgkmcnt(0)
	s_mov_b32 s20, s16
	s_mov_b32 s21, s16
	s_mov_b32 s16, s17
	s_branch .LBB159_12
.LBB159_11:                             ;   in Loop: Header=BB159_12 Depth=2
	v_lshlrev_b32_e32 v9, 3, v8
	v_add_u32_e32 v14, s9, v9
	ds_read_b64 v[14:15], v14
	v_pk_mul_f32 v[12:13], v[6:7], s[16:17]
	v_pk_fma_f32 v[16:17], v[6:7], s[20:21], v[12:13] op_sel:[0,0,1] op_sel_hi:[1,1,0] neg_lo:[0,0,1] neg_hi:[0,0,1]
	v_pk_fma_f32 v[6:7], v[6:7], s[20:21], v[12:13] op_sel:[0,0,1] op_sel_hi:[1,1,0]
	v_mov_b32_e32 v17, v7
	v_add_u32_e32 v8, s19, v8
	v_add_u32_e32 v9, 0, v9
	s_waitcnt lgkmcnt(0)
	v_pk_add_f32 v[6:7], v[14:15], v[16:17]
	v_cmp_le_i32_e32 vcc, s48, v8
	ds_write_b64 v9, v[6:7]
	v_mov_b32_e32 v6, s43
	s_or_b64 s[24:25], vcc, s[24:25]
	v_add_co_u32_e32 v4, vcc, s42, v4
	v_addc_co_u32_e32 v5, vcc, v5, v6, vcc
	s_andn2_b64 exec, exec, s[24:25]
	s_cbranch_execz .LBB159_15
.LBB159_12:                             ;   Parent Loop BB159_8 Depth=1
                                        ; =>  This Loop Header: Depth=2
                                        ;       Child Loop BB159_14 Depth 3
	v_mov_b32_e32 v7, 0
	s_andn2_b64 vcc, exec, s[2:3]
	v_mov_b32_e32 v6, v7
	s_cbranch_vccnz .LBB159_11
; %bb.13:                               ;   in Loop: Header=BB159_12 Depth=2
	v_mov_b32_e32 v6, 0
	s_mov_b32 s13, 0
	s_mov_b64 s[26:27], 0
	v_mov_b32_e32 v7, v6
.LBB159_14:                             ;   Parent Loop BB159_8 Depth=1
                                        ;     Parent Loop BB159_12 Depth=2
                                        ; =>    This Inner Loop Header: Depth=3
	v_mov_b32_e32 v9, s27
	v_add_co_u32_e32 v12, vcc, s26, v4
	v_addc_co_u32_e32 v13, vcc, v5, v9, vcc
	global_load_dwordx2 v[12:13], v[12:13], off
	s_add_u32 s28, s38, s26
	s_addc_u32 s29, s39, s27
	s_load_dwordx2 s[28:29], s[28:29], 0x0
	s_add_i32 s13, s13, 1
	s_add_u32 s26, s26, s6
	s_addc_u32 s27, s27, s7
	s_cmp_ge_i32 s13, s50
	s_waitcnt vmcnt(0) lgkmcnt(0)
	v_pk_mul_f32 v[14:15], s[28:29], v[12:13] op_sel:[0,1]
	v_pk_fma_f32 v[16:17], s[28:29], v[12:13], v[14:15] op_sel:[0,0,1] op_sel_hi:[1,1,0]
	v_pk_fma_f32 v[12:13], s[28:29], v[12:13], v[14:15] op_sel:[0,0,1] op_sel_hi:[1,0,0] neg_lo:[1,0,0] neg_hi:[1,0,0]
	v_mov_b32_e32 v17, v13
	v_pk_add_f32 v[6:7], v[6:7], v[16:17]
	s_cbranch_scc0 .LBB159_14
	s_branch .LBB159_11
.LBB159_15:                             ;   in Loop: Header=BB159_8 Depth=1
	s_or_b64 exec, exec, s[14:15]
	s_mov_b64 s[14:15], 0
.LBB159_16:                             ;   in Loop: Header=BB159_8 Depth=1
	s_andn2_b64 vcc, exec, s[14:15]
	s_cbranch_vccnz .LBB159_24
; %bb.17:                               ;   in Loop: Header=BB159_8 Depth=1
	v_cmp_gt_i32_e32 vcc, s48, v0
	s_and_saveexec_b64 s[2:3], vcc
	s_cbranch_execz .LBB159_23
; %bb.18:                               ;   in Loop: Header=BB159_8 Depth=1
	s_ashr_i32 s9, s8, 31
	s_lshl_b64 s[14:15], s[8:9], 3
	s_add_u32 s14, s40, s14
	s_addc_u32 s15, s41, s15
	s_ashr_i32 s13, s12, 31
	s_lshl_b64 s[26:27], s[12:13], 3
	s_cmp_gt_i32 s50, 0
	s_cselect_b64 s[16:17], -1, 0
	s_lshl_b64 s[20:21], s[4:5], 3
	s_add_u32 s20, s22, s20
	s_addc_u32 s21, s34, s21
	s_load_dwordx2 s[20:21], s[20:21], 0x0
	s_add_i32 s9, s49, 8
	s_add_u32 s13, s44, s26
	s_addc_u32 s51, s45, s27
	s_mov_b64 s[26:27], 0
	s_waitcnt lgkmcnt(0)
	s_mov_b32 s24, s20
	s_mov_b32 s25, s20
	;; [unrolled: 1-line block ×3, first 2 shown]
	v_mov_b32_e32 v4, v10
	v_mov_b32_e32 v12, v0
	s_branch .LBB159_20
.LBB159_19:                             ;   in Loop: Header=BB159_20 Depth=2
	v_lshlrev_b32_e32 v5, 3, v12
	v_add_u32_e32 v13, s9, v5
	ds_read_b64 v[14:15], v13
	v_pk_mul_f32 v[8:9], v[6:7], s[20:21]
	v_pk_fma_f32 v[16:17], v[6:7], s[24:25], v[8:9] op_sel:[0,0,1] op_sel_hi:[1,1,0] neg_lo:[0,0,1] neg_hi:[0,0,1]
	v_pk_fma_f32 v[6:7], v[6:7], s[24:25], v[8:9] op_sel:[0,0,1] op_sel_hi:[1,1,0]
	v_add_u32_e32 v12, s19, v12
	v_mov_b32_e32 v17, v7
	v_cmp_le_i32_e32 vcc, s48, v12
	v_add_u32_e32 v5, 0, v5
	s_waitcnt lgkmcnt(0)
	v_pk_add_f32 v[6:7], v[14:15], v[16:17]
	s_or_b64 s[26:27], vcc, s[26:27]
	v_add_u32_e32 v4, s46, v4
	ds_write_b64 v5, v[6:7]
	s_andn2_b64 exec, exec, s[26:27]
	s_cbranch_execz .LBB159_23
.LBB159_20:                             ;   Parent Loop BB159_8 Depth=1
                                        ; =>  This Loop Header: Depth=2
                                        ;       Child Loop BB159_22 Depth 3
	v_mov_b32_e32 v7, 0
	s_andn2_b64 vcc, exec, s[16:17]
	v_mov_b32_e32 v6, v7
	s_cbranch_vccnz .LBB159_19
; %bb.21:                               ;   in Loop: Header=BB159_20 Depth=2
	v_ashrrev_i32_e32 v5, 31, v4
	v_lshlrev_b64 v[6:7], 3, v[4:5]
	v_mov_b32_e32 v5, s51
	v_add_co_u32_e32 v8, vcc, s13, v6
	v_mov_b32_e32 v6, 0
	v_addc_co_u32_e32 v9, vcc, v5, v7, vcc
	s_mov_b32 s52, 0
	s_mov_b64 s[28:29], s[14:15]
	v_mov_b32_e32 v7, v6
.LBB159_22:                             ;   Parent Loop BB159_8 Depth=1
                                        ;     Parent Loop BB159_20 Depth=2
                                        ; =>    This Inner Loop Header: Depth=3
	global_load_dwordx2 v[14:15], v[8:9], off offset:-4
	s_load_dwordx2 s[54:55], s[28:29], 0x0
	s_add_i32 s52, s52, 1
	s_add_u32 s28, s28, 8
	v_add_co_u32_e32 v8, vcc, 8, v8
	s_addc_u32 s29, s29, 0
	v_addc_co_u32_e32 v9, vcc, 0, v9, vcc
	s_cmp_ge_i32 s52, s50
	s_waitcnt vmcnt(0) lgkmcnt(0)
	v_pk_mul_f32 v[16:17], v[14:15], s[54:55] op_sel:[1,0]
	v_pk_fma_f32 v[18:19], v[14:15], s[54:55], v[16:17] op_sel:[0,0,1] op_sel_hi:[1,1,0]
	v_pk_fma_f32 v[14:15], v[14:15], s[54:55], v[16:17] op_sel:[0,0,1] op_sel_hi:[0,1,0] neg_lo:[0,0,1] neg_hi:[0,0,1]
	v_mov_b32_e32 v19, v15
	v_pk_add_f32 v[6:7], v[6:7], v[18:19]
	s_cbranch_scc0 .LBB159_22
	s_branch .LBB159_19
.LBB159_23:                             ;   in Loop: Header=BB159_8 Depth=1
	s_or_b64 exec, exec, s[2:3]
.LBB159_24:                             ;   in Loop: Header=BB159_8 Depth=1
	v_cmp_gt_i32_e32 vcc, s48, v0
	s_waitcnt lgkmcnt(0)
	s_barrier
	s_and_saveexec_b64 s[2:3], vcc
	s_cbranch_execz .LBB159_7
; %bb.25:                               ;   in Loop: Header=BB159_8 Depth=1
	s_add_i32 s49, s49, 8
	s_mov_b64 s[14:15], 0
	v_mov_b32_e32 v6, v11
	v_mov_b32_e32 v7, v0
.LBB159_26:                             ;   Parent Loop BB159_8 Depth=1
                                        ; =>  This Loop Header: Depth=2
                                        ;       Child Loop BB159_27 Depth 3
	v_mov_b32_e32 v4, 0
	s_mov_b32 s9, 0
	s_mov_b32 s13, -1
	s_mov_b64 s[16:17], 0
	v_mov_b32_e32 v8, v6
	v_mov_b32_e32 v5, v4
.LBB159_27:                             ;   Parent Loop BB159_8 Depth=1
                                        ;     Parent Loop BB159_26 Depth=2
                                        ; =>    This Inner Loop Header: Depth=3
	v_mov_b32_e32 v9, s9
	ds_read_b64 v[12:13], v8
	ds_read_b64 v[14:15], v9
	s_add_i32 s13, s13, 1
	s_add_i32 s9, s9, 8
	v_cmp_eq_u32_e32 vcc, s13, v7
	v_add_u32_e32 v8, s35, v8
	s_waitcnt lgkmcnt(0)
	v_pk_mul_f32 v[16:17], v[14:15], v[12:13] op_sel:[0,1]
	v_pk_fma_f32 v[18:19], v[14:15], v[12:13], v[16:17] op_sel:[0,0,1] op_sel_hi:[1,1,0] neg_lo:[0,0,1] neg_hi:[0,0,1]
	v_pk_fma_f32 v[12:13], v[14:15], v[12:13], v[16:17] op_sel:[0,0,1] op_sel_hi:[1,0,0]
	v_mov_b32_e32 v19, v13
	s_or_b64 s[16:17], vcc, s[16:17]
	v_pk_add_f32 v[4:5], v[4:5], v[18:19]
	s_andn2_b64 exec, exec, s[16:17]
	s_cbranch_execnz .LBB159_27
; %bb.28:                               ;   in Loop: Header=BB159_26 Depth=2
	s_or_b64 exec, exec, s[16:17]
	v_lshl_add_u32 v8, v7, 3, s49
	v_add_u32_e32 v7, s19, v7
	v_cmp_le_i32_e32 vcc, s48, v7
	s_or_b64 s[14:15], vcc, s[14:15]
	v_add_u32_e32 v6, s42, v6
	ds_write_b64 v8, v[4:5]
	s_andn2_b64 exec, exec, s[14:15]
	s_cbranch_execnz .LBB159_26
	s_branch .LBB159_7
.LBB159_29:
	s_and_saveexec_b64 s[2:3], s[0:1]
	s_cbranch_execz .LBB159_34
; %bb.30:
	s_lshl_b32 s6, s18, 3
	s_add_i32 s0, s6, 0
	v_lshl_add_u32 v4, v0, 3, s0
	s_lshl_b32 s7, s19, 3
	s_mov_b64 s[2:3], 0
	v_mov_b32_e32 v5, s33
.LBB159_31:                             ; =>This Loop Header: Depth=1
                                        ;     Child Loop BB159_32 Depth 2
	s_mov_b64 s[4:5], 0
	v_mov_b32_e32 v6, v4
	v_mov_b32_e32 v2, v0
	s_mov_b32 s8, 0
.LBB159_32:                             ;   Parent Loop BB159_31 Depth=1
                                        ; =>  This Inner Loop Header: Depth=2
	ds_read_b64 v[8:9], v6
	v_ashrrev_i32_e32 v3, 31, v2
	s_add_i32 s8, s8, 1
	v_lshlrev_b64 v[10:11], 3, v[2:3]
	v_cmp_eq_u32_e32 vcc, s8, v1
	v_add_co_u32_e64 v10, s[0:1], s31, v10
	v_add_u32_e32 v6, s6, v6
	v_add_u32_e32 v2, s30, v2
	v_addc_co_u32_e64 v11, s[0:1], v5, v11, s[0:1]
	s_or_b64 s[4:5], vcc, s[4:5]
	s_waitcnt lgkmcnt(0)
	global_store_dwordx2 v[10:11], v[8:9], off
	s_andn2_b64 exec, exec, s[4:5]
	s_cbranch_execnz .LBB159_32
; %bb.33:                               ;   in Loop: Header=BB159_31 Depth=1
	s_or_b64 exec, exec, s[4:5]
	v_add_u32_e32 v0, s19, v0
	v_cmp_le_i32_e32 vcc, s18, v0
	v_add_u32_e32 v1, s19, v1
	s_or_b64 s[2:3], vcc, s[2:3]
	v_add_u32_e32 v4, s7, v4
	s_andn2_b64 exec, exec, s[2:3]
	s_cbranch_execnz .LBB159_31
.LBB159_34:
	s_endpgm
	.section	.rodata,"a",@progbits
	.p2align	6, 0x0
	.amdhsa_kernel _ZN9rocsolver6v33100L21larft_kernel_backwardI19rocblas_complex_numIfEPS3_EEv15rocblas_storev_iiT0_iilPT_lS8_il
		.amdhsa_group_segment_fixed_size 0
		.amdhsa_private_segment_fixed_size 0
		.amdhsa_kernarg_size 336
		.amdhsa_user_sgpr_count 6
		.amdhsa_user_sgpr_private_segment_buffer 1
		.amdhsa_user_sgpr_dispatch_ptr 0
		.amdhsa_user_sgpr_queue_ptr 0
		.amdhsa_user_sgpr_kernarg_segment_ptr 1
		.amdhsa_user_sgpr_dispatch_id 0
		.amdhsa_user_sgpr_flat_scratch_init 0
		.amdhsa_user_sgpr_kernarg_preload_length 0
		.amdhsa_user_sgpr_kernarg_preload_offset 0
		.amdhsa_user_sgpr_private_segment_size 0
		.amdhsa_uses_dynamic_stack 0
		.amdhsa_system_sgpr_private_segment_wavefront_offset 0
		.amdhsa_system_sgpr_workgroup_id_x 1
		.amdhsa_system_sgpr_workgroup_id_y 1
		.amdhsa_system_sgpr_workgroup_id_z 0
		.amdhsa_system_sgpr_workgroup_info 0
		.amdhsa_system_vgpr_workitem_id 0
		.amdhsa_next_free_vgpr 20
		.amdhsa_next_free_sgpr 56
		.amdhsa_accum_offset 20
		.amdhsa_reserve_vcc 1
		.amdhsa_reserve_flat_scratch 0
		.amdhsa_float_round_mode_32 0
		.amdhsa_float_round_mode_16_64 0
		.amdhsa_float_denorm_mode_32 3
		.amdhsa_float_denorm_mode_16_64 3
		.amdhsa_dx10_clamp 1
		.amdhsa_ieee_mode 1
		.amdhsa_fp16_overflow 0
		.amdhsa_tg_split 0
		.amdhsa_exception_fp_ieee_invalid_op 0
		.amdhsa_exception_fp_denorm_src 0
		.amdhsa_exception_fp_ieee_div_zero 0
		.amdhsa_exception_fp_ieee_overflow 0
		.amdhsa_exception_fp_ieee_underflow 0
		.amdhsa_exception_fp_ieee_inexact 0
		.amdhsa_exception_int_div_zero 0
	.end_amdhsa_kernel
	.section	.text._ZN9rocsolver6v33100L21larft_kernel_backwardI19rocblas_complex_numIfEPS3_EEv15rocblas_storev_iiT0_iilPT_lS8_il,"axG",@progbits,_ZN9rocsolver6v33100L21larft_kernel_backwardI19rocblas_complex_numIfEPS3_EEv15rocblas_storev_iiT0_iilPT_lS8_il,comdat
.Lfunc_end159:
	.size	_ZN9rocsolver6v33100L21larft_kernel_backwardI19rocblas_complex_numIfEPS3_EEv15rocblas_storev_iiT0_iilPT_lS8_il, .Lfunc_end159-_ZN9rocsolver6v33100L21larft_kernel_backwardI19rocblas_complex_numIfEPS3_EEv15rocblas_storev_iiT0_iilPT_lS8_il
                                        ; -- End function
	.section	.AMDGPU.csdata,"",@progbits
; Kernel info:
; codeLenInByte = 1688
; NumSgprs: 60
; NumVgprs: 20
; NumAgprs: 0
; TotalNumVgprs: 20
; ScratchSize: 0
; MemoryBound: 0
; FloatMode: 240
; IeeeMode: 1
; LDSByteSize: 0 bytes/workgroup (compile time only)
; SGPRBlocks: 7
; VGPRBlocks: 2
; NumSGPRsForWavesPerEU: 60
; NumVGPRsForWavesPerEU: 20
; AccumOffset: 20
; Occupancy: 8
; WaveLimiterHint : 0
; COMPUTE_PGM_RSRC2:SCRATCH_EN: 0
; COMPUTE_PGM_RSRC2:USER_SGPR: 6
; COMPUTE_PGM_RSRC2:TRAP_HANDLER: 0
; COMPUTE_PGM_RSRC2:TGID_X_EN: 1
; COMPUTE_PGM_RSRC2:TGID_Y_EN: 1
; COMPUTE_PGM_RSRC2:TGID_Z_EN: 0
; COMPUTE_PGM_RSRC2:TIDIG_COMP_CNT: 0
; COMPUTE_PGM_RSRC3_GFX90A:ACCUM_OFFSET: 4
; COMPUTE_PGM_RSRC3_GFX90A:TG_SPLIT: 0
	.section	.text._ZN9rocsolver6v33100L9copymatA1I19rocblas_complex_numIfEPS3_EEviiT0_iilPT_,"axG",@progbits,_ZN9rocsolver6v33100L9copymatA1I19rocblas_complex_numIfEPS3_EEviiT0_iilPT_,comdat
	.globl	_ZN9rocsolver6v33100L9copymatA1I19rocblas_complex_numIfEPS3_EEviiT0_iilPT_ ; -- Begin function _ZN9rocsolver6v33100L9copymatA1I19rocblas_complex_numIfEPS3_EEviiT0_iilPT_
	.p2align	8
	.type	_ZN9rocsolver6v33100L9copymatA1I19rocblas_complex_numIfEPS3_EEviiT0_iilPT_,@function
_ZN9rocsolver6v33100L9copymatA1I19rocblas_complex_numIfEPS3_EEviiT0_iilPT_: ; @_ZN9rocsolver6v33100L9copymatA1I19rocblas_complex_numIfEPS3_EEviiT0_iilPT_
; %bb.0:
	s_load_dword s0, s[4:5], 0x34
	s_load_dwordx2 s[2:3], s[4:5], 0x0
	v_and_b32_e32 v1, 0x3ff, v0
	v_bfe_u32 v0, v0, 10, 10
	s_waitcnt lgkmcnt(0)
	s_lshr_b32 s1, s0, 16
	s_and_b32 s0, s0, 0xffff
	s_mul_i32 s6, s6, s0
	s_mul_i32 s7, s7, s1
	v_add_u32_e32 v1, s6, v1
	v_add_u32_e32 v0, s7, v0
	v_cmp_gt_u32_e32 vcc, s2, v0
	v_cmp_gt_u32_e64 s[0:1], s3, v1
	s_and_b64 s[0:1], s[0:1], vcc
	s_and_saveexec_b64 s[6:7], s[0:1]
	s_cbranch_execz .LBB160_2
; %bb.1:
	s_ashr_i32 s0, s2, 31
	s_load_dwordx8 s[12:19], s[4:5], 0x8
	s_mul_hi_u32 s4, s2, s8
	s_mul_i32 s0, s0, s8
	s_ashr_i32 s1, s3, 31
	s_add_i32 s0, s4, s0
	s_mul_i32 s4, s2, s8
	s_mul_i32 s1, s4, s1
	s_mul_hi_u32 s5, s4, s3
	s_add_i32 s1, s5, s1
	s_mul_i32 s0, s0, s3
	s_add_i32 s1, s1, s0
	s_mul_i32 s0, s4, s3
	s_lshl_b64 s[0:1], s[0:1], 3
	s_waitcnt lgkmcnt(0)
	s_add_u32 s3, s18, s0
	s_mul_i32 s4, s8, s17
	s_mul_hi_u32 s5, s8, s16
	s_addc_u32 s6, s19, s1
	s_add_i32 s5, s5, s4
	s_mul_i32 s4, s8, s16
	s_ashr_i32 s1, s14, 31
	s_lshl_b64 s[4:5], s[4:5], 3
	s_mov_b32 s0, s14
	s_add_u32 s4, s12, s4
	s_addc_u32 s5, s13, s5
	s_lshl_b64 s[0:1], s[0:1], 3
	s_add_u32 s4, s4, s0
	s_addc_u32 s5, s5, s1
	v_mad_u64_u32 v[2:3], s[0:1], v1, s15, v[0:1]
	v_mov_b32_e32 v3, 0
	v_lshlrev_b64 v[4:5], 3, v[2:3]
	v_mov_b32_e32 v2, s5
	v_add_co_u32_e32 v4, vcc, s4, v4
	v_addc_co_u32_e32 v5, vcc, v2, v5, vcc
	global_load_dwordx2 v[4:5], v[4:5], off
	v_mad_u64_u32 v[0:1], s[0:1], v1, s2, v[0:1]
	v_mov_b32_e32 v1, v3
	v_lshlrev_b64 v[0:1], 3, v[0:1]
	v_mov_b32_e32 v2, s6
	v_add_co_u32_e32 v0, vcc, s3, v0
	v_addc_co_u32_e32 v1, vcc, v2, v1, vcc
	s_waitcnt vmcnt(0)
	global_store_dwordx2 v[0:1], v[4:5], off
.LBB160_2:
	s_endpgm
	.section	.rodata,"a",@progbits
	.p2align	6, 0x0
	.amdhsa_kernel _ZN9rocsolver6v33100L9copymatA1I19rocblas_complex_numIfEPS3_EEviiT0_iilPT_
		.amdhsa_group_segment_fixed_size 0
		.amdhsa_private_segment_fixed_size 0
		.amdhsa_kernarg_size 296
		.amdhsa_user_sgpr_count 6
		.amdhsa_user_sgpr_private_segment_buffer 1
		.amdhsa_user_sgpr_dispatch_ptr 0
		.amdhsa_user_sgpr_queue_ptr 0
		.amdhsa_user_sgpr_kernarg_segment_ptr 1
		.amdhsa_user_sgpr_dispatch_id 0
		.amdhsa_user_sgpr_flat_scratch_init 0
		.amdhsa_user_sgpr_kernarg_preload_length 0
		.amdhsa_user_sgpr_kernarg_preload_offset 0
		.amdhsa_user_sgpr_private_segment_size 0
		.amdhsa_uses_dynamic_stack 0
		.amdhsa_system_sgpr_private_segment_wavefront_offset 0
		.amdhsa_system_sgpr_workgroup_id_x 1
		.amdhsa_system_sgpr_workgroup_id_y 1
		.amdhsa_system_sgpr_workgroup_id_z 1
		.amdhsa_system_sgpr_workgroup_info 0
		.amdhsa_system_vgpr_workitem_id 1
		.amdhsa_next_free_vgpr 6
		.amdhsa_next_free_sgpr 20
		.amdhsa_accum_offset 8
		.amdhsa_reserve_vcc 1
		.amdhsa_reserve_flat_scratch 0
		.amdhsa_float_round_mode_32 0
		.amdhsa_float_round_mode_16_64 0
		.amdhsa_float_denorm_mode_32 3
		.amdhsa_float_denorm_mode_16_64 3
		.amdhsa_dx10_clamp 1
		.amdhsa_ieee_mode 1
		.amdhsa_fp16_overflow 0
		.amdhsa_tg_split 0
		.amdhsa_exception_fp_ieee_invalid_op 0
		.amdhsa_exception_fp_denorm_src 0
		.amdhsa_exception_fp_ieee_div_zero 0
		.amdhsa_exception_fp_ieee_overflow 0
		.amdhsa_exception_fp_ieee_underflow 0
		.amdhsa_exception_fp_ieee_inexact 0
		.amdhsa_exception_int_div_zero 0
	.end_amdhsa_kernel
	.section	.text._ZN9rocsolver6v33100L9copymatA1I19rocblas_complex_numIfEPS3_EEviiT0_iilPT_,"axG",@progbits,_ZN9rocsolver6v33100L9copymatA1I19rocblas_complex_numIfEPS3_EEviiT0_iilPT_,comdat
.Lfunc_end160:
	.size	_ZN9rocsolver6v33100L9copymatA1I19rocblas_complex_numIfEPS3_EEviiT0_iilPT_, .Lfunc_end160-_ZN9rocsolver6v33100L9copymatA1I19rocblas_complex_numIfEPS3_EEviiT0_iilPT_
                                        ; -- End function
	.section	.AMDGPU.csdata,"",@progbits
; Kernel info:
; codeLenInByte = 296
; NumSgprs: 24
; NumVgprs: 6
; NumAgprs: 0
; TotalNumVgprs: 6
; ScratchSize: 0
; MemoryBound: 0
; FloatMode: 240
; IeeeMode: 1
; LDSByteSize: 0 bytes/workgroup (compile time only)
; SGPRBlocks: 2
; VGPRBlocks: 0
; NumSGPRsForWavesPerEU: 24
; NumVGPRsForWavesPerEU: 6
; AccumOffset: 8
; Occupancy: 8
; WaveLimiterHint : 0
; COMPUTE_PGM_RSRC2:SCRATCH_EN: 0
; COMPUTE_PGM_RSRC2:USER_SGPR: 6
; COMPUTE_PGM_RSRC2:TRAP_HANDLER: 0
; COMPUTE_PGM_RSRC2:TGID_X_EN: 1
; COMPUTE_PGM_RSRC2:TGID_Y_EN: 1
; COMPUTE_PGM_RSRC2:TGID_Z_EN: 1
; COMPUTE_PGM_RSRC2:TIDIG_COMP_CNT: 1
; COMPUTE_PGM_RSRC3_GFX90A:ACCUM_OFFSET: 1
; COMPUTE_PGM_RSRC3_GFX90A:TG_SPLIT: 0
	.section	.text._ZN9rocsolver6v33100L8addmatA1I19rocblas_complex_numIfEPS3_EEviiT0_iilPT_,"axG",@progbits,_ZN9rocsolver6v33100L8addmatA1I19rocblas_complex_numIfEPS3_EEviiT0_iilPT_,comdat
	.globl	_ZN9rocsolver6v33100L8addmatA1I19rocblas_complex_numIfEPS3_EEviiT0_iilPT_ ; -- Begin function _ZN9rocsolver6v33100L8addmatA1I19rocblas_complex_numIfEPS3_EEviiT0_iilPT_
	.p2align	8
	.type	_ZN9rocsolver6v33100L8addmatA1I19rocblas_complex_numIfEPS3_EEviiT0_iilPT_,@function
_ZN9rocsolver6v33100L8addmatA1I19rocblas_complex_numIfEPS3_EEviiT0_iilPT_: ; @_ZN9rocsolver6v33100L8addmatA1I19rocblas_complex_numIfEPS3_EEviiT0_iilPT_
; %bb.0:
	s_load_dword s0, s[4:5], 0x34
	s_load_dwordx2 s[10:11], s[4:5], 0x0
	v_and_b32_e32 v1, 0x3ff, v0
	v_bfe_u32 v0, v0, 10, 10
	s_waitcnt lgkmcnt(0)
	s_lshr_b32 s1, s0, 16
	s_and_b32 s0, s0, 0xffff
	s_mul_i32 s6, s6, s0
	s_mul_i32 s7, s7, s1
	v_add_u32_e32 v1, s6, v1
	v_add_u32_e32 v0, s7, v0
	v_cmp_gt_u32_e32 vcc, s10, v0
	v_cmp_gt_u32_e64 s[0:1], s11, v1
	s_and_b64 s[0:1], s[0:1], vcc
	s_and_saveexec_b64 s[2:3], s[0:1]
	s_cbranch_execz .LBB161_2
; %bb.1:
	s_ashr_i32 s9, s10, 31
	s_load_dwordx8 s[0:7], s[4:5], 0x8
	s_ashr_i32 s12, s11, 31
	s_mul_hi_u32 s13, s10, s8
	s_mul_i32 s9, s9, s8
	s_mul_i32 s14, s10, s8
	s_add_i32 s9, s13, s9
	s_mul_i32 s12, s14, s12
	s_mul_hi_u32 s13, s14, s11
	s_add_i32 s12, s13, s12
	s_mul_i32 s9, s9, s11
	s_add_i32 s13, s12, s9
	s_mul_i32 s12, s14, s11
	s_lshl_b64 s[12:13], s[12:13], 3
	s_waitcnt lgkmcnt(0)
	s_add_u32 s9, s6, s12
	s_addc_u32 s11, s7, s13
	s_ashr_i32 s7, s2, 31
	s_mov_b32 s6, s2
	s_mul_i32 s2, s8, s5
	s_mul_hi_u32 s5, s8, s4
	s_add_i32 s5, s5, s2
	s_mul_i32 s4, s8, s4
	s_lshl_b64 s[4:5], s[4:5], 3
	s_add_u32 s2, s0, s4
	s_addc_u32 s4, s1, s5
	s_lshl_b64 s[0:1], s[6:7], 3
	s_add_u32 s2, s2, s0
	s_addc_u32 s4, s4, s1
	v_mad_u64_u32 v[2:3], s[0:1], v1, s10, v[0:1]
	v_mov_b32_e32 v3, 0
	v_lshlrev_b64 v[4:5], 3, v[2:3]
	v_mad_u64_u32 v[0:1], s[0:1], v1, s3, v[0:1]
	v_mov_b32_e32 v2, s11
	v_add_co_u32_e32 v4, vcc, s9, v4
	v_mov_b32_e32 v1, v3
	v_addc_co_u32_e32 v5, vcc, v2, v5, vcc
	v_lshlrev_b64 v[0:1], 3, v[0:1]
	v_mov_b32_e32 v2, s4
	v_add_co_u32_e32 v0, vcc, s2, v0
	v_addc_co_u32_e32 v1, vcc, v2, v1, vcc
	global_load_dwordx2 v[2:3], v[4:5], off
	global_load_dwordx2 v[6:7], v[0:1], off
	s_waitcnt vmcnt(0)
	v_pk_add_f32 v[2:3], v[6:7], v[2:3] neg_lo:[0,1] neg_hi:[0,1]
	global_store_dwordx2 v[0:1], v[2:3], off
.LBB161_2:
	s_endpgm
	.section	.rodata,"a",@progbits
	.p2align	6, 0x0
	.amdhsa_kernel _ZN9rocsolver6v33100L8addmatA1I19rocblas_complex_numIfEPS3_EEviiT0_iilPT_
		.amdhsa_group_segment_fixed_size 0
		.amdhsa_private_segment_fixed_size 0
		.amdhsa_kernarg_size 296
		.amdhsa_user_sgpr_count 6
		.amdhsa_user_sgpr_private_segment_buffer 1
		.amdhsa_user_sgpr_dispatch_ptr 0
		.amdhsa_user_sgpr_queue_ptr 0
		.amdhsa_user_sgpr_kernarg_segment_ptr 1
		.amdhsa_user_sgpr_dispatch_id 0
		.amdhsa_user_sgpr_flat_scratch_init 0
		.amdhsa_user_sgpr_kernarg_preload_length 0
		.amdhsa_user_sgpr_kernarg_preload_offset 0
		.amdhsa_user_sgpr_private_segment_size 0
		.amdhsa_uses_dynamic_stack 0
		.amdhsa_system_sgpr_private_segment_wavefront_offset 0
		.amdhsa_system_sgpr_workgroup_id_x 1
		.amdhsa_system_sgpr_workgroup_id_y 1
		.amdhsa_system_sgpr_workgroup_id_z 1
		.amdhsa_system_sgpr_workgroup_info 0
		.amdhsa_system_vgpr_workitem_id 1
		.amdhsa_next_free_vgpr 8
		.amdhsa_next_free_sgpr 15
		.amdhsa_accum_offset 8
		.amdhsa_reserve_vcc 1
		.amdhsa_reserve_flat_scratch 0
		.amdhsa_float_round_mode_32 0
		.amdhsa_float_round_mode_16_64 0
		.amdhsa_float_denorm_mode_32 3
		.amdhsa_float_denorm_mode_16_64 3
		.amdhsa_dx10_clamp 1
		.amdhsa_ieee_mode 1
		.amdhsa_fp16_overflow 0
		.amdhsa_tg_split 0
		.amdhsa_exception_fp_ieee_invalid_op 0
		.amdhsa_exception_fp_denorm_src 0
		.amdhsa_exception_fp_ieee_div_zero 0
		.amdhsa_exception_fp_ieee_overflow 0
		.amdhsa_exception_fp_ieee_underflow 0
		.amdhsa_exception_fp_ieee_inexact 0
		.amdhsa_exception_int_div_zero 0
	.end_amdhsa_kernel
	.section	.text._ZN9rocsolver6v33100L8addmatA1I19rocblas_complex_numIfEPS3_EEviiT0_iilPT_,"axG",@progbits,_ZN9rocsolver6v33100L8addmatA1I19rocblas_complex_numIfEPS3_EEviiT0_iilPT_,comdat
.Lfunc_end161:
	.size	_ZN9rocsolver6v33100L8addmatA1I19rocblas_complex_numIfEPS3_EEviiT0_iilPT_, .Lfunc_end161-_ZN9rocsolver6v33100L8addmatA1I19rocblas_complex_numIfEPS3_EEviiT0_iilPT_
                                        ; -- End function
	.section	.AMDGPU.csdata,"",@progbits
; Kernel info:
; codeLenInByte = 312
; NumSgprs: 19
; NumVgprs: 8
; NumAgprs: 0
; TotalNumVgprs: 8
; ScratchSize: 0
; MemoryBound: 0
; FloatMode: 240
; IeeeMode: 1
; LDSByteSize: 0 bytes/workgroup (compile time only)
; SGPRBlocks: 2
; VGPRBlocks: 0
; NumSGPRsForWavesPerEU: 19
; NumVGPRsForWavesPerEU: 8
; AccumOffset: 8
; Occupancy: 8
; WaveLimiterHint : 0
; COMPUTE_PGM_RSRC2:SCRATCH_EN: 0
; COMPUTE_PGM_RSRC2:USER_SGPR: 6
; COMPUTE_PGM_RSRC2:TRAP_HANDLER: 0
; COMPUTE_PGM_RSRC2:TGID_X_EN: 1
; COMPUTE_PGM_RSRC2:TGID_Y_EN: 1
; COMPUTE_PGM_RSRC2:TGID_Z_EN: 1
; COMPUTE_PGM_RSRC2:TIDIG_COMP_CNT: 1
; COMPUTE_PGM_RSRC3_GFX90A:ACCUM_OFFSET: 1
; COMPUTE_PGM_RSRC3_GFX90A:TG_SPLIT: 0
	.section	.text._ZN9rocsolver6v33100L8copy_matI19rocblas_complex_numIfEPS3_S4_NS0_7no_maskEEEviiT0_iilT1_iilT2_13rocblas_fill_17rocblas_diagonal_,"axG",@progbits,_ZN9rocsolver6v33100L8copy_matI19rocblas_complex_numIfEPS3_S4_NS0_7no_maskEEEviiT0_iilT1_iilT2_13rocblas_fill_17rocblas_diagonal_,comdat
	.globl	_ZN9rocsolver6v33100L8copy_matI19rocblas_complex_numIfEPS3_S4_NS0_7no_maskEEEviiT0_iilT1_iilT2_13rocblas_fill_17rocblas_diagonal_ ; -- Begin function _ZN9rocsolver6v33100L8copy_matI19rocblas_complex_numIfEPS3_S4_NS0_7no_maskEEEviiT0_iilT1_iilT2_13rocblas_fill_17rocblas_diagonal_
	.p2align	8
	.type	_ZN9rocsolver6v33100L8copy_matI19rocblas_complex_numIfEPS3_S4_NS0_7no_maskEEEviiT0_iilT1_iilT2_13rocblas_fill_17rocblas_diagonal_,@function
_ZN9rocsolver6v33100L8copy_matI19rocblas_complex_numIfEPS3_S4_NS0_7no_maskEEEviiT0_iilT1_iilT2_13rocblas_fill_17rocblas_diagonal_: ; @_ZN9rocsolver6v33100L8copy_matI19rocblas_complex_numIfEPS3_S4_NS0_7no_maskEEEviiT0_iilT1_iilT2_13rocblas_fill_17rocblas_diagonal_
; %bb.0:
	s_load_dword s2, s[4:5], 0x54
	s_load_dwordx2 s[0:1], s[4:5], 0x0
	v_bfe_u32 v1, v0, 10, 10
	v_and_b32_e32 v0, 0x3ff, v0
	s_waitcnt lgkmcnt(0)
	s_lshr_b32 s3, s2, 16
	s_and_b32 s2, s2, 0xffff
	s_mul_i32 s7, s7, s3
	s_mul_i32 s6, s6, s2
	v_add_u32_e32 v1, s7, v1
	v_add_u32_e32 v0, s6, v0
	v_cmp_gt_u32_e32 vcc, s0, v0
	v_cmp_gt_u32_e64 s[0:1], s1, v1
	s_and_b64 s[0:1], s[0:1], vcc
	s_and_saveexec_b64 s[2:3], s[0:1]
	s_cbranch_execz .LBB162_14
; %bb.1:
	s_load_dwordx2 s[2:3], s[4:5], 0x3c
	s_waitcnt lgkmcnt(0)
	s_cmpk_lt_i32 s2, 0x7a
	s_cbranch_scc1 .LBB162_4
; %bb.2:
	s_cmpk_gt_i32 s2, 0x7a
	s_cbranch_scc0 .LBB162_5
; %bb.3:
	s_cmpk_lg_i32 s2, 0x7b
	s_mov_b64 s[6:7], -1
	s_cselect_b64 s[10:11], -1, 0
	s_cbranch_execz .LBB162_6
	s_branch .LBB162_7
.LBB162_4:
	s_mov_b64 s[10:11], 0
	s_mov_b64 s[6:7], 0
	s_cbranch_execnz .LBB162_8
	s_branch .LBB162_10
.LBB162_5:
	s_mov_b64 s[6:7], 0
	s_mov_b64 s[10:11], 0
.LBB162_6:
	v_cmp_gt_u32_e32 vcc, v0, v1
	v_cmp_le_u32_e64 s[0:1], v0, v1
	s_andn2_b64 s[6:7], s[6:7], exec
	s_and_b64 s[12:13], vcc, exec
	s_andn2_b64 s[10:11], s[10:11], exec
	s_and_b64 s[0:1], s[0:1], exec
	s_or_b64 s[6:7], s[6:7], s[12:13]
	s_or_b64 s[10:11], s[10:11], s[0:1]
.LBB162_7:
	s_branch .LBB162_10
.LBB162_8:
	s_cmpk_eq_i32 s2, 0x79
	s_mov_b64 s[10:11], -1
	s_cbranch_scc0 .LBB162_10
; %bb.9:
	v_cmp_gt_u32_e32 vcc, v1, v0
	v_cmp_le_u32_e64 s[0:1], v1, v0
	s_andn2_b64 s[6:7], s[6:7], exec
	s_and_b64 s[10:11], vcc, exec
	s_or_b64 s[6:7], s[6:7], s[10:11]
	s_orn2_b64 s[10:11], s[0:1], exec
.LBB162_10:
	s_and_saveexec_b64 s[0:1], s[10:11]
; %bb.11:
	s_cmpk_eq_i32 s3, 0x83
	s_cselect_b64 s[2:3], -1, 0
	v_cmp_eq_u32_e32 vcc, v0, v1
	s_and_b64 s[2:3], s[2:3], vcc
	s_andn2_b64 s[6:7], s[6:7], exec
	s_and_b64 s[2:3], s[2:3], exec
	s_or_b64 s[6:7], s[6:7], s[2:3]
; %bb.12:
	s_or_b64 exec, exec, s[0:1]
	s_and_b64 exec, exec, s[6:7]
	s_cbranch_execz .LBB162_14
; %bb.13:
	s_load_dwordx8 s[12:19], s[4:5], 0x8
	s_waitcnt lgkmcnt(0)
	s_mul_i32 s3, s8, s17
	s_mul_hi_u32 s6, s8, s16
	s_mul_i32 s2, s8, s16
	s_add_i32 s3, s6, s3
	s_ashr_i32 s1, s14, 31
	s_lshl_b64 s[2:3], s[2:3], 3
	s_mov_b32 s0, s14
	s_add_u32 s2, s12, s2
	s_addc_u32 s3, s13, s3
	s_lshl_b64 s[0:1], s[0:1], 3
	s_add_u32 s2, s2, s0
	s_addc_u32 s3, s3, s1
	v_mad_u64_u32 v[2:3], s[0:1], v1, s15, v[0:1]
	v_mov_b32_e32 v3, 0
	v_lshlrev_b64 v[4:5], 3, v[2:3]
	v_mov_b32_e32 v2, s3
	v_add_co_u32_e32 v4, vcc, s2, v4
	v_addc_co_u32_e32 v5, vcc, v2, v5, vcc
	global_load_dwordx2 v[4:5], v[4:5], off
	s_load_dwordx4 s[0:3], s[4:5], 0x28
	s_waitcnt lgkmcnt(0)
	s_ashr_i32 s5, s0, 31
	s_mov_b32 s4, s0
	s_mul_i32 s0, s8, s3
	s_mul_hi_u32 s3, s8, s2
	s_add_i32 s3, s3, s0
	s_mul_i32 s2, s8, s2
	s_lshl_b64 s[2:3], s[2:3], 3
	s_add_u32 s0, s18, s2
	s_addc_u32 s6, s19, s3
	s_lshl_b64 s[2:3], s[4:5], 3
	s_add_u32 s2, s0, s2
	v_mad_u64_u32 v[0:1], s[0:1], v1, s1, v[0:1]
	v_mov_b32_e32 v1, v3
	s_addc_u32 s3, s6, s3
	v_lshlrev_b64 v[0:1], 3, v[0:1]
	v_mov_b32_e32 v2, s3
	v_add_co_u32_e32 v0, vcc, s2, v0
	v_addc_co_u32_e32 v1, vcc, v2, v1, vcc
	s_waitcnt vmcnt(0)
	global_store_dwordx2 v[0:1], v[4:5], off
.LBB162_14:
	s_endpgm
	.section	.rodata,"a",@progbits
	.p2align	6, 0x0
	.amdhsa_kernel _ZN9rocsolver6v33100L8copy_matI19rocblas_complex_numIfEPS3_S4_NS0_7no_maskEEEviiT0_iilT1_iilT2_13rocblas_fill_17rocblas_diagonal_
		.amdhsa_group_segment_fixed_size 0
		.amdhsa_private_segment_fixed_size 0
		.amdhsa_kernarg_size 328
		.amdhsa_user_sgpr_count 6
		.amdhsa_user_sgpr_private_segment_buffer 1
		.amdhsa_user_sgpr_dispatch_ptr 0
		.amdhsa_user_sgpr_queue_ptr 0
		.amdhsa_user_sgpr_kernarg_segment_ptr 1
		.amdhsa_user_sgpr_dispatch_id 0
		.amdhsa_user_sgpr_flat_scratch_init 0
		.amdhsa_user_sgpr_kernarg_preload_length 0
		.amdhsa_user_sgpr_kernarg_preload_offset 0
		.amdhsa_user_sgpr_private_segment_size 0
		.amdhsa_uses_dynamic_stack 0
		.amdhsa_system_sgpr_private_segment_wavefront_offset 0
		.amdhsa_system_sgpr_workgroup_id_x 1
		.amdhsa_system_sgpr_workgroup_id_y 1
		.amdhsa_system_sgpr_workgroup_id_z 1
		.amdhsa_system_sgpr_workgroup_info 0
		.amdhsa_system_vgpr_workitem_id 1
		.amdhsa_next_free_vgpr 6
		.amdhsa_next_free_sgpr 20
		.amdhsa_accum_offset 8
		.amdhsa_reserve_vcc 1
		.amdhsa_reserve_flat_scratch 0
		.amdhsa_float_round_mode_32 0
		.amdhsa_float_round_mode_16_64 0
		.amdhsa_float_denorm_mode_32 3
		.amdhsa_float_denorm_mode_16_64 3
		.amdhsa_dx10_clamp 1
		.amdhsa_ieee_mode 1
		.amdhsa_fp16_overflow 0
		.amdhsa_tg_split 0
		.amdhsa_exception_fp_ieee_invalid_op 0
		.amdhsa_exception_fp_denorm_src 0
		.amdhsa_exception_fp_ieee_div_zero 0
		.amdhsa_exception_fp_ieee_overflow 0
		.amdhsa_exception_fp_ieee_underflow 0
		.amdhsa_exception_fp_ieee_inexact 0
		.amdhsa_exception_int_div_zero 0
	.end_amdhsa_kernel
	.section	.text._ZN9rocsolver6v33100L8copy_matI19rocblas_complex_numIfEPS3_S4_NS0_7no_maskEEEviiT0_iilT1_iilT2_13rocblas_fill_17rocblas_diagonal_,"axG",@progbits,_ZN9rocsolver6v33100L8copy_matI19rocblas_complex_numIfEPS3_S4_NS0_7no_maskEEEviiT0_iilT1_iilT2_13rocblas_fill_17rocblas_diagonal_,comdat
.Lfunc_end162:
	.size	_ZN9rocsolver6v33100L8copy_matI19rocblas_complex_numIfEPS3_S4_NS0_7no_maskEEEviiT0_iilT1_iilT2_13rocblas_fill_17rocblas_diagonal_, .Lfunc_end162-_ZN9rocsolver6v33100L8copy_matI19rocblas_complex_numIfEPS3_S4_NS0_7no_maskEEEviiT0_iilT1_iilT2_13rocblas_fill_17rocblas_diagonal_
                                        ; -- End function
	.section	.AMDGPU.csdata,"",@progbits
; Kernel info:
; codeLenInByte = 492
; NumSgprs: 24
; NumVgprs: 6
; NumAgprs: 0
; TotalNumVgprs: 6
; ScratchSize: 0
; MemoryBound: 0
; FloatMode: 240
; IeeeMode: 1
; LDSByteSize: 0 bytes/workgroup (compile time only)
; SGPRBlocks: 2
; VGPRBlocks: 0
; NumSGPRsForWavesPerEU: 24
; NumVGPRsForWavesPerEU: 6
; AccumOffset: 8
; Occupancy: 8
; WaveLimiterHint : 0
; COMPUTE_PGM_RSRC2:SCRATCH_EN: 0
; COMPUTE_PGM_RSRC2:USER_SGPR: 6
; COMPUTE_PGM_RSRC2:TRAP_HANDLER: 0
; COMPUTE_PGM_RSRC2:TGID_X_EN: 1
; COMPUTE_PGM_RSRC2:TGID_Y_EN: 1
; COMPUTE_PGM_RSRC2:TGID_Z_EN: 1
; COMPUTE_PGM_RSRC2:TIDIG_COMP_CNT: 1
; COMPUTE_PGM_RSRC3_GFX90A:ACCUM_OFFSET: 1
; COMPUTE_PGM_RSRC3_GFX90A:TG_SPLIT: 0
	.section	.text._ZN9rocsolver6v33100L18geqr2_kernel_smallILi256E19rocblas_complex_numIfEifPS3_EEvT1_S5_T3_lS5_lPT2_lPT0_l,"axG",@progbits,_ZN9rocsolver6v33100L18geqr2_kernel_smallILi256E19rocblas_complex_numIfEifPS3_EEvT1_S5_T3_lS5_lPT2_lPT0_l,comdat
	.globl	_ZN9rocsolver6v33100L18geqr2_kernel_smallILi256E19rocblas_complex_numIfEifPS3_EEvT1_S5_T3_lS5_lPT2_lPT0_l ; -- Begin function _ZN9rocsolver6v33100L18geqr2_kernel_smallILi256E19rocblas_complex_numIfEifPS3_EEvT1_S5_T3_lS5_lPT2_lPT0_l
	.p2align	8
	.type	_ZN9rocsolver6v33100L18geqr2_kernel_smallILi256E19rocblas_complex_numIfEifPS3_EEvT1_S5_T3_lS5_lPT2_lPT0_l,@function
_ZN9rocsolver6v33100L18geqr2_kernel_smallILi256E19rocblas_complex_numIfEifPS3_EEvT1_S5_T3_lS5_lPT2_lPT0_l: ; @_ZN9rocsolver6v33100L18geqr2_kernel_smallILi256E19rocblas_complex_numIfEifPS3_EEvT1_S5_T3_lS5_lPT2_lPT0_l
; %bb.0:
	s_load_dwordx8 s[8:15], s[4:5], 0x20
	s_load_dwordx2 s[16:17], s[4:5], 0x0
	s_load_dwordx4 s[0:3], s[4:5], 0x8
	s_load_dword s28, s[4:5], 0x18
	s_load_dwordx2 s[18:19], s[4:5], 0x40
	s_ashr_i32 s6, s7, 31
	s_waitcnt lgkmcnt(0)
	s_mul_i32 s4, s7, s9
	s_mul_hi_u32 s5, s7, s8
	s_add_i32 s4, s5, s4
	s_mul_i32 s5, s6, s8
	s_add_i32 s5, s4, s5
	s_mul_i32 s4, s7, s8
	s_lshl_b64 s[4:5], s[4:5], 3
	s_add_u32 s4, s0, s4
	s_addc_u32 s5, s1, s5
	s_lshl_b64 s[0:1], s[2:3], 3
	s_add_u32 s26, s4, s0
	v_and_b32_e32 v2, 0x7f, v0
	s_addc_u32 s27, s5, s1
	v_cmp_gt_i32_e64 s[0:1], s16, v2
	v_lshrrev_b32_e32 v3, 7, v0
	v_lshlrev_b32_e32 v10, 3, v2
	s_and_saveexec_b64 s[4:5], s[0:1]
	s_cbranch_execz .LBB163_6
; %bb.1:
	v_lshrrev_b32_e32 v1, 7, v0
	v_mul_lo_u32 v4, s16, v1
	v_lshlrev_b32_e32 v4, 3, v4
	v_add3_u32 v8, v4, v10, 0
	v_mad_u64_u32 v[4:5], s[2:3], s28, v1, v[2:3]
	v_cmp_gt_i32_e32 vcc, s17, v1
	s_lshl_b32 s24, s16, 4
	s_lshl_b32 s25, s28, 1
	s_mov_b64 s[8:9], 0
	v_mov_b32_e32 v5, v2
	s_branch .LBB163_3
.LBB163_2:                              ;   in Loop: Header=BB163_3 Depth=1
	s_or_b64 exec, exec, s[20:21]
	v_add_u32_e32 v5, 0x80, v5
	v_cmp_le_i32_e64 s[2:3], s16, v5
	v_add_u32_e32 v8, 0x400, v8
	s_or_b64 s[8:9], s[2:3], s[8:9]
	v_add_u32_e32 v4, 0x80, v4
	s_andn2_b64 exec, exec, s[8:9]
	s_cbranch_execz .LBB163_6
.LBB163_3:                              ; =>This Loop Header: Depth=1
                                        ;     Child Loop BB163_5 Depth 2
	s_and_saveexec_b64 s[20:21], vcc
	s_cbranch_execz .LBB163_2
; %bb.4:                                ;   in Loop: Header=BB163_3 Depth=1
	s_mov_b64 s[22:23], 0
	v_mov_b32_e32 v6, v4
	v_mov_b32_e32 v9, v8
	;; [unrolled: 1-line block ×3, first 2 shown]
.LBB163_5:                              ;   Parent Loop BB163_3 Depth=1
                                        ; =>  This Inner Loop Header: Depth=2
	v_ashrrev_i32_e32 v7, 31, v6
	v_lshlrev_b64 v[12:13], 3, v[6:7]
	v_mov_b32_e32 v14, s27
	v_add_co_u32_e64 v12, s[2:3], s26, v12
	v_addc_co_u32_e64 v13, s[2:3], v14, v13, s[2:3]
	global_load_dwordx2 v[12:13], v[12:13], off
	v_add_u32_e32 v11, 2, v11
	v_cmp_le_i32_e64 s[2:3], s17, v11
	v_add_u32_e32 v6, s25, v6
	s_or_b64 s[22:23], s[2:3], s[22:23]
	s_waitcnt vmcnt(0)
	ds_write_b64 v9, v[12:13]
	v_add_u32_e32 v9, s24, v9
	s_andn2_b64 exec, exec, s[22:23]
	s_cbranch_execnz .LBB163_5
	s_branch .LBB163_2
.LBB163_6:
	s_or_b64 exec, exec, s[4:5]
	s_min_i32 s29, s17, s16
	s_cmp_lt_i32 s29, 1
	s_waitcnt lgkmcnt(0)
	s_barrier
	s_cbranch_scc1 .LBB163_44
; %bb.7:
	v_mbcnt_lo_u32_b32 v1, -1, 0
	s_mul_i32 s2, s7, s13
	s_mul_hi_u32 s3, s7, s12
	v_mbcnt_hi_u32_b32 v5, -1, v1
	s_add_i32 s2, s3, s2
	s_mul_i32 s3, s6, s12
	v_and_b32_e32 v6, 63, v5
	s_add_i32 s3, s2, s3
	s_mul_i32 s2, s7, s12
	v_cmp_ne_u32_e32 vcc, 63, v6
	s_lshl_b64 s[2:3], s[2:3], 2
	v_addc_co_u32_e32 v1, vcc, 0, v5, vcc
	s_add_u32 s30, s10, s2
	v_cmp_gt_u32_e32 vcc, 62, v6
	s_addc_u32 s31, s11, s3
	s_mul_i32 s2, s7, s19
	s_mul_hi_u32 s3, s7, s18
	v_cndmask_b32_e64 v7, 0, 1, vcc
	s_add_i32 s2, s3, s2
	s_mul_i32 s3, s6, s18
	v_lshlrev_b32_e32 v7, 1, v7
	v_cmp_gt_u32_e32 vcc, 60, v6
	s_add_i32 s3, s2, s3
	s_mul_i32 s2, s7, s18
	v_add_lshl_u32 v11, v7, v5, 2
	v_cndmask_b32_e64 v7, 0, 1, vcc
	s_lshl_b64 s[2:3], s[2:3], 3
	v_lshlrev_b32_e32 v7, 2, v7
	v_cmp_gt_u32_e32 vcc, 56, v6
	s_add_u32 s33, s14, s2
	s_mul_i32 s2, s17, s16
	v_add_lshl_u32 v12, v7, v5, 2
	v_cndmask_b32_e64 v7, 0, 1, vcc
	s_addc_u32 s34, s15, s3
	s_lshl_b32 s2, s2, 3
	v_lshlrev_b32_e32 v7, 3, v7
	v_cmp_gt_u32_e32 vcc, 48, v6
	s_add_i32 s35, s2, 0
	s_lshl_b32 s2, s17, 3
	v_add_lshl_u32 v13, v7, v5, 2
	v_cndmask_b32_e64 v7, 0, 1, vcc
	v_cmp_gt_u32_e32 vcc, 32, v6
	s_add_i32 s36, s35, s2
	v_cndmask_b32_e64 v6, 0, 1, vcc
	v_lshlrev_b32_e32 v7, 4, v7
	v_lshlrev_b32_e32 v6, 5, v6
	s_cmp_lg_u64 s[10:11], 0
	v_add_lshl_u32 v14, v7, v5, 2
	v_add_lshl_u32 v15, v6, v5, 2
	v_and_b32_e32 v5, 63, v0
	s_cselect_b64 s[10:11], -1, 0
	s_lshl_b32 s37, s16, 3
	v_mul_lo_u32 v7, s16, v0
	s_mov_b32 s13, 0
	v_cmp_eq_u32_e64 s[2:3], 0, v5
	v_lshrrev_b32_e32 v5, 3, v0
	v_lshlrev_b32_e32 v6, 3, v0
	v_add_u32_e32 v7, s16, v7
	s_add_i32 s6, s37, 0
	v_mov_b32_e32 v4, 0
	v_lshlrev_b32_e32 v1, 2, v1
	v_cmp_eq_u32_e64 s[4:5], 0, v0
	v_add3_u32 v16, v6, 0, 8
	s_add_i32 s38, s37, 8
	v_lshl_add_u32 v17, v7, 3, 0
	s_lshl_b32 s39, s16, 11
	v_add_u32_e32 v18, s6, v6
	v_add_u32_e32 v19, s36, v5
	v_mov_b32_e32 v20, 1.0
	s_mov_b32 s40, 0xf800000
	v_mov_b32_e32 v21, 0x260
	s_mov_b32 s41, 0
	s_mov_b32 s12, s13
	s_branch .LBB163_9
.LBB163_8:                              ;   in Loop: Header=BB163_9 Depth=1
	s_or_b64 exec, exec, s[6:7]
	s_add_i32 s12, s12, 1
	s_add_i32 s41, s41, s38
	v_add_u32_e32 v16, s38, v16
	v_add_u32_e32 v17, s38, v17
	s_cmp_eq_u32 s12, s29
	v_add_u32_e32 v18, s38, v18
	s_waitcnt lgkmcnt(0)
	s_barrier
	s_cbranch_scc1 .LBB163_44
.LBB163_9:                              ; =>This Loop Header: Depth=1
                                        ;     Child Loop BB163_11 Depth 2
                                        ;     Child Loop BB163_30 Depth 2
                                        ;     Child Loop BB163_34 Depth 2
                                        ;       Child Loop BB163_36 Depth 3
                                        ;     Child Loop BB163_40 Depth 2
                                        ;       Child Loop BB163_42 Depth 3
	s_sub_i32 s42, s16, s12
	s_add_i32 s44, s42, -1
	v_cmp_gt_i32_e64 s[6:7], s44, v0
	v_mov_b32_e32 v5, 0
	v_mov_b32_e32 v6, 0
	s_and_saveexec_b64 s[8:9], s[6:7]
	s_cbranch_execz .LBB163_13
; %bb.10:                               ;   in Loop: Header=BB163_9 Depth=1
	s_mov_b64 s[14:15], 0
	v_mov_b32_e32 v5, 0
	v_mov_b32_e32 v7, v16
	;; [unrolled: 1-line block ×4, first 2 shown]
.LBB163_11:                             ;   Parent Loop BB163_9 Depth=1
                                        ; =>  This Inner Loop Header: Depth=2
	ds_read_b64 v[22:23], v7
	v_add_u32_e32 v8, 0x100, v8
	v_cmp_le_i32_e32 vcc, s44, v8
	v_add_u32_e32 v7, 0x800, v7
	s_or_b64 s[14:15], vcc, s[14:15]
	s_waitcnt lgkmcnt(0)
	v_mul_f32_e32 v9, v23, v23
	v_mul_f32_e32 v24, v23, v22
	v_fmac_f32_e32 v9, v22, v22
	v_fma_f32 v22, v22, v23, -v24
	v_add_f32_e32 v6, v6, v9
	v_add_f32_e32 v5, v5, v22
	s_andn2_b64 exec, exec, s[14:15]
	s_cbranch_execnz .LBB163_11
; %bb.12:                               ;   in Loop: Header=BB163_9 Depth=1
	s_or_b64 exec, exec, s[14:15]
.LBB163_13:                             ;   in Loop: Header=BB163_9 Depth=1
	s_or_b64 exec, exec, s[8:9]
	ds_bpermute_b32 v7, v1, v6
	ds_bpermute_b32 v8, v1, v5
	s_waitcnt lgkmcnt(1)
	v_add_f32_e32 v6, v6, v7
	s_waitcnt lgkmcnt(0)
	v_add_f32_e32 v5, v5, v8
	ds_bpermute_b32 v7, v11, v6
	ds_bpermute_b32 v8, v11, v5
	s_waitcnt lgkmcnt(1)
	v_add_f32_e32 v6, v6, v7
	s_waitcnt lgkmcnt(0)
	v_add_f32_e32 v5, v5, v8
	;; [unrolled: 6-line block ×5, first 2 shown]
	ds_bpermute_b32 v8, v15, v6
	ds_bpermute_b32 v7, v15, v5
	s_waitcnt lgkmcnt(1)
	v_add_f32_e32 v6, v6, v8
	s_and_saveexec_b64 s[8:9], s[2:3]
	s_cbranch_execz .LBB163_15
; %bb.14:                               ;   in Loop: Header=BB163_9 Depth=1
	s_waitcnt lgkmcnt(0)
	v_add_f32_e32 v5, v5, v7
	ds_write2_b32 v19, v6, v5 offset0:2 offset1:3
.LBB163_15:                             ;   in Loop: Header=BB163_9 Depth=1
	s_or_b64 exec, exec, s[8:9]
	s_lshl_b32 s8, s12, 3
	s_add_i32 s43, s8, 0
	s_mul_i32 s8, s12, s16
	s_lshl_b32 s8, s8, 3
	s_add_i32 s43, s43, s8
	s_waitcnt lgkmcnt(0)
	s_barrier
	s_and_saveexec_b64 s[14:15], s[4:5]
	s_cbranch_execz .LBB163_28
; %bb.16:                               ;   in Loop: Header=BB163_9 Depth=1
	v_mov_b32_e32 v5, s36
	ds_read2_b32 v[8:9], v5 offset0:4 offset1:6
	ds_read_b32 v7, v5 offset:32
	v_mov_b32_e32 v5, s43
	ds_read_b32 v5, v5 offset:4
	s_lshl_b64 s[8:9], s[12:13], 2
	s_waitcnt lgkmcnt(2)
	v_add_f32_e32 v6, v6, v8
	v_add_f32_e32 v6, v6, v9
	s_waitcnt lgkmcnt(1)
	v_add_f32_e32 v7, v6, v7
	s_waitcnt lgkmcnt(0)
	v_mul_f32_e32 v6, v5, v5
	s_add_u32 s22, s30, s8
	v_max_f32_e32 v8, v7, v6
	s_addc_u32 s23, s31, s9
	v_cmp_nlt_f32_e32 vcc, 0, v8
	s_mov_b64 s[20:21], 0
                                        ; implicit-def: $sgpr48
                                        ; implicit-def: $sgpr47
                                        ; implicit-def: $sgpr45
                                        ; implicit-def: $sgpr46
                                        ; implicit-def: $sgpr18_sgpr19
	s_and_saveexec_b64 s[8:9], vcc
	s_xor_b64 s[8:9], exec, s[8:9]
	s_cbranch_execz .LBB163_20
; %bb.17:                               ;   in Loop: Header=BB163_9 Depth=1
	v_mov_b32_e32 v5, v4
	v_mov_b32_e32 v6, s36
	s_mov_b64 s[18:19], 0
	s_and_b64 vcc, exec, s[10:11]
	ds_write_b64 v6, v[4:5]
                                        ; implicit-def: $sgpr48
                                        ; implicit-def: $sgpr47
	s_cbranch_vccz .LBB163_19
; %bb.18:                               ;   in Loop: Header=BB163_9 Depth=1
	v_mov_b32_e32 v5, s43
	ds_read_b32 v6, v5
	s_mov_b64 s[20:21], -1
	s_mov_b32 s47, 1.0
	s_mov_b32 s48, 0
	ds_write_b32 v5, v20
	s_waitcnt lgkmcnt(1)
	global_store_dword v4, v6, s[22:23]
.LBB163_19:                             ;   in Loop: Header=BB163_9 Depth=1
	s_mov_b32 s46, 1.0
	s_mov_b32 s45, 0
	s_and_b64 s[20:21], s[20:21], exec
                                        ; implicit-def: $vgpr6
                                        ; implicit-def: $vgpr7
                                        ; implicit-def: $vgpr5
.LBB163_20:                             ;   in Loop: Header=BB163_9 Depth=1
	s_or_saveexec_b64 s[24:25], s[8:9]
	v_mov_b32_e32 v23, s48
	v_mov_b32_e32 v22, s47
	s_xor_b64 exec, exec, s[24:25]
	s_cbranch_execz .LBB163_25
; %bb.21:                               ;   in Loop: Header=BB163_9 Depth=1
	v_mov_b32_e32 v8, s43
	ds_read_b32 v8, v8
	s_waitcnt lgkmcnt(0)
	v_fma_f32 v9, v8, v8, v6
	v_add_f32_e32 v7, v7, v9
	v_mul_f32_e32 v9, 0x4f800000, v7
	v_cmp_gt_f32_e32 vcc, s40, v7
	v_cndmask_b32_e32 v7, v7, v9, vcc
	v_sqrt_f32_e32 v9, v7
	v_add_u32_e32 v22, -1, v9
	v_add_u32_e32 v23, 1, v9
	v_fma_f32 v24, -v22, v9, v7
	v_fma_f32 v25, -v23, v9, v7
	v_cmp_ge_f32_e64 s[8:9], 0, v24
	v_cndmask_b32_e64 v9, v9, v22, s[8:9]
	v_cmp_lt_f32_e64 s[8:9], 0, v25
	v_cndmask_b32_e64 v9, v9, v23, s[8:9]
	v_mul_f32_e32 v22, 0x37800000, v9
	v_cndmask_b32_e32 v9, v9, v22, vcc
	v_cmp_class_f32_e32 vcc, v7, v21
	v_cndmask_b32_e32 v7, v9, v7, vcc
	v_cmp_le_f32_e32 vcc, 0, v8
	v_cndmask_b32_e64 v7, v7, -v7, vcc
	v_sub_f32_e32 v9, v8, v7
	v_fmac_f32_e32 v6, v9, v9
	v_div_scale_f32 v22, s[8:9], v6, v6, v9
	v_rcp_f32_e32 v23, v22
	v_div_scale_f32 v24, vcc, v9, v6, v9
	v_sub_f32_e32 v8, v7, v8
	v_fma_f32 v25, -v22, v23, 1.0
	v_fmac_f32_e32 v23, v25, v23
	v_mul_f32_e32 v25, v24, v23
	v_fma_f32 v26, -v22, v25, v24
	v_fmac_f32_e32 v25, v26, v23
	v_fma_f32 v22, -v22, v25, v24
	v_div_scale_f32 v24, s[8:9], v6, v6, -v5
	v_rcp_f32_e32 v26, v24
	v_div_fmas_f32 v22, v22, v23, v25
	v_div_fixup_f32 v22, v22, v6, v9
	v_fma_f32 v9, -v24, v26, 1.0
	v_fmac_f32_e32 v26, v9, v26
	v_div_scale_f32 v9, vcc, -v5, v6, -v5
	v_mul_f32_e32 v23, v9, v26
	v_fma_f32 v25, -v24, v23, v9
	v_fmac_f32_e32 v23, v25, v26
	v_fma_f32 v9, -v24, v23, v9
	v_div_scale_f32 v24, s[8:9], v7, v7, v8
	v_rcp_f32_e32 v25, v24
	v_div_fmas_f32 v9, v9, v26, v23
	v_div_fixup_f32 v23, v9, v6, -v5
	v_fma_f32 v6, -v24, v25, 1.0
	v_fmac_f32_e32 v25, v6, v25
	v_div_scale_f32 v6, vcc, v8, v7, v8
	v_mul_f32_e32 v9, v6, v25
	v_fma_f32 v26, -v24, v9, v6
	v_fmac_f32_e32 v9, v26, v25
	v_fma_f32 v6, -v24, v9, v6
	v_div_scale_f32 v24, s[8:9], v7, v7, -v5
	v_rcp_f32_e32 v26, v24
	v_div_fmas_f32 v6, v6, v25, v9
	v_div_fixup_f32 v8, v6, v7, v8
	v_fma_f32 v6, -v24, v26, 1.0
	v_fmac_f32_e32 v26, v6, v26
	v_div_scale_f32 v6, vcc, -v5, v7, -v5
	v_mul_f32_e32 v9, v6, v26
	v_fma_f32 v25, -v24, v9, v6
	v_fmac_f32_e32 v9, v25, v26
	v_fma_f32 v6, -v24, v9, v6
	v_div_fmas_f32 v6, v6, v26, v9
	v_div_fixup_f32 v9, v6, v7, -v5
	v_mov_b32_e32 v5, s36
	s_and_b64 vcc, exec, s[10:11]
	ds_write_b64 v5, v[8:9]
	s_cbranch_vccz .LBB163_43
; %bb.22:                               ;   in Loop: Header=BB163_9 Depth=1
	v_mov_b32_e32 v5, s43
	global_store_dword v4, v7, s[22:23]
	ds_write_b32 v5, v20
	s_cbranch_execnz .LBB163_24
.LBB163_23:                             ;   in Loop: Header=BB163_9 Depth=1
	v_mov_b32_e32 v5, s43
	ds_write_b32 v5, v7
.LBB163_24:                             ;   in Loop: Header=BB163_9 Depth=1
	s_or_b64 s[20:21], s[20:21], exec
.LBB163_25:                             ;   in Loop: Header=BB163_9 Depth=1
	s_or_b64 exec, exec, s[24:25]
	v_pk_mov_b32 v[6:7], s[18:19], s[18:19] op_sel:[0,1]
	v_mov_b32_e32 v8, s46
	v_mov_b32_e32 v9, s45
	s_and_saveexec_b64 s[8:9], s[20:21]
	s_cbranch_execz .LBB163_27
; %bb.26:                               ;   in Loop: Header=BB163_9 Depth=1
	v_mov_b32_e32 v5, s43
	ds_write_b32 v5, v4 offset:4
	v_mov_b32_e32 v5, s36
	ds_read_b64 v[6:7], v5
	v_mov_b32_e32 v8, v22
	v_mov_b32_e32 v9, v23
.LBB163_27:                             ;   in Loop: Header=BB163_9 Depth=1
	s_or_b64 exec, exec, s[8:9]
	s_lshl_b64 s[8:9], s[12:13], 3
	s_add_u32 s8, s33, s8
	s_addc_u32 s9, s34, s9
	s_waitcnt lgkmcnt(0)
	global_store_dwordx2 v4, v[6:7], s[8:9]
	v_xor_b32_e32 v7, 0x80000000, v7
	v_mov_b32_e32 v5, s36
	ds_write2_b64 v5, v[6:7], v[8:9] offset1:1
.LBB163_28:                             ;   in Loop: Header=BB163_9 Depth=1
	s_or_b64 exec, exec, s[14:15]
	s_waitcnt lgkmcnt(0)
	s_barrier
	s_and_saveexec_b64 s[8:9], s[6:7]
	s_cbranch_execz .LBB163_31
; %bb.29:                               ;   in Loop: Header=BB163_9 Depth=1
	s_mov_b32 s14, 0
	s_mov_b64 s[6:7], 0
	v_mov_b32_e32 v5, v0
.LBB163_30:                             ;   Parent Loop BB163_9 Depth=1
                                        ; =>  This Inner Loop Header: Depth=2
	v_mov_b32_e32 v6, s36
	v_add_u32_e32 v24, s14, v16
	ds_read_b64 v[6:7], v6 offset:8
	ds_read_b64 v[8:9], v24
	v_add_u32_e32 v5, 0x100, v5
	s_addk_i32 s14, 0x800
	v_cmp_le_i32_e32 vcc, s44, v5
	s_or_b64 s[6:7], vcc, s[6:7]
	s_waitcnt lgkmcnt(0)
	v_mul_f32_e32 v22, v7, v9
	v_mul_f32_e32 v23, v6, v9
	v_fma_f32 v22, v6, v8, -v22
	v_fmac_f32_e32 v23, v7, v8
	ds_write_b64 v24, v[22:23]
	s_andn2_b64 exec, exec, s[6:7]
	s_cbranch_execnz .LBB163_30
.LBB163_31:                             ;   in Loop: Header=BB163_9 Depth=1
	s_or_b64 exec, exec, s[8:9]
	s_not_b32 s18, s12
	s_add_i32 s18, s18, s17
	v_cmp_gt_i32_e32 vcc, s18, v0
	s_waitcnt lgkmcnt(0)
	s_barrier
	s_and_saveexec_b64 s[6:7], vcc
	s_cbranch_execz .LBB163_37
; %bb.32:                               ;   in Loop: Header=BB163_9 Depth=1
	s_cmp_gt_i32 s42, 0
	s_mov_b64 s[8:9], 0
	s_cselect_b64 s[14:15], -1, 0
	v_mov_b32_e32 v5, v17
	v_mov_b32_e32 v6, v0
	s_branch .LBB163_34
.LBB163_33:                             ;   in Loop: Header=BB163_34 Depth=2
	v_mov_b32_e32 v9, s36
	ds_read_b64 v[22:23], v9
	v_lshl_add_u32 v24, v6, 3, s35
	v_add_u32_e32 v6, 0x100, v6
	v_cmp_le_i32_e32 vcc, s18, v6
	s_or_b64 s[8:9], vcc, s[8:9]
	s_waitcnt lgkmcnt(0)
	v_mul_f32_e32 v25, v7, v23
	v_mul_f32_e32 v9, v8, v23
	v_fma_f32 v8, v8, v22, -v25
	v_fmac_f32_e32 v9, v7, v22
	v_add_u32_e32 v5, s39, v5
	ds_write_b64 v24, v[8:9]
	s_andn2_b64 exec, exec, s[8:9]
	s_cbranch_execz .LBB163_37
.LBB163_34:                             ;   Parent Loop BB163_9 Depth=1
                                        ; =>  This Loop Header: Depth=2
                                        ;       Child Loop BB163_36 Depth 3
	s_andn2_b64 vcc, exec, s[14:15]
	v_mov_b32_e32 v7, 0
	v_mov_b32_e32 v8, 0
	s_cbranch_vccnz .LBB163_33
; %bb.35:                               ;   in Loop: Header=BB163_34 Depth=2
	s_mov_b32 s19, 0
	v_mov_b32_e32 v7, 0
	s_mov_b32 s20, s41
	v_mov_b32_e32 v9, v5
	v_mov_b32_e32 v8, 0
.LBB163_36:                             ;   Parent Loop BB163_9 Depth=1
                                        ;     Parent Loop BB163_34 Depth=2
                                        ; =>    This Inner Loop Header: Depth=3
	v_mov_b32_e32 v24, s20
	ds_read_b64 v[22:23], v9
	ds_read_b64 v[24:25], v24
	s_add_i32 s19, s19, 1
	s_add_i32 s20, s20, 8
	v_add_u32_e32 v9, 8, v9
	s_cmp_ge_i32 s19, s42
	s_waitcnt lgkmcnt(0)
	v_mul_f32_e32 v26, v25, v23
	v_mul_f32_e32 v25, v25, v22
	v_fmac_f32_e32 v26, v24, v22
	v_fma_f32 v22, v24, v23, -v25
	v_add_f32_e32 v8, v8, v26
	v_add_f32_e32 v7, v7, v22
	s_cbranch_scc0 .LBB163_36
	s_branch .LBB163_33
.LBB163_37:                             ;   in Loop: Header=BB163_9 Depth=1
	s_or_b64 exec, exec, s[6:7]
	v_cmp_gt_i32_e32 vcc, s42, v0
	s_waitcnt lgkmcnt(0)
	s_barrier
	s_and_saveexec_b64 s[6:7], vcc
	s_cbranch_execz .LBB163_8
; %bb.38:                               ;   in Loop: Header=BB163_9 Depth=1
	s_cmp_gt_i32 s18, 0
	s_mov_b64 s[8:9], 0
	s_cselect_b64 s[14:15], -1, 0
	v_mov_b32_e32 v5, v18
	v_mov_b32_e32 v6, v0
	s_branch .LBB163_40
.LBB163_39:                             ;   in Loop: Header=BB163_40 Depth=2
	v_add_u32_e32 v6, 0x100, v6
	v_cmp_le_i32_e32 vcc, s42, v6
	s_or_b64 s[8:9], vcc, s[8:9]
	v_add_u32_e32 v5, 0x800, v5
	s_andn2_b64 exec, exec, s[8:9]
	s_cbranch_execz .LBB163_8
.LBB163_40:                             ;   Parent Loop BB163_9 Depth=1
                                        ; =>  This Loop Header: Depth=2
                                        ;       Child Loop BB163_42 Depth 3
	s_andn2_b64 vcc, exec, s[14:15]
	s_cbranch_vccnz .LBB163_39
; %bb.41:                               ;   in Loop: Header=BB163_40 Depth=2
	v_lshl_add_u32 v7, v6, 3, s43
	s_mov_b32 s19, 0
	s_mov_b32 s20, s35
	v_mov_b32_e32 v8, v5
.LBB163_42:                             ;   Parent Loop BB163_9 Depth=1
                                        ;     Parent Loop BB163_40 Depth=2
                                        ; =>    This Inner Loop Header: Depth=3
	v_mov_b32_e32 v9, s20
	ds_read_b64 v[22:23], v7
	ds_read_b64 v[24:25], v8
	;; [unrolled: 1-line block ×3, first 2 shown]
	s_add_i32 s19, s19, 1
	s_add_i32 s20, s20, 8
	s_cmp_ge_i32 s19, s18
	s_waitcnt lgkmcnt(0)
	v_pk_mul_f32 v[28:29], v[26:27], v[22:23] op_sel:[0,1]
	v_pk_fma_f32 v[30:31], v[26:27], v[22:23], v[28:29] op_sel:[0,0,1] op_sel_hi:[1,1,0] neg_lo:[0,0,1] neg_hi:[0,0,1]
	v_pk_fma_f32 v[22:23], v[26:27], v[22:23], v[28:29] op_sel:[0,0,1] op_sel_hi:[1,0,0]
	v_mov_b32_e32 v31, v23
	v_pk_add_f32 v[22:23], v[24:25], v[30:31] neg_lo:[0,1] neg_hi:[0,1]
	ds_write_b64 v8, v[22:23]
	v_add_u32_e32 v8, s37, v8
	s_cbranch_scc0 .LBB163_42
	s_branch .LBB163_39
.LBB163_43:                             ;   in Loop: Header=BB163_9 Depth=1
	s_branch .LBB163_23
.LBB163_44:
	s_and_saveexec_b64 s[2:3], s[0:1]
	s_cbranch_execz .LBB163_50
; %bb.45:
	v_mad_u64_u32 v[0:1], s[0:1], s28, v3, v[2:3]
	v_mul_lo_u32 v1, s16, v3
	v_lshlrev_b32_e32 v1, 3, v1
	v_cmp_gt_i32_e32 vcc, s17, v3
	s_lshl_b32 s10, s28, 1
	v_add3_u32 v1, v1, v10, 0
	s_lshl_b32 s11, s16, 4
	s_mov_b64 s[4:5], 0
	s_branch .LBB163_47
.LBB163_46:                             ;   in Loop: Header=BB163_47 Depth=1
	s_or_b64 exec, exec, s[6:7]
	v_add_u32_e32 v2, 0x80, v2
	v_cmp_le_i32_e64 s[0:1], s16, v2
	v_add_u32_e32 v0, 0x80, v0
	s_or_b64 s[4:5], s[0:1], s[4:5]
	v_add_u32_e32 v1, 0x400, v1
	s_andn2_b64 exec, exec, s[4:5]
	s_cbranch_execz .LBB163_50
.LBB163_47:                             ; =>This Loop Header: Depth=1
                                        ;     Child Loop BB163_49 Depth 2
	s_and_saveexec_b64 s[6:7], vcc
	s_cbranch_execz .LBB163_46
; %bb.48:                               ;   in Loop: Header=BB163_47 Depth=1
	s_mov_b64 s[8:9], 0
	v_mov_b32_e32 v6, v1
	v_mov_b32_e32 v4, v0
	;; [unrolled: 1-line block ×3, first 2 shown]
.LBB163_49:                             ;   Parent Loop BB163_47 Depth=1
                                        ; =>  This Inner Loop Header: Depth=2
	ds_read_b64 v[8:9], v6
	v_ashrrev_i32_e32 v5, 31, v4
	v_add_u32_e32 v7, 2, v7
	v_lshlrev_b64 v[10:11], 3, v[4:5]
	v_mov_b32_e32 v12, s27
	v_cmp_le_i32_e64 s[0:1], s17, v7
	v_add_co_u32_e64 v10, s[2:3], s26, v10
	v_add_u32_e32 v6, s11, v6
	v_add_u32_e32 v4, s10, v4
	v_addc_co_u32_e64 v11, s[2:3], v12, v11, s[2:3]
	s_or_b64 s[8:9], s[0:1], s[8:9]
	s_waitcnt lgkmcnt(0)
	global_store_dwordx2 v[10:11], v[8:9], off
	s_andn2_b64 exec, exec, s[8:9]
	s_cbranch_execnz .LBB163_49
	s_branch .LBB163_46
.LBB163_50:
	s_endpgm
	.section	.rodata,"a",@progbits
	.p2align	6, 0x0
	.amdhsa_kernel _ZN9rocsolver6v33100L18geqr2_kernel_smallILi256E19rocblas_complex_numIfEifPS3_EEvT1_S5_T3_lS5_lPT2_lPT0_l
		.amdhsa_group_segment_fixed_size 0
		.amdhsa_private_segment_fixed_size 0
		.amdhsa_kernarg_size 72
		.amdhsa_user_sgpr_count 6
		.amdhsa_user_sgpr_private_segment_buffer 1
		.amdhsa_user_sgpr_dispatch_ptr 0
		.amdhsa_user_sgpr_queue_ptr 0
		.amdhsa_user_sgpr_kernarg_segment_ptr 1
		.amdhsa_user_sgpr_dispatch_id 0
		.amdhsa_user_sgpr_flat_scratch_init 0
		.amdhsa_user_sgpr_kernarg_preload_length 0
		.amdhsa_user_sgpr_kernarg_preload_offset 0
		.amdhsa_user_sgpr_private_segment_size 0
		.amdhsa_uses_dynamic_stack 0
		.amdhsa_system_sgpr_private_segment_wavefront_offset 0
		.amdhsa_system_sgpr_workgroup_id_x 1
		.amdhsa_system_sgpr_workgroup_id_y 0
		.amdhsa_system_sgpr_workgroup_id_z 1
		.amdhsa_system_sgpr_workgroup_info 0
		.amdhsa_system_vgpr_workitem_id 0
		.amdhsa_next_free_vgpr 32
		.amdhsa_next_free_sgpr 49
		.amdhsa_accum_offset 32
		.amdhsa_reserve_vcc 1
		.amdhsa_reserve_flat_scratch 0
		.amdhsa_float_round_mode_32 0
		.amdhsa_float_round_mode_16_64 0
		.amdhsa_float_denorm_mode_32 3
		.amdhsa_float_denorm_mode_16_64 3
		.amdhsa_dx10_clamp 1
		.amdhsa_ieee_mode 1
		.amdhsa_fp16_overflow 0
		.amdhsa_tg_split 0
		.amdhsa_exception_fp_ieee_invalid_op 0
		.amdhsa_exception_fp_denorm_src 0
		.amdhsa_exception_fp_ieee_div_zero 0
		.amdhsa_exception_fp_ieee_overflow 0
		.amdhsa_exception_fp_ieee_underflow 0
		.amdhsa_exception_fp_ieee_inexact 0
		.amdhsa_exception_int_div_zero 0
	.end_amdhsa_kernel
	.section	.text._ZN9rocsolver6v33100L18geqr2_kernel_smallILi256E19rocblas_complex_numIfEifPS3_EEvT1_S5_T3_lS5_lPT2_lPT0_l,"axG",@progbits,_ZN9rocsolver6v33100L18geqr2_kernel_smallILi256E19rocblas_complex_numIfEifPS3_EEvT1_S5_T3_lS5_lPT2_lPT0_l,comdat
.Lfunc_end163:
	.size	_ZN9rocsolver6v33100L18geqr2_kernel_smallILi256E19rocblas_complex_numIfEifPS3_EEvT1_S5_T3_lS5_lPT2_lPT0_l, .Lfunc_end163-_ZN9rocsolver6v33100L18geqr2_kernel_smallILi256E19rocblas_complex_numIfEifPS3_EEvT1_S5_T3_lS5_lPT2_lPT0_l
                                        ; -- End function
	.section	.AMDGPU.csdata,"",@progbits
; Kernel info:
; codeLenInByte = 2760
; NumSgprs: 53
; NumVgprs: 32
; NumAgprs: 0
; TotalNumVgprs: 32
; ScratchSize: 0
; MemoryBound: 0
; FloatMode: 240
; IeeeMode: 1
; LDSByteSize: 0 bytes/workgroup (compile time only)
; SGPRBlocks: 6
; VGPRBlocks: 3
; NumSGPRsForWavesPerEU: 53
; NumVGPRsForWavesPerEU: 32
; AccumOffset: 32
; Occupancy: 8
; WaveLimiterHint : 0
; COMPUTE_PGM_RSRC2:SCRATCH_EN: 0
; COMPUTE_PGM_RSRC2:USER_SGPR: 6
; COMPUTE_PGM_RSRC2:TRAP_HANDLER: 0
; COMPUTE_PGM_RSRC2:TGID_X_EN: 1
; COMPUTE_PGM_RSRC2:TGID_Y_EN: 0
; COMPUTE_PGM_RSRC2:TGID_Z_EN: 1
; COMPUTE_PGM_RSRC2:TIDIG_COMP_CNT: 0
; COMPUTE_PGM_RSRC3_GFX90A:ACCUM_OFFSET: 7
; COMPUTE_PGM_RSRC3_GFX90A:TG_SPLIT: 0
	.section	.text._ZN9rocsolver6v33100L12restore_diagI19rocblas_complex_numIfEifPS3_EEvPT1_llT2_lT0_lS8_,"axG",@progbits,_ZN9rocsolver6v33100L12restore_diagI19rocblas_complex_numIfEifPS3_EEvPT1_llT2_lT0_lS8_,comdat
	.globl	_ZN9rocsolver6v33100L12restore_diagI19rocblas_complex_numIfEifPS3_EEvPT1_llT2_lT0_lS8_ ; -- Begin function _ZN9rocsolver6v33100L12restore_diagI19rocblas_complex_numIfEifPS3_EEvPT1_llT2_lT0_lS8_
	.p2align	8
	.type	_ZN9rocsolver6v33100L12restore_diagI19rocblas_complex_numIfEifPS3_EEvPT1_llT2_lT0_lS8_,@function
_ZN9rocsolver6v33100L12restore_diagI19rocblas_complex_numIfEifPS3_EEvPT1_llT2_lT0_lS8_: ; @_ZN9rocsolver6v33100L12restore_diagI19rocblas_complex_numIfEifPS3_EEvPT1_llT2_lT0_lS8_
; %bb.0:
	s_load_dword s0, s[4:5], 0x4c
	s_load_dword s1, s[4:5], 0x38
	v_bfe_u32 v0, v0, 10, 10
	s_waitcnt lgkmcnt(0)
	s_lshr_b32 s0, s0, 16
	s_mul_i32 s7, s7, s0
	v_add_u32_e32 v0, s7, v0
	v_cmp_gt_i32_e32 vcc, s1, v0
	s_and_saveexec_b64 s[0:1], vcc
	s_cbranch_execz .LBB164_2
; %bb.1:
	s_load_dwordx2 s[0:1], s[4:5], 0x30
	s_load_dwordx2 s[2:3], s[4:5], 0x20
	s_load_dword s7, s[4:5], 0x28
	s_load_dwordx8 s[8:15], s[4:5], 0x0
	s_ashr_i32 s4, s6, 31
	s_waitcnt lgkmcnt(0)
	s_mul_i32 s1, s6, s1
	s_mul_hi_u32 s5, s6, s0
	s_add_i32 s1, s5, s1
	s_mul_i32 s5, s4, s0
	s_add_i32 s1, s1, s5
	s_mul_i32 s0, s6, s0
	s_lshl_b64 s[0:1], s[0:1], 3
	s_add_u32 s5, s14, s0
	s_addc_u32 s14, s15, s1
	s_lshl_b64 s[0:1], s[2:3], 3
	s_add_u32 s2, s5, s0
	s_addc_u32 s3, s14, s1
	s_mul_i32 s0, s6, s13
	s_mul_hi_u32 s1, s6, s12
	s_add_i32 s0, s1, s0
	s_mul_i32 s4, s4, s12
	s_add_i32 s1, s0, s4
	s_mul_i32 s0, s6, s12
	s_lshl_b64 s[0:1], s[0:1], 2
	s_add_u32 s4, s8, s0
	s_addc_u32 s5, s9, s1
	s_lshl_b64 s[0:1], s[10:11], 2
	s_add_u32 s4, s4, s0
	s_addc_u32 s5, s5, s1
	v_mad_u64_u32 v[2:3], s[0:1], v0, s7, v[0:1]
	v_ashrrev_i32_e32 v1, 31, v0
	v_lshlrev_b64 v[0:1], 2, v[0:1]
	v_mov_b32_e32 v3, s5
	v_add_co_u32_e32 v0, vcc, s4, v0
	v_addc_co_u32_e32 v1, vcc, v3, v1, vcc
	global_load_dword v0, v[0:1], off
	v_ashrrev_i32_e32 v3, 31, v2
	v_lshlrev_b64 v[2:3], 3, v[2:3]
	v_mov_b32_e32 v1, s3
	v_add_co_u32_e32 v2, vcc, s2, v2
	v_addc_co_u32_e32 v3, vcc, v1, v3, vcc
	v_mov_b32_e32 v1, 0
	s_waitcnt vmcnt(0)
	global_store_dwordx2 v[2:3], v[0:1], off
.LBB164_2:
	s_endpgm
	.section	.rodata,"a",@progbits
	.p2align	6, 0x0
	.amdhsa_kernel _ZN9rocsolver6v33100L12restore_diagI19rocblas_complex_numIfEifPS3_EEvPT1_llT2_lT0_lS8_
		.amdhsa_group_segment_fixed_size 0
		.amdhsa_private_segment_fixed_size 0
		.amdhsa_kernarg_size 320
		.amdhsa_user_sgpr_count 6
		.amdhsa_user_sgpr_private_segment_buffer 1
		.amdhsa_user_sgpr_dispatch_ptr 0
		.amdhsa_user_sgpr_queue_ptr 0
		.amdhsa_user_sgpr_kernarg_segment_ptr 1
		.amdhsa_user_sgpr_dispatch_id 0
		.amdhsa_user_sgpr_flat_scratch_init 0
		.amdhsa_user_sgpr_kernarg_preload_length 0
		.amdhsa_user_sgpr_kernarg_preload_offset 0
		.amdhsa_user_sgpr_private_segment_size 0
		.amdhsa_uses_dynamic_stack 0
		.amdhsa_system_sgpr_private_segment_wavefront_offset 0
		.amdhsa_system_sgpr_workgroup_id_x 1
		.amdhsa_system_sgpr_workgroup_id_y 1
		.amdhsa_system_sgpr_workgroup_id_z 0
		.amdhsa_system_sgpr_workgroup_info 0
		.amdhsa_system_vgpr_workitem_id 1
		.amdhsa_next_free_vgpr 4
		.amdhsa_next_free_sgpr 16
		.amdhsa_accum_offset 4
		.amdhsa_reserve_vcc 1
		.amdhsa_reserve_flat_scratch 0
		.amdhsa_float_round_mode_32 0
		.amdhsa_float_round_mode_16_64 0
		.amdhsa_float_denorm_mode_32 3
		.amdhsa_float_denorm_mode_16_64 3
		.amdhsa_dx10_clamp 1
		.amdhsa_ieee_mode 1
		.amdhsa_fp16_overflow 0
		.amdhsa_tg_split 0
		.amdhsa_exception_fp_ieee_invalid_op 0
		.amdhsa_exception_fp_denorm_src 0
		.amdhsa_exception_fp_ieee_div_zero 0
		.amdhsa_exception_fp_ieee_overflow 0
		.amdhsa_exception_fp_ieee_underflow 0
		.amdhsa_exception_fp_ieee_inexact 0
		.amdhsa_exception_int_div_zero 0
	.end_amdhsa_kernel
	.section	.text._ZN9rocsolver6v33100L12restore_diagI19rocblas_complex_numIfEifPS3_EEvPT1_llT2_lT0_lS8_,"axG",@progbits,_ZN9rocsolver6v33100L12restore_diagI19rocblas_complex_numIfEifPS3_EEvPT1_llT2_lT0_lS8_,comdat
.Lfunc_end164:
	.size	_ZN9rocsolver6v33100L12restore_diagI19rocblas_complex_numIfEifPS3_EEvPT1_llT2_lT0_lS8_, .Lfunc_end164-_ZN9rocsolver6v33100L12restore_diagI19rocblas_complex_numIfEifPS3_EEvPT1_llT2_lT0_lS8_
                                        ; -- End function
	.section	.AMDGPU.csdata,"",@progbits
; Kernel info:
; codeLenInByte = 272
; NumSgprs: 20
; NumVgprs: 4
; NumAgprs: 0
; TotalNumVgprs: 4
; ScratchSize: 0
; MemoryBound: 0
; FloatMode: 240
; IeeeMode: 1
; LDSByteSize: 0 bytes/workgroup (compile time only)
; SGPRBlocks: 2
; VGPRBlocks: 0
; NumSGPRsForWavesPerEU: 20
; NumVGPRsForWavesPerEU: 4
; AccumOffset: 4
; Occupancy: 8
; WaveLimiterHint : 0
; COMPUTE_PGM_RSRC2:SCRATCH_EN: 0
; COMPUTE_PGM_RSRC2:USER_SGPR: 6
; COMPUTE_PGM_RSRC2:TRAP_HANDLER: 0
; COMPUTE_PGM_RSRC2:TGID_X_EN: 1
; COMPUTE_PGM_RSRC2:TGID_Y_EN: 1
; COMPUTE_PGM_RSRC2:TGID_Z_EN: 0
; COMPUTE_PGM_RSRC2:TIDIG_COMP_CNT: 1
; COMPUTE_PGM_RSRC3_GFX90A:ACCUM_OFFSET: 0
; COMPUTE_PGM_RSRC3_GFX90A:TG_SPLIT: 0
	.section	.text._ZN9rocsolver6v33100L16gesdd_flip_signsI19rocblas_complex_numIfEfEEviPT0_lPT_ilS7_ili,"axG",@progbits,_ZN9rocsolver6v33100L16gesdd_flip_signsI19rocblas_complex_numIfEfEEviPT0_lPT_ilS7_ili,comdat
	.globl	_ZN9rocsolver6v33100L16gesdd_flip_signsI19rocblas_complex_numIfEfEEviPT0_lPT_ilS7_ili ; -- Begin function _ZN9rocsolver6v33100L16gesdd_flip_signsI19rocblas_complex_numIfEfEEviPT0_lPT_ilS7_ili
	.p2align	8
	.type	_ZN9rocsolver6v33100L16gesdd_flip_signsI19rocblas_complex_numIfEfEEviPT0_lPT_ilS7_ili,@function
_ZN9rocsolver6v33100L16gesdd_flip_signsI19rocblas_complex_numIfEfEEviPT0_lPT_ilS7_ili: ; @_ZN9rocsolver6v33100L16gesdd_flip_signsI19rocblas_complex_numIfEfEEviPT0_lPT_ilS7_ili
; %bb.0:
	s_load_dword s33, s[4:5], 0x48
	s_waitcnt lgkmcnt(0)
	s_cmp_ge_i32 s7, s33
	s_cbranch_scc1 .LBB165_13
; %bb.1:
	s_load_dword s36, s[4:5], 0x0
	s_load_dwordx4 s[8:11], s[4:5], 0x8
	s_load_dwordx2 s[16:17], s[4:5], 0x40
	s_load_dwordx2 s[18:19], s[4:5], 0x50
	s_load_dword s0, s[4:5], 0x5c
	s_load_dwordx2 s[20:21], s[4:5], 0x18
	s_load_dword s22, s[4:5], 0x20
	s_load_dwordx4 s[12:15], s[4:5], 0x28
	s_load_dword s37, s[4:5], 0x38
	s_waitcnt lgkmcnt(0)
	s_and_b32 s4, s0, 0xffff
	s_cmp_gt_i32 s36, 0
	s_mul_i32 s6, s6, s4
	s_cselect_b64 s[2:3], -1, 0
	v_add_u32_e32 v2, s6, v0
	v_cndmask_b32_e64 v0, 0, 1, s[2:3]
	v_cmp_gt_i32_e64 s[0:1], s36, v2
	s_add_i32 s6, s22, 1
	s_mul_i32 s18, s18, s4
	s_lshl_b64 s[10:11], s[10:11], 2
	v_cmp_ne_u32_e64 s[2:3], 1, v0
	v_mov_b32_e32 v3, 0
	s_branch .LBB165_3
.LBB165_2:                              ;   in Loop: Header=BB165_3 Depth=1
	s_or_b64 exec, exec, s[22:23]
	s_add_i32 s7, s7, s19
	s_cmp_lt_i32 s7, s33
	s_cbranch_scc0 .LBB165_13
.LBB165_3:                              ; =>This Loop Header: Depth=1
                                        ;     Child Loop BB165_6 Depth 2
                                        ;       Child Loop BB165_9 Depth 3
	s_and_saveexec_b64 s[22:23], s[0:1]
	s_cbranch_execz .LBB165_2
; %bb.4:                                ;   in Loop: Header=BB165_3 Depth=1
	s_ashr_i32 s26, s7, 31
	s_mul_hi_u32 s4, s10, s7
	s_mul_i32 s5, s10, s26
	s_add_i32 s4, s4, s5
	s_mul_i32 s5, s11, s7
	s_add_i32 s4, s4, s5
	s_mul_i32 s5, s10, s7
	s_add_u32 s24, s8, s5
	s_addc_u32 s25, s9, s4
	s_mul_i32 s4, s7, s13
	s_mul_hi_u32 s5, s7, s12
	s_add_i32 s4, s5, s4
	s_mul_i32 s5, s26, s12
	s_add_i32 s5, s4, s5
	s_mul_i32 s4, s7, s12
	s_lshl_b64 s[4:5], s[4:5], 3
	s_add_u32 s38, s20, s4
	s_addc_u32 s39, s21, s5
	s_mul_i32 s4, s7, s17
	s_mul_hi_u32 s5, s7, s16
	s_add_i32 s4, s5, s4
	s_mul_i32 s26, s26, s16
	s_add_i32 s5, s4, s26
	s_mul_i32 s4, s7, s16
	s_lshl_b64 s[4:5], s[4:5], 3
	s_add_u32 s40, s14, s4
	s_addc_u32 s41, s15, s5
	s_mov_b64 s[26:27], 0
	v_mov_b32_e32 v4, v2
	s_branch .LBB165_6
.LBB165_5:                              ;   in Loop: Header=BB165_6 Depth=2
	v_add_u32_e32 v4, s18, v4
	v_cmp_le_i32_e32 vcc, s36, v4
	s_or_b64 s[26:27], vcc, s[26:27]
	s_andn2_b64 exec, exec, s[26:27]
	s_cbranch_execz .LBB165_2
.LBB165_6:                              ;   Parent Loop BB165_3 Depth=1
                                        ; =>  This Loop Header: Depth=2
                                        ;       Child Loop BB165_9 Depth 3
	s_and_b64 vcc, exec, s[2:3]
	s_cbranch_vccnz .LBB165_5
; %bb.7:                                ;   in Loop: Header=BB165_6 Depth=2
	s_mov_b32 s28, 0
	v_cmp_eq_u32_e64 s[4:5], 0, v4
	s_mov_b64 s[30:31], s[24:25]
	v_mov_b32_e32 v0, v4
	s_mov_b32 s42, s36
	s_branch .LBB165_9
.LBB165_8:                              ;   in Loop: Header=BB165_9 Depth=3
	s_or_b64 exec, exec, s[34:35]
	s_add_i32 s42, s42, -1
	s_add_i32 s28, s28, s6
	s_add_u32 s30, s30, 4
	s_addc_u32 s31, s31, 0
	s_cmp_lg_u32 s42, 0
	v_add_u32_e32 v0, s37, v0
	s_cbranch_scc0 .LBB165_5
.LBB165_9:                              ;   Parent Loop BB165_3 Depth=1
                                        ;     Parent Loop BB165_6 Depth=2
                                        ; =>    This Inner Loop Header: Depth=3
	s_ashr_i32 s29, s28, 31
	s_lshl_b64 s[34:35], s[28:29], 3
	s_add_u32 s34, s38, s34
	s_addc_u32 s35, s39, s35
	global_load_dword v5, v3, s[34:35]
	s_waitcnt vmcnt(0)
	v_cmp_ngt_f32_e32 vcc, 0, v5
	s_cbranch_vccnz .LBB165_11
; %bb.10:                               ;   in Loop: Header=BB165_9 Depth=3
	v_ashrrev_i32_e32 v1, 31, v0
	v_lshlrev_b64 v[6:7], 3, v[0:1]
	v_mov_b32_e32 v1, s41
	v_add_co_u32_e32 v6, vcc, s40, v6
	v_addc_co_u32_e32 v7, vcc, v1, v7, vcc
	global_load_dwordx2 v[8:9], v[6:7], off
	s_waitcnt vmcnt(0)
	v_pk_add_f32 v[8:9], v[8:9], 0 neg_lo:[1,1] neg_hi:[1,1]
	global_store_dwordx2 v[6:7], v[8:9], off
.LBB165_11:                             ;   in Loop: Header=BB165_9 Depth=3
	s_and_saveexec_b64 s[34:35], s[4:5]
	s_cbranch_execz .LBB165_8
; %bb.12:                               ;   in Loop: Header=BB165_9 Depth=3
	v_and_b32_e32 v1, 0x7fffffff, v5
	global_store_dword v3, v1, s[30:31]
	s_branch .LBB165_8
.LBB165_13:
	s_endpgm
	.section	.rodata,"a",@progbits
	.p2align	6, 0x0
	.amdhsa_kernel _ZN9rocsolver6v33100L16gesdd_flip_signsI19rocblas_complex_numIfEfEEviPT0_lPT_ilS7_ili
		.amdhsa_group_segment_fixed_size 0
		.amdhsa_private_segment_fixed_size 0
		.amdhsa_kernarg_size 336
		.amdhsa_user_sgpr_count 6
		.amdhsa_user_sgpr_private_segment_buffer 1
		.amdhsa_user_sgpr_dispatch_ptr 0
		.amdhsa_user_sgpr_queue_ptr 0
		.amdhsa_user_sgpr_kernarg_segment_ptr 1
		.amdhsa_user_sgpr_dispatch_id 0
		.amdhsa_user_sgpr_flat_scratch_init 0
		.amdhsa_user_sgpr_kernarg_preload_length 0
		.amdhsa_user_sgpr_kernarg_preload_offset 0
		.amdhsa_user_sgpr_private_segment_size 0
		.amdhsa_uses_dynamic_stack 0
		.amdhsa_system_sgpr_private_segment_wavefront_offset 0
		.amdhsa_system_sgpr_workgroup_id_x 1
		.amdhsa_system_sgpr_workgroup_id_y 1
		.amdhsa_system_sgpr_workgroup_id_z 0
		.amdhsa_system_sgpr_workgroup_info 0
		.amdhsa_system_vgpr_workitem_id 0
		.amdhsa_next_free_vgpr 10
		.amdhsa_next_free_sgpr 43
		.amdhsa_accum_offset 12
		.amdhsa_reserve_vcc 1
		.amdhsa_reserve_flat_scratch 0
		.amdhsa_float_round_mode_32 0
		.amdhsa_float_round_mode_16_64 0
		.amdhsa_float_denorm_mode_32 3
		.amdhsa_float_denorm_mode_16_64 3
		.amdhsa_dx10_clamp 1
		.amdhsa_ieee_mode 1
		.amdhsa_fp16_overflow 0
		.amdhsa_tg_split 0
		.amdhsa_exception_fp_ieee_invalid_op 0
		.amdhsa_exception_fp_denorm_src 0
		.amdhsa_exception_fp_ieee_div_zero 0
		.amdhsa_exception_fp_ieee_overflow 0
		.amdhsa_exception_fp_ieee_underflow 0
		.amdhsa_exception_fp_ieee_inexact 0
		.amdhsa_exception_int_div_zero 0
	.end_amdhsa_kernel
	.section	.text._ZN9rocsolver6v33100L16gesdd_flip_signsI19rocblas_complex_numIfEfEEviPT0_lPT_ilS7_ili,"axG",@progbits,_ZN9rocsolver6v33100L16gesdd_flip_signsI19rocblas_complex_numIfEfEEviPT0_lPT_ilS7_ili,comdat
.Lfunc_end165:
	.size	_ZN9rocsolver6v33100L16gesdd_flip_signsI19rocblas_complex_numIfEfEEviPT0_lPT_ilS7_ili, .Lfunc_end165-_ZN9rocsolver6v33100L16gesdd_flip_signsI19rocblas_complex_numIfEfEEviPT0_lPT_ilS7_ili
                                        ; -- End function
	.section	.AMDGPU.csdata,"",@progbits
; Kernel info:
; codeLenInByte = 516
; NumSgprs: 47
; NumVgprs: 10
; NumAgprs: 0
; TotalNumVgprs: 10
; ScratchSize: 0
; MemoryBound: 0
; FloatMode: 240
; IeeeMode: 1
; LDSByteSize: 0 bytes/workgroup (compile time only)
; SGPRBlocks: 5
; VGPRBlocks: 1
; NumSGPRsForWavesPerEU: 47
; NumVGPRsForWavesPerEU: 10
; AccumOffset: 12
; Occupancy: 8
; WaveLimiterHint : 0
; COMPUTE_PGM_RSRC2:SCRATCH_EN: 0
; COMPUTE_PGM_RSRC2:USER_SGPR: 6
; COMPUTE_PGM_RSRC2:TRAP_HANDLER: 0
; COMPUTE_PGM_RSRC2:TGID_X_EN: 1
; COMPUTE_PGM_RSRC2:TGID_Y_EN: 1
; COMPUTE_PGM_RSRC2:TGID_Z_EN: 0
; COMPUTE_PGM_RSRC2:TIDIG_COMP_CNT: 0
; COMPUTE_PGM_RSRC3_GFX90A:ACCUM_OFFSET: 2
; COMPUTE_PGM_RSRC3_GFX90A:TG_SPLIT: 0
	.section	.text._ZN9rocsolver6v33100L16org2r_init_identI19rocblas_complex_numIfEPS3_EEviiiT0_iil,"axG",@progbits,_ZN9rocsolver6v33100L16org2r_init_identI19rocblas_complex_numIfEPS3_EEviiiT0_iil,comdat
	.globl	_ZN9rocsolver6v33100L16org2r_init_identI19rocblas_complex_numIfEPS3_EEviiiT0_iil ; -- Begin function _ZN9rocsolver6v33100L16org2r_init_identI19rocblas_complex_numIfEPS3_EEviiiT0_iil
	.p2align	8
	.type	_ZN9rocsolver6v33100L16org2r_init_identI19rocblas_complex_numIfEPS3_EEviiiT0_iil,@function
_ZN9rocsolver6v33100L16org2r_init_identI19rocblas_complex_numIfEPS3_EEviiiT0_iil: ; @_ZN9rocsolver6v33100L16org2r_init_identI19rocblas_complex_numIfEPS3_EEviiiT0_iil
; %bb.0:
	s_load_dword s0, s[4:5], 0x34
	s_load_dwordx4 s[12:15], s[4:5], 0x0
	v_bfe_u32 v1, v0, 10, 10
	v_and_b32_e32 v0, 0x3ff, v0
	s_waitcnt lgkmcnt(0)
	s_lshr_b32 s1, s0, 16
	s_and_b32 s0, s0, 0xffff
	s_mul_i32 s7, s7, s1
	s_mul_i32 s6, s6, s0
	v_add_u32_e32 v2, s7, v1
	v_add_u32_e32 v4, s6, v0
	v_cmp_gt_u32_e32 vcc, s12, v4
	v_cmp_gt_u32_e64 s[0:1], s13, v2
	s_and_b64 s[0:1], vcc, s[0:1]
	s_and_saveexec_b64 s[2:3], s[0:1]
	s_cbranch_execz .LBB166_5
; %bb.1:
	s_load_dwordx4 s[0:3], s[4:5], 0x10
	s_load_dwordx2 s[6:7], s[4:5], 0x20
	v_cmp_ne_u32_e32 vcc, v4, v2
                                        ; implicit-def: $vgpr0_vgpr1
	s_waitcnt lgkmcnt(0)
	s_ashr_i32 s5, s2, 31
	s_mov_b32 s4, s2
	s_mul_i32 s2, s8, s7
	s_mul_hi_u32 s7, s8, s6
	s_add_i32 s7, s7, s2
	s_mul_i32 s6, s8, s6
	s_lshl_b64 s[6:7], s[6:7], 3
	s_add_u32 s2, s0, s6
	s_addc_u32 s6, s1, s7
	s_lshl_b64 s[0:1], s[4:5], 3
	s_add_u32 s2, s2, s0
	s_addc_u32 s10, s6, s1
	s_mov_b64 s[4:5], 0
	s_and_saveexec_b64 s[0:1], vcc
	s_xor_b64 s[0:1], exec, s[0:1]
	s_cbranch_execnz .LBB166_6
; %bb.2:
	s_andn2_saveexec_b64 s[0:1], s[0:1]
	s_cbranch_execnz .LBB166_13
.LBB166_3:
	s_or_b64 exec, exec, s[0:1]
	s_and_b64 exec, exec, s[4:5]
	s_cbranch_execz .LBB166_5
.LBB166_4:
	v_mov_b32_e32 v2, 0
	global_store_dword v[0:1], v2, off
.LBB166_5:
	s_endpgm
.LBB166_6:
	v_cmp_le_u32_e32 vcc, v2, v4
                                        ; implicit-def: $vgpr0_vgpr1
	s_and_saveexec_b64 s[6:7], vcc
	s_xor_b64 s[6:7], exec, s[6:7]
	s_cbranch_execz .LBB166_10
; %bb.7:
	v_cmp_le_u32_e32 vcc, s14, v2
                                        ; implicit-def: $vgpr0_vgpr1
	s_and_saveexec_b64 s[8:9], vcc
	s_xor_b64 s[8:9], exec, s[8:9]
	s_cbranch_execz .LBB166_9
; %bb.8:
	v_mad_u64_u32 v[2:3], s[12:13], v2, s3, v[4:5]
	v_mov_b32_e32 v3, 0
	v_lshlrev_b64 v[0:1], 3, v[2:3]
	v_mov_b32_e32 v2, s10
	v_add_co_u32_e32 v4, vcc, s2, v0
	v_addc_co_u32_e32 v5, vcc, v2, v1, vcc
	v_add_co_u32_e32 v0, vcc, 4, v4
	s_mov_b64 s[4:5], exec
	v_addc_co_u32_e32 v1, vcc, 0, v5, vcc
	global_store_dword v[4:5], v3, off
.LBB166_9:
	s_or_b64 exec, exec, s[8:9]
	s_and_b64 s[4:5], s[4:5], exec
                                        ; implicit-def: $vgpr4
                                        ; implicit-def: $vgpr2
.LBB166_10:
	s_andn2_saveexec_b64 s[6:7], s[6:7]
	s_cbranch_execz .LBB166_12
; %bb.11:
	v_mad_u64_u32 v[0:1], s[8:9], v2, s3, v[4:5]
	v_mov_b32_e32 v1, 0
	v_lshlrev_b64 v[2:3], 3, v[0:1]
	v_mov_b32_e32 v0, s10
	v_add_co_u32_e32 v2, vcc, s2, v2
	v_addc_co_u32_e32 v3, vcc, v0, v3, vcc
	v_add_co_u32_e32 v0, vcc, 4, v2
	global_store_dword v[2:3], v1, off
	v_addc_co_u32_e32 v1, vcc, 0, v3, vcc
	s_or_b64 s[4:5], s[4:5], exec
.LBB166_12:
	s_or_b64 exec, exec, s[6:7]
	s_and_b64 s[4:5], s[4:5], exec
                                        ; implicit-def: $vgpr2
	s_andn2_saveexec_b64 s[0:1], s[0:1]
	s_cbranch_execz .LBB166_3
.LBB166_13:
	v_mad_u64_u32 v[0:1], s[6:7], v2, s3, v[2:3]
	v_mov_b32_e32 v1, 0
	v_lshlrev_b64 v[0:1], 3, v[0:1]
	v_mov_b32_e32 v2, s10
	v_add_co_u32_e32 v0, vcc, s2, v0
	v_addc_co_u32_e32 v1, vcc, v2, v1, vcc
	v_mov_b32_e32 v2, 1.0
	global_store_dword v[0:1], v2, off
	v_add_co_u32_e32 v0, vcc, 4, v0
	v_addc_co_u32_e32 v1, vcc, 0, v1, vcc
	s_or_b64 s[4:5], s[4:5], exec
	s_or_b64 exec, exec, s[0:1]
	s_and_b64 exec, exec, s[4:5]
	s_cbranch_execnz .LBB166_4
	s_branch .LBB166_5
	.section	.rodata,"a",@progbits
	.p2align	6, 0x0
	.amdhsa_kernel _ZN9rocsolver6v33100L16org2r_init_identI19rocblas_complex_numIfEPS3_EEviiiT0_iil
		.amdhsa_group_segment_fixed_size 0
		.amdhsa_private_segment_fixed_size 0
		.amdhsa_kernarg_size 296
		.amdhsa_user_sgpr_count 6
		.amdhsa_user_sgpr_private_segment_buffer 1
		.amdhsa_user_sgpr_dispatch_ptr 0
		.amdhsa_user_sgpr_queue_ptr 0
		.amdhsa_user_sgpr_kernarg_segment_ptr 1
		.amdhsa_user_sgpr_dispatch_id 0
		.amdhsa_user_sgpr_flat_scratch_init 0
		.amdhsa_user_sgpr_kernarg_preload_length 0
		.amdhsa_user_sgpr_kernarg_preload_offset 0
		.amdhsa_user_sgpr_private_segment_size 0
		.amdhsa_uses_dynamic_stack 0
		.amdhsa_system_sgpr_private_segment_wavefront_offset 0
		.amdhsa_system_sgpr_workgroup_id_x 1
		.amdhsa_system_sgpr_workgroup_id_y 1
		.amdhsa_system_sgpr_workgroup_id_z 1
		.amdhsa_system_sgpr_workgroup_info 0
		.amdhsa_system_vgpr_workitem_id 1
		.amdhsa_next_free_vgpr 6
		.amdhsa_next_free_sgpr 16
		.amdhsa_accum_offset 8
		.amdhsa_reserve_vcc 1
		.amdhsa_reserve_flat_scratch 0
		.amdhsa_float_round_mode_32 0
		.amdhsa_float_round_mode_16_64 0
		.amdhsa_float_denorm_mode_32 3
		.amdhsa_float_denorm_mode_16_64 3
		.amdhsa_dx10_clamp 1
		.amdhsa_ieee_mode 1
		.amdhsa_fp16_overflow 0
		.amdhsa_tg_split 0
		.amdhsa_exception_fp_ieee_invalid_op 0
		.amdhsa_exception_fp_denorm_src 0
		.amdhsa_exception_fp_ieee_div_zero 0
		.amdhsa_exception_fp_ieee_overflow 0
		.amdhsa_exception_fp_ieee_underflow 0
		.amdhsa_exception_fp_ieee_inexact 0
		.amdhsa_exception_int_div_zero 0
	.end_amdhsa_kernel
	.section	.text._ZN9rocsolver6v33100L16org2r_init_identI19rocblas_complex_numIfEPS3_EEviiiT0_iil,"axG",@progbits,_ZN9rocsolver6v33100L16org2r_init_identI19rocblas_complex_numIfEPS3_EEviiiT0_iil,comdat
.Lfunc_end166:
	.size	_ZN9rocsolver6v33100L16org2r_init_identI19rocblas_complex_numIfEPS3_EEviiiT0_iil, .Lfunc_end166-_ZN9rocsolver6v33100L16org2r_init_identI19rocblas_complex_numIfEPS3_EEviiiT0_iil
                                        ; -- End function
	.section	.AMDGPU.csdata,"",@progbits
; Kernel info:
; codeLenInByte = 452
; NumSgprs: 20
; NumVgprs: 6
; NumAgprs: 0
; TotalNumVgprs: 6
; ScratchSize: 0
; MemoryBound: 0
; FloatMode: 240
; IeeeMode: 1
; LDSByteSize: 0 bytes/workgroup (compile time only)
; SGPRBlocks: 2
; VGPRBlocks: 0
; NumSGPRsForWavesPerEU: 20
; NumVGPRsForWavesPerEU: 6
; AccumOffset: 8
; Occupancy: 8
; WaveLimiterHint : 0
; COMPUTE_PGM_RSRC2:SCRATCH_EN: 0
; COMPUTE_PGM_RSRC2:USER_SGPR: 6
; COMPUTE_PGM_RSRC2:TRAP_HANDLER: 0
; COMPUTE_PGM_RSRC2:TGID_X_EN: 1
; COMPUTE_PGM_RSRC2:TGID_Y_EN: 1
; COMPUTE_PGM_RSRC2:TGID_Z_EN: 1
; COMPUTE_PGM_RSRC2:TIDIG_COMP_CNT: 1
; COMPUTE_PGM_RSRC3_GFX90A:ACCUM_OFFSET: 1
; COMPUTE_PGM_RSRC3_GFX90A:TG_SPLIT: 0
	.section	.text._ZN9rocsolver6v33100L12subtract_tauI19rocblas_complex_numIfEPS3_EEviiT0_iilPT_l,"axG",@progbits,_ZN9rocsolver6v33100L12subtract_tauI19rocblas_complex_numIfEPS3_EEviiT0_iilPT_l,comdat
	.globl	_ZN9rocsolver6v33100L12subtract_tauI19rocblas_complex_numIfEPS3_EEviiT0_iilPT_l ; -- Begin function _ZN9rocsolver6v33100L12subtract_tauI19rocblas_complex_numIfEPS3_EEviiT0_iilPT_l
	.p2align	8
	.type	_ZN9rocsolver6v33100L12subtract_tauI19rocblas_complex_numIfEPS3_EEviiT0_iilPT_l,@function
_ZN9rocsolver6v33100L12subtract_tauI19rocblas_complex_numIfEPS3_EEviiT0_iilPT_l: ; @_ZN9rocsolver6v33100L12subtract_tauI19rocblas_complex_numIfEPS3_EEviiT0_iilPT_l
; %bb.0:
	s_load_dwordx2 s[12:13], s[4:5], 0x10
	s_load_dwordx4 s[0:3], s[4:5], 0x18
	s_load_dwordx4 s[8:11], s[4:5], 0x0
	s_load_dwordx2 s[14:15], s[4:5], 0x28
	v_mov_b32_e32 v2, 0
	s_waitcnt lgkmcnt(0)
	s_ashr_i32 s5, s12, 31
	s_mul_i32 s1, s6, s1
	s_mul_hi_u32 s7, s6, s0
	s_add_i32 s1, s7, s1
	s_mul_i32 s0, s6, s0
	s_lshl_b64 s[0:1], s[0:1], 3
	s_mov_b32 s4, s12
	s_add_u32 s7, s10, s0
	s_addc_u32 s10, s11, s1
	s_lshl_b64 s[0:1], s[4:5], 3
	s_add_u32 s4, s7, s0
	s_addc_u32 s5, s10, s1
	s_mul_i32 s0, s6, s15
	s_mul_hi_u32 s1, s6, s14
	s_add_i32 s1, s1, s0
	s_mul_i32 s0, s6, s14
	s_lshl_b64 s[0:1], s[0:1], 3
	s_add_u32 s0, s2, s0
	s_addc_u32 s1, s3, s1
	s_load_dwordx2 s[2:3], s[0:1], 0x0
	s_waitcnt lgkmcnt(0)
	s_xor_b32 s3, s3, 0x80000000
	s_xor_b32 s6, s2, 0x80000000
	v_mov_b32_e32 v0, s6
	v_mov_b32_e32 v1, s3
	global_store_dwordx2 v2, v[0:1], s[0:1]
	s_mul_i32 s0, s13, s9
	s_add_i32 s0, s0, s8
	s_ashr_i32 s1, s0, 31
	s_lshl_b64 s[0:1], s[0:1], 3
	s_add_u32 s0, s4, s0
	v_sub_f32_e64 v0, 1.0, s2
	s_addc_u32 s1, s5, s1
	global_store_dwordx2 v2, v[0:1], s[0:1]
	s_endpgm
	.section	.rodata,"a",@progbits
	.p2align	6, 0x0
	.amdhsa_kernel _ZN9rocsolver6v33100L12subtract_tauI19rocblas_complex_numIfEPS3_EEviiT0_iilPT_l
		.amdhsa_group_segment_fixed_size 0
		.amdhsa_private_segment_fixed_size 0
		.amdhsa_kernarg_size 48
		.amdhsa_user_sgpr_count 6
		.amdhsa_user_sgpr_private_segment_buffer 1
		.amdhsa_user_sgpr_dispatch_ptr 0
		.amdhsa_user_sgpr_queue_ptr 0
		.amdhsa_user_sgpr_kernarg_segment_ptr 1
		.amdhsa_user_sgpr_dispatch_id 0
		.amdhsa_user_sgpr_flat_scratch_init 0
		.amdhsa_user_sgpr_kernarg_preload_length 0
		.amdhsa_user_sgpr_kernarg_preload_offset 0
		.amdhsa_user_sgpr_private_segment_size 0
		.amdhsa_uses_dynamic_stack 0
		.amdhsa_system_sgpr_private_segment_wavefront_offset 0
		.amdhsa_system_sgpr_workgroup_id_x 1
		.amdhsa_system_sgpr_workgroup_id_y 0
		.amdhsa_system_sgpr_workgroup_id_z 0
		.amdhsa_system_sgpr_workgroup_info 0
		.amdhsa_system_vgpr_workitem_id 0
		.amdhsa_next_free_vgpr 3
		.amdhsa_next_free_sgpr 16
		.amdhsa_accum_offset 4
		.amdhsa_reserve_vcc 0
		.amdhsa_reserve_flat_scratch 0
		.amdhsa_float_round_mode_32 0
		.amdhsa_float_round_mode_16_64 0
		.amdhsa_float_denorm_mode_32 3
		.amdhsa_float_denorm_mode_16_64 3
		.amdhsa_dx10_clamp 1
		.amdhsa_ieee_mode 1
		.amdhsa_fp16_overflow 0
		.amdhsa_tg_split 0
		.amdhsa_exception_fp_ieee_invalid_op 0
		.amdhsa_exception_fp_denorm_src 0
		.amdhsa_exception_fp_ieee_div_zero 0
		.amdhsa_exception_fp_ieee_overflow 0
		.amdhsa_exception_fp_ieee_underflow 0
		.amdhsa_exception_fp_ieee_inexact 0
		.amdhsa_exception_int_div_zero 0
	.end_amdhsa_kernel
	.section	.text._ZN9rocsolver6v33100L12subtract_tauI19rocblas_complex_numIfEPS3_EEviiT0_iilPT_l,"axG",@progbits,_ZN9rocsolver6v33100L12subtract_tauI19rocblas_complex_numIfEPS3_EEviiT0_iilPT_l,comdat
.Lfunc_end167:
	.size	_ZN9rocsolver6v33100L12subtract_tauI19rocblas_complex_numIfEPS3_EEviiT0_iilPT_l, .Lfunc_end167-_ZN9rocsolver6v33100L12subtract_tauI19rocblas_complex_numIfEPS3_EEviiT0_iilPT_l
                                        ; -- End function
	.section	.AMDGPU.csdata,"",@progbits
; Kernel info:
; codeLenInByte = 204
; NumSgprs: 20
; NumVgprs: 3
; NumAgprs: 0
; TotalNumVgprs: 3
; ScratchSize: 0
; MemoryBound: 0
; FloatMode: 240
; IeeeMode: 1
; LDSByteSize: 0 bytes/workgroup (compile time only)
; SGPRBlocks: 2
; VGPRBlocks: 0
; NumSGPRsForWavesPerEU: 20
; NumVGPRsForWavesPerEU: 3
; AccumOffset: 4
; Occupancy: 8
; WaveLimiterHint : 0
; COMPUTE_PGM_RSRC2:SCRATCH_EN: 0
; COMPUTE_PGM_RSRC2:USER_SGPR: 6
; COMPUTE_PGM_RSRC2:TRAP_HANDLER: 0
; COMPUTE_PGM_RSRC2:TGID_X_EN: 1
; COMPUTE_PGM_RSRC2:TGID_Y_EN: 0
; COMPUTE_PGM_RSRC2:TGID_Z_EN: 0
; COMPUTE_PGM_RSRC2:TIDIG_COMP_CNT: 0
; COMPUTE_PGM_RSRC3_GFX90A:ACCUM_OFFSET: 0
; COMPUTE_PGM_RSRC3_GFX90A:TG_SPLIT: 0
	.section	.text._ZN9rocsolver6v33100L6restauI19rocblas_complex_numIfEEEviPT_l,"axG",@progbits,_ZN9rocsolver6v33100L6restauI19rocblas_complex_numIfEEEviPT_l,comdat
	.globl	_ZN9rocsolver6v33100L6restauI19rocblas_complex_numIfEEEviPT_l ; -- Begin function _ZN9rocsolver6v33100L6restauI19rocblas_complex_numIfEEEviPT_l
	.p2align	8
	.type	_ZN9rocsolver6v33100L6restauI19rocblas_complex_numIfEEEviPT_l,@function
_ZN9rocsolver6v33100L6restauI19rocblas_complex_numIfEEEviPT_l: ; @_ZN9rocsolver6v33100L6restauI19rocblas_complex_numIfEEEviPT_l
; %bb.0:
	s_load_dword s0, s[4:5], 0x24
	s_load_dword s1, s[4:5], 0x0
	s_waitcnt lgkmcnt(0)
	s_and_b32 s0, s0, 0xffff
	s_mul_i32 s6, s6, s0
	v_add_u32_e32 v0, s6, v0
	v_cmp_gt_u32_e32 vcc, s1, v0
	s_and_saveexec_b64 s[0:1], vcc
	s_cbranch_execz .LBB168_2
; %bb.1:
	s_load_dwordx4 s[0:3], s[4:5], 0x8
	v_mov_b32_e32 v1, 0
	v_lshlrev_b64 v[0:1], 3, v[0:1]
	s_waitcnt lgkmcnt(0)
	s_mul_i32 s3, s7, s3
	s_mul_hi_u32 s4, s7, s2
	s_mul_i32 s2, s7, s2
	s_add_i32 s3, s4, s3
	s_lshl_b64 s[2:3], s[2:3], 3
	s_add_u32 s0, s0, s2
	s_addc_u32 s1, s1, s3
	v_mov_b32_e32 v2, s1
	v_add_co_u32_e32 v0, vcc, s0, v0
	v_addc_co_u32_e32 v1, vcc, v2, v1, vcc
	global_load_dwordx2 v[2:3], v[0:1], off
	s_waitcnt vmcnt(0)
	v_pk_add_f32 v[2:3], v[2:3], 0 neg_lo:[1,1] neg_hi:[1,1]
	global_store_dwordx2 v[0:1], v[2:3], off
.LBB168_2:
	s_endpgm
	.section	.rodata,"a",@progbits
	.p2align	6, 0x0
	.amdhsa_kernel _ZN9rocsolver6v33100L6restauI19rocblas_complex_numIfEEEviPT_l
		.amdhsa_group_segment_fixed_size 0
		.amdhsa_private_segment_fixed_size 0
		.amdhsa_kernarg_size 280
		.amdhsa_user_sgpr_count 6
		.amdhsa_user_sgpr_private_segment_buffer 1
		.amdhsa_user_sgpr_dispatch_ptr 0
		.amdhsa_user_sgpr_queue_ptr 0
		.amdhsa_user_sgpr_kernarg_segment_ptr 1
		.amdhsa_user_sgpr_dispatch_id 0
		.amdhsa_user_sgpr_flat_scratch_init 0
		.amdhsa_user_sgpr_kernarg_preload_length 0
		.amdhsa_user_sgpr_kernarg_preload_offset 0
		.amdhsa_user_sgpr_private_segment_size 0
		.amdhsa_uses_dynamic_stack 0
		.amdhsa_system_sgpr_private_segment_wavefront_offset 0
		.amdhsa_system_sgpr_workgroup_id_x 1
		.amdhsa_system_sgpr_workgroup_id_y 1
		.amdhsa_system_sgpr_workgroup_id_z 0
		.amdhsa_system_sgpr_workgroup_info 0
		.amdhsa_system_vgpr_workitem_id 0
		.amdhsa_next_free_vgpr 4
		.amdhsa_next_free_sgpr 8
		.amdhsa_accum_offset 4
		.amdhsa_reserve_vcc 1
		.amdhsa_reserve_flat_scratch 0
		.amdhsa_float_round_mode_32 0
		.amdhsa_float_round_mode_16_64 0
		.amdhsa_float_denorm_mode_32 3
		.amdhsa_float_denorm_mode_16_64 3
		.amdhsa_dx10_clamp 1
		.amdhsa_ieee_mode 1
		.amdhsa_fp16_overflow 0
		.amdhsa_tg_split 0
		.amdhsa_exception_fp_ieee_invalid_op 0
		.amdhsa_exception_fp_denorm_src 0
		.amdhsa_exception_fp_ieee_div_zero 0
		.amdhsa_exception_fp_ieee_overflow 0
		.amdhsa_exception_fp_ieee_underflow 0
		.amdhsa_exception_fp_ieee_inexact 0
		.amdhsa_exception_int_div_zero 0
	.end_amdhsa_kernel
	.section	.text._ZN9rocsolver6v33100L6restauI19rocblas_complex_numIfEEEviPT_l,"axG",@progbits,_ZN9rocsolver6v33100L6restauI19rocblas_complex_numIfEEEviPT_l,comdat
.Lfunc_end168:
	.size	_ZN9rocsolver6v33100L6restauI19rocblas_complex_numIfEEEviPT_l, .Lfunc_end168-_ZN9rocsolver6v33100L6restauI19rocblas_complex_numIfEEEviPT_l
                                        ; -- End function
	.section	.AMDGPU.csdata,"",@progbits
; Kernel info:
; codeLenInByte = 144
; NumSgprs: 12
; NumVgprs: 4
; NumAgprs: 0
; TotalNumVgprs: 4
; ScratchSize: 0
; MemoryBound: 0
; FloatMode: 240
; IeeeMode: 1
; LDSByteSize: 0 bytes/workgroup (compile time only)
; SGPRBlocks: 1
; VGPRBlocks: 0
; NumSGPRsForWavesPerEU: 12
; NumVGPRsForWavesPerEU: 4
; AccumOffset: 4
; Occupancy: 8
; WaveLimiterHint : 0
; COMPUTE_PGM_RSRC2:SCRATCH_EN: 0
; COMPUTE_PGM_RSRC2:USER_SGPR: 6
; COMPUTE_PGM_RSRC2:TRAP_HANDLER: 0
; COMPUTE_PGM_RSRC2:TGID_X_EN: 1
; COMPUTE_PGM_RSRC2:TGID_Y_EN: 1
; COMPUTE_PGM_RSRC2:TGID_Z_EN: 0
; COMPUTE_PGM_RSRC2:TIDIG_COMP_CNT: 0
; COMPUTE_PGM_RSRC3_GFX90A:ACCUM_OFFSET: 0
; COMPUTE_PGM_RSRC3_GFX90A:TG_SPLIT: 0
	.section	.text._ZN9rocsolver6v33100L14copy_trans_matI19rocblas_complex_numIfES3_PS3_S4_NS0_7no_maskEEEv18rocblas_operation_iiT1_iilT2_iilT3_13rocblas_fill_17rocblas_diagonal_,"axG",@progbits,_ZN9rocsolver6v33100L14copy_trans_matI19rocblas_complex_numIfES3_PS3_S4_NS0_7no_maskEEEv18rocblas_operation_iiT1_iilT2_iilT3_13rocblas_fill_17rocblas_diagonal_,comdat
	.globl	_ZN9rocsolver6v33100L14copy_trans_matI19rocblas_complex_numIfES3_PS3_S4_NS0_7no_maskEEEv18rocblas_operation_iiT1_iilT2_iilT3_13rocblas_fill_17rocblas_diagonal_ ; -- Begin function _ZN9rocsolver6v33100L14copy_trans_matI19rocblas_complex_numIfES3_PS3_S4_NS0_7no_maskEEEv18rocblas_operation_iiT1_iilT2_iilT3_13rocblas_fill_17rocblas_diagonal_
	.p2align	8
	.type	_ZN9rocsolver6v33100L14copy_trans_matI19rocblas_complex_numIfES3_PS3_S4_NS0_7no_maskEEEv18rocblas_operation_iiT1_iilT2_iilT3_13rocblas_fill_17rocblas_diagonal_,@function
_ZN9rocsolver6v33100L14copy_trans_matI19rocblas_complex_numIfES3_PS3_S4_NS0_7no_maskEEEv18rocblas_operation_iiT1_iilT2_iilT3_13rocblas_fill_17rocblas_diagonal_: ; @_ZN9rocsolver6v33100L14copy_trans_matI19rocblas_complex_numIfES3_PS3_S4_NS0_7no_maskEEEv18rocblas_operation_iiT1_iilT2_iilT3_13rocblas_fill_17rocblas_diagonal_
; %bb.0:
	s_load_dword s0, s[4:5], 0x5c
	s_load_dwordx4 s[12:15], s[4:5], 0x0
	v_bfe_u32 v1, v0, 10, 10
	v_and_b32_e32 v0, 0x3ff, v0
	s_waitcnt lgkmcnt(0)
	s_lshr_b32 s1, s0, 16
	s_and_b32 s0, s0, 0xffff
	s_mul_i32 s7, s7, s1
	s_mul_i32 s6, s6, s0
	v_add_u32_e32 v2, s7, v1
	v_add_u32_e32 v0, s6, v0
	v_cmp_gt_u32_e32 vcc, s13, v0
	v_cmp_gt_u32_e64 s[0:1], s14, v2
	s_and_b64 s[0:1], s[0:1], vcc
	s_and_saveexec_b64 s[2:3], s[0:1]
	s_cbranch_execz .LBB169_18
; %bb.1:
	s_load_dwordx2 s[2:3], s[4:5], 0x44
	s_waitcnt lgkmcnt(0)
	s_cmpk_lt_i32 s2, 0x7a
	s_cbranch_scc1 .LBB169_4
; %bb.2:
	s_cmpk_gt_i32 s2, 0x7a
	s_cbranch_scc0 .LBB169_5
; %bb.3:
	s_cmpk_lg_i32 s2, 0x7b
	s_mov_b64 s[6:7], -1
	s_cselect_b64 s[10:11], -1, 0
	s_cbranch_execz .LBB169_6
	s_branch .LBB169_7
.LBB169_4:
	s_mov_b64 s[10:11], 0
	s_mov_b64 s[6:7], 0
	s_cbranch_execnz .LBB169_8
	s_branch .LBB169_10
.LBB169_5:
	s_mov_b64 s[6:7], 0
	s_mov_b64 s[10:11], 0
.LBB169_6:
	v_cmp_gt_u32_e32 vcc, v0, v2
	v_cmp_le_u32_e64 s[0:1], v0, v2
	s_andn2_b64 s[6:7], s[6:7], exec
	s_and_b64 s[14:15], vcc, exec
	s_andn2_b64 s[10:11], s[10:11], exec
	s_and_b64 s[0:1], s[0:1], exec
	s_or_b64 s[6:7], s[6:7], s[14:15]
	s_or_b64 s[10:11], s[10:11], s[0:1]
.LBB169_7:
	s_branch .LBB169_10
.LBB169_8:
	s_cmpk_eq_i32 s2, 0x79
	s_mov_b64 s[10:11], -1
	s_cbranch_scc0 .LBB169_10
; %bb.9:
	v_cmp_gt_u32_e32 vcc, v2, v0
	v_cmp_le_u32_e64 s[0:1], v2, v0
	s_andn2_b64 s[6:7], s[6:7], exec
	s_and_b64 s[10:11], vcc, exec
	s_or_b64 s[6:7], s[6:7], s[10:11]
	s_orn2_b64 s[10:11], s[0:1], exec
.LBB169_10:
	s_and_saveexec_b64 s[0:1], s[10:11]
; %bb.11:
	s_cmpk_eq_i32 s3, 0x83
	s_cselect_b64 s[2:3], -1, 0
	v_cmp_eq_u32_e32 vcc, v0, v2
	s_and_b64 s[2:3], s[2:3], vcc
	s_andn2_b64 s[6:7], s[6:7], exec
	s_and_b64 s[2:3], s[2:3], exec
	s_or_b64 s[6:7], s[6:7], s[2:3]
; %bb.12:
	s_or_b64 exec, exec, s[0:1]
	s_and_b64 exec, exec, s[6:7]
	s_cbranch_execz .LBB169_18
; %bb.13:
	s_load_dwordx8 s[16:23], s[4:5], 0x10
	s_load_dwordx4 s[0:3], s[4:5], 0x30
	s_waitcnt lgkmcnt(0)
	s_mul_i32 s6, s8, s21
	s_mul_hi_u32 s7, s8, s20
	s_add_i32 s7, s7, s6
	s_mul_i32 s6, s8, s20
	s_ashr_i32 s5, s18, 31
	s_lshl_b64 s[6:7], s[6:7], 3
	s_mov_b32 s4, s18
	s_add_u32 s6, s16, s6
	s_addc_u32 s7, s17, s7
	s_lshl_b64 s[4:5], s[4:5], 3
	s_add_u32 s6, s6, s4
	s_addc_u32 s7, s7, s5
	s_ashr_i32 s5, s0, 31
	s_mov_b32 s4, s0
	s_mul_i32 s0, s8, s3
	s_mul_hi_u32 s3, s8, s2
	s_add_i32 s3, s3, s0
	s_mul_i32 s2, s8, s2
	s_lshl_b64 s[2:3], s[2:3], 3
	s_add_u32 s0, s22, s2
	s_addc_u32 s8, s23, s3
	s_lshl_b64 s[2:3], s[4:5], 3
	s_add_u32 s0, s0, s2
	s_addc_u32 s8, s8, s3
	v_mad_u64_u32 v[4:5], s[2:3], v2, s19, v[0:1]
	v_mov_b32_e32 v5, 0
	v_lshlrev_b64 v[4:5], 3, v[4:5]
	v_mov_b32_e32 v1, s7
	v_add_co_u32_e32 v4, vcc, s6, v4
	v_addc_co_u32_e32 v5, vcc, v1, v5, vcc
	s_mov_b64 s[6:7], -1
	s_mov_b64 s[2:3], 0
	s_cmpk_lt_i32 s12, 0x71
	s_mov_b64 s[4:5], 0
	s_cbranch_scc0 .LBB169_19
; %bb.14:
	s_and_b64 vcc, exec, s[6:7]
	s_cbranch_vccnz .LBB169_22
.LBB169_15:
	s_andn2_b64 vcc, exec, s[4:5]
	s_cbranch_vccz .LBB169_23
.LBB169_16:
	s_andn2_b64 vcc, exec, s[2:3]
	s_cbranch_vccnz .LBB169_18
.LBB169_17:
	global_load_dwordx2 v[4:5], v[4:5], off
	v_mad_u64_u32 v[0:1], s[2:3], v0, s1, v[2:3]
	v_mov_b32_e32 v1, 0
	v_lshlrev_b64 v[0:1], 3, v[0:1]
	v_mov_b32_e32 v2, s8
	v_add_co_u32_e32 v0, vcc, s0, v0
	v_addc_co_u32_e32 v1, vcc, v2, v1, vcc
	s_waitcnt vmcnt(0)
	global_store_dwordx2 v[0:1], v[4:5], off
.LBB169_18:
	s_endpgm
.LBB169_19:
	s_cmpk_eq_i32 s12, 0x71
	s_mov_b64 s[4:5], -1
	s_cbranch_scc0 .LBB169_21
; %bb.20:
	global_load_dwordx2 v[6:7], v[4:5], off
	v_mad_u64_u32 v[8:9], s[4:5], v0, s1, v[2:3]
	v_mov_b32_e32 v9, 0
	v_lshlrev_b64 v[8:9], 3, v[8:9]
	v_mov_b32_e32 v1, s8
	v_add_co_u32_e32 v8, vcc, s0, v8
	v_addc_co_u32_e32 v9, vcc, v1, v9, vcc
	s_mov_b64 s[4:5], 0
	s_waitcnt vmcnt(0)
	v_xor_b32_e32 v7, 0x80000000, v7
	global_store_dwordx2 v[8:9], v[6:7], off
.LBB169_21:
	s_branch .LBB169_15
.LBB169_22:
	s_cmpk_lg_i32 s12, 0x70
	s_mov_b64 s[2:3], -1
	s_cselect_b64 s[4:5], -1, 0
	s_andn2_b64 vcc, exec, s[4:5]
	s_cbranch_vccnz .LBB169_16
.LBB169_23:
	global_load_dwordx2 v[6:7], v[4:5], off
	v_mad_u64_u32 v[8:9], s[2:3], v2, s1, v[0:1]
	v_mov_b32_e32 v9, 0
	v_lshlrev_b64 v[8:9], 3, v[8:9]
	v_mov_b32_e32 v1, s8
	v_add_co_u32_e32 v8, vcc, s0, v8
	v_addc_co_u32_e32 v9, vcc, v1, v9, vcc
	s_waitcnt vmcnt(0)
	global_store_dwordx2 v[8:9], v[6:7], off
	s_cbranch_execz .LBB169_17
	s_branch .LBB169_18
	.section	.rodata,"a",@progbits
	.p2align	6, 0x0
	.amdhsa_kernel _ZN9rocsolver6v33100L14copy_trans_matI19rocblas_complex_numIfES3_PS3_S4_NS0_7no_maskEEEv18rocblas_operation_iiT1_iilT2_iilT3_13rocblas_fill_17rocblas_diagonal_
		.amdhsa_group_segment_fixed_size 0
		.amdhsa_private_segment_fixed_size 0
		.amdhsa_kernarg_size 336
		.amdhsa_user_sgpr_count 6
		.amdhsa_user_sgpr_private_segment_buffer 1
		.amdhsa_user_sgpr_dispatch_ptr 0
		.amdhsa_user_sgpr_queue_ptr 0
		.amdhsa_user_sgpr_kernarg_segment_ptr 1
		.amdhsa_user_sgpr_dispatch_id 0
		.amdhsa_user_sgpr_flat_scratch_init 0
		.amdhsa_user_sgpr_kernarg_preload_length 0
		.amdhsa_user_sgpr_kernarg_preload_offset 0
		.amdhsa_user_sgpr_private_segment_size 0
		.amdhsa_uses_dynamic_stack 0
		.amdhsa_system_sgpr_private_segment_wavefront_offset 0
		.amdhsa_system_sgpr_workgroup_id_x 1
		.amdhsa_system_sgpr_workgroup_id_y 1
		.amdhsa_system_sgpr_workgroup_id_z 1
		.amdhsa_system_sgpr_workgroup_info 0
		.amdhsa_system_vgpr_workitem_id 1
		.amdhsa_next_free_vgpr 10
		.amdhsa_next_free_sgpr 24
		.amdhsa_accum_offset 12
		.amdhsa_reserve_vcc 1
		.amdhsa_reserve_flat_scratch 0
		.amdhsa_float_round_mode_32 0
		.amdhsa_float_round_mode_16_64 0
		.amdhsa_float_denorm_mode_32 3
		.amdhsa_float_denorm_mode_16_64 3
		.amdhsa_dx10_clamp 1
		.amdhsa_ieee_mode 1
		.amdhsa_fp16_overflow 0
		.amdhsa_tg_split 0
		.amdhsa_exception_fp_ieee_invalid_op 0
		.amdhsa_exception_fp_denorm_src 0
		.amdhsa_exception_fp_ieee_div_zero 0
		.amdhsa_exception_fp_ieee_overflow 0
		.amdhsa_exception_fp_ieee_underflow 0
		.amdhsa_exception_fp_ieee_inexact 0
		.amdhsa_exception_int_div_zero 0
	.end_amdhsa_kernel
	.section	.text._ZN9rocsolver6v33100L14copy_trans_matI19rocblas_complex_numIfES3_PS3_S4_NS0_7no_maskEEEv18rocblas_operation_iiT1_iilT2_iilT3_13rocblas_fill_17rocblas_diagonal_,"axG",@progbits,_ZN9rocsolver6v33100L14copy_trans_matI19rocblas_complex_numIfES3_PS3_S4_NS0_7no_maskEEEv18rocblas_operation_iiT1_iilT2_iilT3_13rocblas_fill_17rocblas_diagonal_,comdat
.Lfunc_end169:
	.size	_ZN9rocsolver6v33100L14copy_trans_matI19rocblas_complex_numIfES3_PS3_S4_NS0_7no_maskEEEv18rocblas_operation_iiT1_iilT2_iilT3_13rocblas_fill_17rocblas_diagonal_, .Lfunc_end169-_ZN9rocsolver6v33100L14copy_trans_matI19rocblas_complex_numIfES3_PS3_S4_NS0_7no_maskEEEv18rocblas_operation_iiT1_iilT2_iilT3_13rocblas_fill_17rocblas_diagonal_
                                        ; -- End function
	.section	.AMDGPU.csdata,"",@progbits
; Kernel info:
; codeLenInByte = 692
; NumSgprs: 28
; NumVgprs: 10
; NumAgprs: 0
; TotalNumVgprs: 10
; ScratchSize: 0
; MemoryBound: 0
; FloatMode: 240
; IeeeMode: 1
; LDSByteSize: 0 bytes/workgroup (compile time only)
; SGPRBlocks: 3
; VGPRBlocks: 1
; NumSGPRsForWavesPerEU: 28
; NumVGPRsForWavesPerEU: 10
; AccumOffset: 12
; Occupancy: 8
; WaveLimiterHint : 0
; COMPUTE_PGM_RSRC2:SCRATCH_EN: 0
; COMPUTE_PGM_RSRC2:USER_SGPR: 6
; COMPUTE_PGM_RSRC2:TRAP_HANDLER: 0
; COMPUTE_PGM_RSRC2:TGID_X_EN: 1
; COMPUTE_PGM_RSRC2:TGID_Y_EN: 1
; COMPUTE_PGM_RSRC2:TGID_Z_EN: 1
; COMPUTE_PGM_RSRC2:TIDIG_COMP_CNT: 1
; COMPUTE_PGM_RSRC3_GFX90A:ACCUM_OFFSET: 2
; COMPUTE_PGM_RSRC3_GFX90A:TG_SPLIT: 0
	.section	.text._ZN9rocsolver6v33100L16orgl2_init_identI19rocblas_complex_numIfEPS3_EEviiiT0_iil,"axG",@progbits,_ZN9rocsolver6v33100L16orgl2_init_identI19rocblas_complex_numIfEPS3_EEviiiT0_iil,comdat
	.globl	_ZN9rocsolver6v33100L16orgl2_init_identI19rocblas_complex_numIfEPS3_EEviiiT0_iil ; -- Begin function _ZN9rocsolver6v33100L16orgl2_init_identI19rocblas_complex_numIfEPS3_EEviiiT0_iil
	.p2align	8
	.type	_ZN9rocsolver6v33100L16orgl2_init_identI19rocblas_complex_numIfEPS3_EEviiiT0_iil,@function
_ZN9rocsolver6v33100L16orgl2_init_identI19rocblas_complex_numIfEPS3_EEviiiT0_iil: ; @_ZN9rocsolver6v33100L16orgl2_init_identI19rocblas_complex_numIfEPS3_EEviiiT0_iil
; %bb.0:
	s_load_dword s0, s[4:5], 0x34
	s_load_dwordx4 s[12:15], s[4:5], 0x0
	v_bfe_u32 v1, v0, 10, 10
	v_and_b32_e32 v0, 0x3ff, v0
	s_waitcnt lgkmcnt(0)
	s_lshr_b32 s1, s0, 16
	s_and_b32 s0, s0, 0xffff
	s_mul_i32 s7, s7, s1
	s_mul_i32 s6, s6, s0
	v_add_u32_e32 v2, s7, v1
	v_add_u32_e32 v4, s6, v0
	v_cmp_gt_u32_e32 vcc, s12, v4
	v_cmp_gt_u32_e64 s[0:1], s13, v2
	s_and_b64 s[0:1], vcc, s[0:1]
	s_and_saveexec_b64 s[2:3], s[0:1]
	s_cbranch_execz .LBB170_5
; %bb.1:
	s_load_dwordx4 s[0:3], s[4:5], 0x10
	s_load_dwordx2 s[6:7], s[4:5], 0x20
	v_cmp_ne_u32_e32 vcc, v4, v2
                                        ; implicit-def: $vgpr0_vgpr1
	s_waitcnt lgkmcnt(0)
	s_ashr_i32 s5, s2, 31
	s_mov_b32 s4, s2
	s_mul_i32 s2, s8, s7
	s_mul_hi_u32 s7, s8, s6
	s_add_i32 s7, s7, s2
	s_mul_i32 s6, s8, s6
	s_lshl_b64 s[6:7], s[6:7], 3
	s_add_u32 s2, s0, s6
	s_addc_u32 s6, s1, s7
	s_lshl_b64 s[0:1], s[4:5], 3
	s_add_u32 s2, s2, s0
	s_addc_u32 s10, s6, s1
	s_mov_b64 s[4:5], 0
	s_and_saveexec_b64 s[0:1], vcc
	s_xor_b64 s[0:1], exec, s[0:1]
	s_cbranch_execnz .LBB170_6
; %bb.2:
	s_andn2_saveexec_b64 s[0:1], s[0:1]
	s_cbranch_execnz .LBB170_13
.LBB170_3:
	s_or_b64 exec, exec, s[0:1]
	s_and_b64 exec, exec, s[4:5]
	s_cbranch_execz .LBB170_5
.LBB170_4:
	v_mov_b32_e32 v2, 0
	global_store_dword v[0:1], v2, off
.LBB170_5:
	s_endpgm
.LBB170_6:
	v_cmp_ge_u32_e32 vcc, v2, v4
                                        ; implicit-def: $vgpr0_vgpr1
	s_and_saveexec_b64 s[6:7], vcc
	s_xor_b64 s[6:7], exec, s[6:7]
	s_cbranch_execz .LBB170_10
; %bb.7:
	v_cmp_le_u32_e32 vcc, s14, v4
                                        ; implicit-def: $vgpr0_vgpr1
	s_and_saveexec_b64 s[8:9], vcc
	s_xor_b64 s[8:9], exec, s[8:9]
	s_cbranch_execz .LBB170_9
; %bb.8:
	v_mad_u64_u32 v[2:3], s[12:13], v2, s3, v[4:5]
	v_mov_b32_e32 v3, 0
	v_lshlrev_b64 v[0:1], 3, v[2:3]
	v_mov_b32_e32 v2, s10
	v_add_co_u32_e32 v4, vcc, s2, v0
	v_addc_co_u32_e32 v5, vcc, v2, v1, vcc
	v_add_co_u32_e32 v0, vcc, 4, v4
	s_mov_b64 s[4:5], exec
	v_addc_co_u32_e32 v1, vcc, 0, v5, vcc
	global_store_dword v[4:5], v3, off
.LBB170_9:
	s_or_b64 exec, exec, s[8:9]
	s_and_b64 s[4:5], s[4:5], exec
                                        ; implicit-def: $vgpr4
                                        ; implicit-def: $vgpr2
.LBB170_10:
	s_andn2_saveexec_b64 s[6:7], s[6:7]
	s_cbranch_execz .LBB170_12
; %bb.11:
	v_mad_u64_u32 v[0:1], s[8:9], v2, s3, v[4:5]
	v_mov_b32_e32 v1, 0
	v_lshlrev_b64 v[2:3], 3, v[0:1]
	v_mov_b32_e32 v0, s10
	v_add_co_u32_e32 v2, vcc, s2, v2
	v_addc_co_u32_e32 v3, vcc, v0, v3, vcc
	v_add_co_u32_e32 v0, vcc, 4, v2
	global_store_dword v[2:3], v1, off
	v_addc_co_u32_e32 v1, vcc, 0, v3, vcc
	s_or_b64 s[4:5], s[4:5], exec
.LBB170_12:
	s_or_b64 exec, exec, s[6:7]
	s_and_b64 s[4:5], s[4:5], exec
                                        ; implicit-def: $vgpr2
	s_andn2_saveexec_b64 s[0:1], s[0:1]
	s_cbranch_execz .LBB170_3
.LBB170_13:
	v_mad_u64_u32 v[0:1], s[6:7], v2, s3, v[2:3]
	v_mov_b32_e32 v1, 0
	v_lshlrev_b64 v[0:1], 3, v[0:1]
	v_mov_b32_e32 v2, s10
	v_add_co_u32_e32 v0, vcc, s2, v0
	v_addc_co_u32_e32 v1, vcc, v2, v1, vcc
	v_mov_b32_e32 v2, 1.0
	global_store_dword v[0:1], v2, off
	v_add_co_u32_e32 v0, vcc, 4, v0
	v_addc_co_u32_e32 v1, vcc, 0, v1, vcc
	s_or_b64 s[4:5], s[4:5], exec
	s_or_b64 exec, exec, s[0:1]
	s_and_b64 exec, exec, s[4:5]
	s_cbranch_execnz .LBB170_4
	s_branch .LBB170_5
	.section	.rodata,"a",@progbits
	.p2align	6, 0x0
	.amdhsa_kernel _ZN9rocsolver6v33100L16orgl2_init_identI19rocblas_complex_numIfEPS3_EEviiiT0_iil
		.amdhsa_group_segment_fixed_size 0
		.amdhsa_private_segment_fixed_size 0
		.amdhsa_kernarg_size 296
		.amdhsa_user_sgpr_count 6
		.amdhsa_user_sgpr_private_segment_buffer 1
		.amdhsa_user_sgpr_dispatch_ptr 0
		.amdhsa_user_sgpr_queue_ptr 0
		.amdhsa_user_sgpr_kernarg_segment_ptr 1
		.amdhsa_user_sgpr_dispatch_id 0
		.amdhsa_user_sgpr_flat_scratch_init 0
		.amdhsa_user_sgpr_kernarg_preload_length 0
		.amdhsa_user_sgpr_kernarg_preload_offset 0
		.amdhsa_user_sgpr_private_segment_size 0
		.amdhsa_uses_dynamic_stack 0
		.amdhsa_system_sgpr_private_segment_wavefront_offset 0
		.amdhsa_system_sgpr_workgroup_id_x 1
		.amdhsa_system_sgpr_workgroup_id_y 1
		.amdhsa_system_sgpr_workgroup_id_z 1
		.amdhsa_system_sgpr_workgroup_info 0
		.amdhsa_system_vgpr_workitem_id 1
		.amdhsa_next_free_vgpr 6
		.amdhsa_next_free_sgpr 16
		.amdhsa_accum_offset 8
		.amdhsa_reserve_vcc 1
		.amdhsa_reserve_flat_scratch 0
		.amdhsa_float_round_mode_32 0
		.amdhsa_float_round_mode_16_64 0
		.amdhsa_float_denorm_mode_32 3
		.amdhsa_float_denorm_mode_16_64 3
		.amdhsa_dx10_clamp 1
		.amdhsa_ieee_mode 1
		.amdhsa_fp16_overflow 0
		.amdhsa_tg_split 0
		.amdhsa_exception_fp_ieee_invalid_op 0
		.amdhsa_exception_fp_denorm_src 0
		.amdhsa_exception_fp_ieee_div_zero 0
		.amdhsa_exception_fp_ieee_overflow 0
		.amdhsa_exception_fp_ieee_underflow 0
		.amdhsa_exception_fp_ieee_inexact 0
		.amdhsa_exception_int_div_zero 0
	.end_amdhsa_kernel
	.section	.text._ZN9rocsolver6v33100L16orgl2_init_identI19rocblas_complex_numIfEPS3_EEviiiT0_iil,"axG",@progbits,_ZN9rocsolver6v33100L16orgl2_init_identI19rocblas_complex_numIfEPS3_EEviiiT0_iil,comdat
.Lfunc_end170:
	.size	_ZN9rocsolver6v33100L16orgl2_init_identI19rocblas_complex_numIfEPS3_EEviiiT0_iil, .Lfunc_end170-_ZN9rocsolver6v33100L16orgl2_init_identI19rocblas_complex_numIfEPS3_EEviiiT0_iil
                                        ; -- End function
	.section	.AMDGPU.csdata,"",@progbits
; Kernel info:
; codeLenInByte = 452
; NumSgprs: 20
; NumVgprs: 6
; NumAgprs: 0
; TotalNumVgprs: 6
; ScratchSize: 0
; MemoryBound: 0
; FloatMode: 240
; IeeeMode: 1
; LDSByteSize: 0 bytes/workgroup (compile time only)
; SGPRBlocks: 2
; VGPRBlocks: 0
; NumSGPRsForWavesPerEU: 20
; NumVGPRsForWavesPerEU: 6
; AccumOffset: 8
; Occupancy: 8
; WaveLimiterHint : 0
; COMPUTE_PGM_RSRC2:SCRATCH_EN: 0
; COMPUTE_PGM_RSRC2:USER_SGPR: 6
; COMPUTE_PGM_RSRC2:TRAP_HANDLER: 0
; COMPUTE_PGM_RSRC2:TGID_X_EN: 1
; COMPUTE_PGM_RSRC2:TGID_Y_EN: 1
; COMPUTE_PGM_RSRC2:TGID_Z_EN: 1
; COMPUTE_PGM_RSRC2:TIDIG_COMP_CNT: 1
; COMPUTE_PGM_RSRC3_GFX90A:ACCUM_OFFSET: 1
; COMPUTE_PGM_RSRC3_GFX90A:TG_SPLIT: 0
	.section	.text._ZN9rocsolver6v33100L6iota_nI19rocblas_complex_numIdEEEvPT_jS4_,"axG",@progbits,_ZN9rocsolver6v33100L6iota_nI19rocblas_complex_numIdEEEvPT_jS4_,comdat
	.globl	_ZN9rocsolver6v33100L6iota_nI19rocblas_complex_numIdEEEvPT_jS4_ ; -- Begin function _ZN9rocsolver6v33100L6iota_nI19rocblas_complex_numIdEEEvPT_jS4_
	.p2align	8
	.type	_ZN9rocsolver6v33100L6iota_nI19rocblas_complex_numIdEEEvPT_jS4_,@function
_ZN9rocsolver6v33100L6iota_nI19rocblas_complex_numIdEEEvPT_jS4_: ; @_ZN9rocsolver6v33100L6iota_nI19rocblas_complex_numIdEEEvPT_jS4_
; %bb.0:
	s_load_dword s0, s[4:5], 0x8
	s_waitcnt lgkmcnt(0)
	v_cmp_gt_u32_e32 vcc, s0, v0
	s_and_saveexec_b64 s[0:1], vcc
	s_cbranch_execz .LBB171_2
; %bb.1:
	s_load_dwordx4 s[0:3], s[4:5], 0x10
	s_load_dwordx2 s[6:7], s[4:5], 0x0
	v_lshlrev_b32_e32 v4, 4, v0
	v_cvt_f64_u32_e32 v[0:1], v0
	s_waitcnt lgkmcnt(0)
	v_add_f64 v[2:3], s[2:3], 0
	v_add_f64 v[0:1], s[0:1], v[0:1]
	global_store_dwordx4 v4, v[0:3], s[6:7]
.LBB171_2:
	s_endpgm
	.section	.rodata,"a",@progbits
	.p2align	6, 0x0
	.amdhsa_kernel _ZN9rocsolver6v33100L6iota_nI19rocblas_complex_numIdEEEvPT_jS4_
		.amdhsa_group_segment_fixed_size 0
		.amdhsa_private_segment_fixed_size 0
		.amdhsa_kernarg_size 32
		.amdhsa_user_sgpr_count 6
		.amdhsa_user_sgpr_private_segment_buffer 1
		.amdhsa_user_sgpr_dispatch_ptr 0
		.amdhsa_user_sgpr_queue_ptr 0
		.amdhsa_user_sgpr_kernarg_segment_ptr 1
		.amdhsa_user_sgpr_dispatch_id 0
		.amdhsa_user_sgpr_flat_scratch_init 0
		.amdhsa_user_sgpr_kernarg_preload_length 0
		.amdhsa_user_sgpr_kernarg_preload_offset 0
		.amdhsa_user_sgpr_private_segment_size 0
		.amdhsa_uses_dynamic_stack 0
		.amdhsa_system_sgpr_private_segment_wavefront_offset 0
		.amdhsa_system_sgpr_workgroup_id_x 1
		.amdhsa_system_sgpr_workgroup_id_y 0
		.amdhsa_system_sgpr_workgroup_id_z 0
		.amdhsa_system_sgpr_workgroup_info 0
		.amdhsa_system_vgpr_workitem_id 0
		.amdhsa_next_free_vgpr 5
		.amdhsa_next_free_sgpr 8
		.amdhsa_accum_offset 8
		.amdhsa_reserve_vcc 1
		.amdhsa_reserve_flat_scratch 0
		.amdhsa_float_round_mode_32 0
		.amdhsa_float_round_mode_16_64 0
		.amdhsa_float_denorm_mode_32 3
		.amdhsa_float_denorm_mode_16_64 3
		.amdhsa_dx10_clamp 1
		.amdhsa_ieee_mode 1
		.amdhsa_fp16_overflow 0
		.amdhsa_tg_split 0
		.amdhsa_exception_fp_ieee_invalid_op 0
		.amdhsa_exception_fp_denorm_src 0
		.amdhsa_exception_fp_ieee_div_zero 0
		.amdhsa_exception_fp_ieee_overflow 0
		.amdhsa_exception_fp_ieee_underflow 0
		.amdhsa_exception_fp_ieee_inexact 0
		.amdhsa_exception_int_div_zero 0
	.end_amdhsa_kernel
	.section	.text._ZN9rocsolver6v33100L6iota_nI19rocblas_complex_numIdEEEvPT_jS4_,"axG",@progbits,_ZN9rocsolver6v33100L6iota_nI19rocblas_complex_numIdEEEvPT_jS4_,comdat
.Lfunc_end171:
	.size	_ZN9rocsolver6v33100L6iota_nI19rocblas_complex_numIdEEEvPT_jS4_, .Lfunc_end171-_ZN9rocsolver6v33100L6iota_nI19rocblas_complex_numIdEEEvPT_jS4_
                                        ; -- End function
	.section	.AMDGPU.csdata,"",@progbits
; Kernel info:
; codeLenInByte = 80
; NumSgprs: 12
; NumVgprs: 5
; NumAgprs: 0
; TotalNumVgprs: 5
; ScratchSize: 0
; MemoryBound: 0
; FloatMode: 240
; IeeeMode: 1
; LDSByteSize: 0 bytes/workgroup (compile time only)
; SGPRBlocks: 1
; VGPRBlocks: 0
; NumSGPRsForWavesPerEU: 12
; NumVGPRsForWavesPerEU: 5
; AccumOffset: 8
; Occupancy: 8
; WaveLimiterHint : 0
; COMPUTE_PGM_RSRC2:SCRATCH_EN: 0
; COMPUTE_PGM_RSRC2:USER_SGPR: 6
; COMPUTE_PGM_RSRC2:TRAP_HANDLER: 0
; COMPUTE_PGM_RSRC2:TGID_X_EN: 1
; COMPUTE_PGM_RSRC2:TGID_Y_EN: 0
; COMPUTE_PGM_RSRC2:TGID_Z_EN: 0
; COMPUTE_PGM_RSRC2:TIDIG_COMP_CNT: 0
; COMPUTE_PGM_RSRC3_GFX90A:ACCUM_OFFSET: 1
; COMPUTE_PGM_RSRC3_GFX90A:TG_SPLIT: 0
	.section	.text._ZN9rocsolver6v33100L16syev_scalar_caseI19rocblas_complex_numIdEdPS3_TnNSt9enable_ifIX18rocblas_is_complexIT_EEiE4typeELi0EEEv14rocblas_evect_T1_lPT0_li,"axG",@progbits,_ZN9rocsolver6v33100L16syev_scalar_caseI19rocblas_complex_numIdEdPS3_TnNSt9enable_ifIX18rocblas_is_complexIT_EEiE4typeELi0EEEv14rocblas_evect_T1_lPT0_li,comdat
	.globl	_ZN9rocsolver6v33100L16syev_scalar_caseI19rocblas_complex_numIdEdPS3_TnNSt9enable_ifIX18rocblas_is_complexIT_EEiE4typeELi0EEEv14rocblas_evect_T1_lPT0_li ; -- Begin function _ZN9rocsolver6v33100L16syev_scalar_caseI19rocblas_complex_numIdEdPS3_TnNSt9enable_ifIX18rocblas_is_complexIT_EEiE4typeELi0EEEv14rocblas_evect_T1_lPT0_li
	.p2align	8
	.type	_ZN9rocsolver6v33100L16syev_scalar_caseI19rocblas_complex_numIdEdPS3_TnNSt9enable_ifIX18rocblas_is_complexIT_EEiE4typeELi0EEEv14rocblas_evect_T1_lPT0_li,@function
_ZN9rocsolver6v33100L16syev_scalar_caseI19rocblas_complex_numIdEdPS3_TnNSt9enable_ifIX18rocblas_is_complexIT_EEiE4typeELi0EEEv14rocblas_evect_T1_lPT0_li: ; @_ZN9rocsolver6v33100L16syev_scalar_caseI19rocblas_complex_numIdEdPS3_TnNSt9enable_ifIX18rocblas_is_complexIT_EEiE4typeELi0EEEv14rocblas_evect_T1_lPT0_li
; %bb.0:
	s_load_dword s0, s[4:5], 0x3c
	s_load_dword s1, s[4:5], 0x28
	s_waitcnt lgkmcnt(0)
	s_and_b32 s0, s0, 0xffff
	s_mul_i32 s6, s6, s0
	v_add_u32_e32 v2, s6, v0
	v_cmp_gt_i32_e32 vcc, s1, v2
	s_and_saveexec_b64 s[0:1], vcc
	s_cbranch_execz .LBB172_3
; %bb.1:
	s_load_dwordx8 s[8:15], s[4:5], 0x8
	v_ashrrev_i32_e32 v3, 31, v2
	s_load_dword s2, s[4:5], 0x0
	s_waitcnt lgkmcnt(0)
	v_mul_lo_u32 v4, v2, s11
	v_mul_lo_u32 v5, v3, s10
	v_mad_u64_u32 v[0:1], s[0:1], v2, s10, 0
	v_add3_u32 v1, v1, v4, v5
	v_lshlrev_b64 v[0:1], 4, v[0:1]
	v_mov_b32_e32 v4, s9
	v_add_co_u32_e32 v0, vcc, s8, v0
	v_addc_co_u32_e32 v1, vcc, v4, v1, vcc
	global_load_dwordx2 v[4:5], v[0:1], off
	v_mul_lo_u32 v6, v2, s15
	v_mul_lo_u32 v7, v3, s14
	v_mad_u64_u32 v[2:3], s[0:1], v2, s14, 0
	v_add3_u32 v3, v3, v6, v7
	v_lshlrev_b64 v[2:3], 3, v[2:3]
	v_mov_b32_e32 v6, s13
	v_add_co_u32_e32 v2, vcc, s12, v2
	v_addc_co_u32_e32 v3, vcc, v6, v3, vcc
	s_cmpk_lg_i32 s2, 0xd3
	s_waitcnt vmcnt(0)
	global_store_dwordx2 v[2:3], v[4:5], off
	s_cbranch_scc1 .LBB172_3
; %bb.2:
	v_mov_b32_e32 v2, 0
	v_mov_b32_e32 v3, 0x3ff00000
	;; [unrolled: 1-line block ×4, first 2 shown]
	global_store_dwordx4 v[0:1], v[2:5], off
.LBB172_3:
	s_endpgm
	.section	.rodata,"a",@progbits
	.p2align	6, 0x0
	.amdhsa_kernel _ZN9rocsolver6v33100L16syev_scalar_caseI19rocblas_complex_numIdEdPS3_TnNSt9enable_ifIX18rocblas_is_complexIT_EEiE4typeELi0EEEv14rocblas_evect_T1_lPT0_li
		.amdhsa_group_segment_fixed_size 0
		.amdhsa_private_segment_fixed_size 0
		.amdhsa_kernarg_size 304
		.amdhsa_user_sgpr_count 6
		.amdhsa_user_sgpr_private_segment_buffer 1
		.amdhsa_user_sgpr_dispatch_ptr 0
		.amdhsa_user_sgpr_queue_ptr 0
		.amdhsa_user_sgpr_kernarg_segment_ptr 1
		.amdhsa_user_sgpr_dispatch_id 0
		.amdhsa_user_sgpr_flat_scratch_init 0
		.amdhsa_user_sgpr_kernarg_preload_length 0
		.amdhsa_user_sgpr_kernarg_preload_offset 0
		.amdhsa_user_sgpr_private_segment_size 0
		.amdhsa_uses_dynamic_stack 0
		.amdhsa_system_sgpr_private_segment_wavefront_offset 0
		.amdhsa_system_sgpr_workgroup_id_x 1
		.amdhsa_system_sgpr_workgroup_id_y 0
		.amdhsa_system_sgpr_workgroup_id_z 0
		.amdhsa_system_sgpr_workgroup_info 0
		.amdhsa_system_vgpr_workitem_id 0
		.amdhsa_next_free_vgpr 8
		.amdhsa_next_free_sgpr 16
		.amdhsa_accum_offset 8
		.amdhsa_reserve_vcc 1
		.amdhsa_reserve_flat_scratch 0
		.amdhsa_float_round_mode_32 0
		.amdhsa_float_round_mode_16_64 0
		.amdhsa_float_denorm_mode_32 3
		.amdhsa_float_denorm_mode_16_64 3
		.amdhsa_dx10_clamp 1
		.amdhsa_ieee_mode 1
		.amdhsa_fp16_overflow 0
		.amdhsa_tg_split 0
		.amdhsa_exception_fp_ieee_invalid_op 0
		.amdhsa_exception_fp_denorm_src 0
		.amdhsa_exception_fp_ieee_div_zero 0
		.amdhsa_exception_fp_ieee_overflow 0
		.amdhsa_exception_fp_ieee_underflow 0
		.amdhsa_exception_fp_ieee_inexact 0
		.amdhsa_exception_int_div_zero 0
	.end_amdhsa_kernel
	.section	.text._ZN9rocsolver6v33100L16syev_scalar_caseI19rocblas_complex_numIdEdPS3_TnNSt9enable_ifIX18rocblas_is_complexIT_EEiE4typeELi0EEEv14rocblas_evect_T1_lPT0_li,"axG",@progbits,_ZN9rocsolver6v33100L16syev_scalar_caseI19rocblas_complex_numIdEdPS3_TnNSt9enable_ifIX18rocblas_is_complexIT_EEiE4typeELi0EEEv14rocblas_evect_T1_lPT0_li,comdat
.Lfunc_end172:
	.size	_ZN9rocsolver6v33100L16syev_scalar_caseI19rocblas_complex_numIdEdPS3_TnNSt9enable_ifIX18rocblas_is_complexIT_EEiE4typeELi0EEEv14rocblas_evect_T1_lPT0_li, .Lfunc_end172-_ZN9rocsolver6v33100L16syev_scalar_caseI19rocblas_complex_numIdEdPS3_TnNSt9enable_ifIX18rocblas_is_complexIT_EEiE4typeELi0EEEv14rocblas_evect_T1_lPT0_li
                                        ; -- End function
	.section	.AMDGPU.csdata,"",@progbits
; Kernel info:
; codeLenInByte = 236
; NumSgprs: 20
; NumVgprs: 8
; NumAgprs: 0
; TotalNumVgprs: 8
; ScratchSize: 0
; MemoryBound: 0
; FloatMode: 240
; IeeeMode: 1
; LDSByteSize: 0 bytes/workgroup (compile time only)
; SGPRBlocks: 2
; VGPRBlocks: 0
; NumSGPRsForWavesPerEU: 20
; NumVGPRsForWavesPerEU: 8
; AccumOffset: 8
; Occupancy: 8
; WaveLimiterHint : 0
; COMPUTE_PGM_RSRC2:SCRATCH_EN: 0
; COMPUTE_PGM_RSRC2:USER_SGPR: 6
; COMPUTE_PGM_RSRC2:TRAP_HANDLER: 0
; COMPUTE_PGM_RSRC2:TGID_X_EN: 1
; COMPUTE_PGM_RSRC2:TGID_Y_EN: 0
; COMPUTE_PGM_RSRC2:TGID_Z_EN: 0
; COMPUTE_PGM_RSRC2:TIDIG_COMP_CNT: 0
; COMPUTE_PGM_RSRC3_GFX90A:ACCUM_OFFSET: 1
; COMPUTE_PGM_RSRC3_GFX90A:TG_SPLIT: 0
	.section	.text._ZN9rocsolver6v33100L24sytd2_lower_kernel_smallILi256E19rocblas_complex_numIdEidPS3_EEvT1_T3_lS5_lPT2_lS8_lPT0_l,"axG",@progbits,_ZN9rocsolver6v33100L24sytd2_lower_kernel_smallILi256E19rocblas_complex_numIdEidPS3_EEvT1_T3_lS5_lPT2_lS8_lPT0_l,comdat
	.globl	_ZN9rocsolver6v33100L24sytd2_lower_kernel_smallILi256E19rocblas_complex_numIdEidPS3_EEvT1_T3_lS5_lPT2_lS8_lPT0_l ; -- Begin function _ZN9rocsolver6v33100L24sytd2_lower_kernel_smallILi256E19rocblas_complex_numIdEidPS3_EEvT1_T3_lS5_lPT2_lS8_lPT0_l
	.p2align	8
	.type	_ZN9rocsolver6v33100L24sytd2_lower_kernel_smallILi256E19rocblas_complex_numIdEidPS3_EEvT1_T3_lS5_lPT2_lS8_lPT0_l,@function
_ZN9rocsolver6v33100L24sytd2_lower_kernel_smallILi256E19rocblas_complex_numIdEidPS3_EEvT1_T3_lS5_lPT2_lS8_lPT0_l: ; @_ZN9rocsolver6v33100L24sytd2_lower_kernel_smallILi256E19rocblas_complex_numIdEidPS3_EEvT1_T3_lS5_lPT2_lS8_lPT0_l
; %bb.0:
	s_load_dwordx2 s[8:9], s[4:5], 0x20
	s_load_dword s33, s[4:5], 0x0
	s_load_dwordx4 s[0:3], s[4:5], 0x8
	s_load_dword s38, s[4:5], 0x18
	s_ashr_i32 s6, s7, 31
	s_waitcnt lgkmcnt(0)
	s_mul_i32 s9, s7, s9
	s_mul_hi_u32 s10, s7, s8
	s_add_i32 s9, s10, s9
	s_mul_i32 s10, s6, s8
	s_add_i32 s9, s9, s10
	s_mul_i32 s8, s7, s8
	s_lshl_b64 s[8:9], s[8:9], 4
	s_add_u32 s8, s0, s8
	s_addc_u32 s9, s1, s9
	s_lshl_b64 s[0:1], s[2:3], 4
	s_add_u32 s36, s8, s0
	v_and_b32_e32 v6, 0x7f, v0
	s_addc_u32 s37, s9, s1
	v_cmp_gt_i32_e64 s[0:1], s33, v6
	v_lshrrev_b32_e32 v7, 7, v0
	v_lshlrev_b32_e32 v18, 4, v6
	s_and_saveexec_b64 s[8:9], s[0:1]
	s_cbranch_execz .LBB173_6
; %bb.1:
	v_lshrrev_b32_e32 v1, 7, v0
	v_mul_lo_u32 v2, s33, v1
	v_lshl_add_u32 v2, v2, 4, v18
	v_add3_u32 v8, v2, 0, 16
	v_mad_u64_u32 v[2:3], s[2:3], s38, v1, v[6:7]
	v_cmp_gt_u32_e32 vcc, s33, v1
	s_lshl_b32 s16, s33, 5
	s_lshl_b32 s17, s38, 1
	s_mov_b64 s[10:11], 0
	v_mov_b32_e32 v3, v6
	s_branch .LBB173_3
.LBB173_2:                              ;   in Loop: Header=BB173_3 Depth=1
	s_or_b64 exec, exec, s[12:13]
	v_add_u32_e32 v3, 0x80, v3
	v_cmp_le_i32_e64 s[2:3], s33, v3
	v_add_u32_e32 v8, 0x800, v8
	s_or_b64 s[10:11], s[2:3], s[10:11]
	v_add_u32_e32 v2, 0x80, v2
	s_andn2_b64 exec, exec, s[10:11]
	s_cbranch_execz .LBB173_6
.LBB173_3:                              ; =>This Loop Header: Depth=1
                                        ;     Child Loop BB173_5 Depth 2
	s_and_saveexec_b64 s[12:13], vcc
	s_cbranch_execz .LBB173_2
; %bb.4:                                ;   in Loop: Header=BB173_3 Depth=1
	s_mov_b64 s[14:15], 0
	v_mov_b32_e32 v4, v2
	v_mov_b32_e32 v9, v8
	;; [unrolled: 1-line block ×3, first 2 shown]
.LBB173_5:                              ;   Parent Loop BB173_3 Depth=1
                                        ; =>  This Inner Loop Header: Depth=2
	v_ashrrev_i32_e32 v5, 31, v4
	v_lshlrev_b64 v[12:13], 4, v[4:5]
	v_mov_b32_e32 v11, s37
	v_add_co_u32_e64 v12, s[2:3], s36, v12
	v_addc_co_u32_e64 v13, s[2:3], v11, v13, s[2:3]
	global_load_dwordx4 v[12:15], v[12:13], off
	v_add_u32_e32 v10, 2, v10
	v_cmp_le_i32_e64 s[2:3], s33, v10
	v_add_u32_e32 v4, s17, v4
	s_or_b64 s[14:15], s[2:3], s[14:15]
	s_waitcnt vmcnt(0)
	ds_write2_b64 v9, v[12:13], v[14:15] offset1:1
	v_add_u32_e32 v9, s16, v9
	s_andn2_b64 exec, exec, s[14:15]
	s_cbranch_execnz .LBB173_5
	s_branch .LBB173_2
.LBB173_6:
	s_or_b64 exec, exec, s[8:9]
	s_waitcnt lgkmcnt(0)
	s_barrier
	s_and_saveexec_b64 s[8:9], s[0:1]
	s_cbranch_execz .LBB173_16
; %bb.7:
	v_lshrrev_b32_e32 v1, 7, v0
	v_mul_lo_u32 v2, s33, v6
	v_lshlrev_b32_e32 v3, 4, v1
	v_lshl_add_u32 v2, v2, 4, v3
	v_add3_u32 v4, v2, 0, 16
	v_mul_lo_u32 v2, s33, v1
	v_lshl_add_u32 v2, v2, 4, v18
	v_cmp_gt_u32_e32 vcc, s33, v1
	s_lshl_b32 s18, s33, 11
	v_add3_u32 v5, v2, 0, 16
	s_lshl_b32 s19, s33, 5
	s_mov_b64 s[10:11], 0
	v_mov_b32_e32 v2, 0
	v_mov_b32_e32 v8, v6
	s_branch .LBB173_9
.LBB173_8:                              ;   in Loop: Header=BB173_9 Depth=1
	s_or_b64 exec, exec, s[12:13]
	v_add_u32_e32 v8, 0x80, v8
	v_cmp_le_i32_e64 s[2:3], s33, v8
	v_add_u32_e32 v4, s18, v4
	s_or_b64 s[10:11], s[2:3], s[10:11]
	v_add_u32_e32 v5, 0x800, v5
	s_andn2_b64 exec, exec, s[10:11]
	s_cbranch_execz .LBB173_16
.LBB173_9:                              ; =>This Loop Header: Depth=1
                                        ;     Child Loop BB173_12 Depth 2
	s_and_saveexec_b64 s[12:13], vcc
	s_cbranch_execz .LBB173_8
; %bb.10:                               ;   in Loop: Header=BB173_9 Depth=1
	v_mul_lo_u32 v9, v8, s33
	v_lshl_add_u32 v3, v8, 4, 0
	v_lshlrev_b32_e32 v9, 4, v9
	v_add3_u32 v9, v3, v9, 8
	s_mov_b64 s[14:15], 0
	v_mov_b32_e32 v10, v5
	v_mov_b32_e32 v11, v4
	;; [unrolled: 1-line block ×3, first 2 shown]
	s_branch .LBB173_12
.LBB173_11:                             ;   in Loop: Header=BB173_12 Depth=2
	s_or_b64 exec, exec, s[16:17]
	v_add_u32_e32 v12, 2, v12
	v_cmp_le_i32_e64 s[2:3], s33, v12
	v_add_u32_e32 v11, 32, v11
	s_or_b64 s[14:15], s[2:3], s[14:15]
	v_add_u32_e32 v10, s19, v10
	s_andn2_b64 exec, exec, s[14:15]
	s_cbranch_execz .LBB173_8
.LBB173_12:                             ;   Parent Loop BB173_9 Depth=1
                                        ; =>  This Inner Loop Header: Depth=2
	v_cmp_eq_u32_e64 s[2:3], v8, v12
	s_and_saveexec_b64 s[16:17], s[2:3]
	s_cbranch_execz .LBB173_14
; %bb.13:                               ;   in Loop: Header=BB173_12 Depth=2
	v_mov_b32_e32 v3, v2
	ds_write_b64 v9, v[2:3] offset:16
.LBB173_14:                             ;   in Loop: Header=BB173_12 Depth=2
	s_or_b64 exec, exec, s[16:17]
	v_cmp_lt_u32_e64 s[2:3], v8, v12
	s_and_saveexec_b64 s[16:17], s[2:3]
	s_cbranch_execz .LBB173_11
; %bb.15:                               ;   in Loop: Header=BB173_12 Depth=2
	ds_read2_b64 v[14:17], v11 offset1:1
	s_waitcnt lgkmcnt(0)
	v_xor_b32_e32 v17, 0x80000000, v17
	ds_write2_b64 v10, v[14:15], v[16:17] offset1:1
	s_branch .LBB173_11
.LBB173_16:
	s_or_b64 exec, exec, s[8:9]
	s_cmp_lt_i32 s33, 2
	s_waitcnt lgkmcnt(0)
	s_barrier
	s_cbranch_scc1 .LBB173_66
; %bb.17:
	s_load_dwordx8 s[8:15], s[4:5], 0x38
	v_mbcnt_lo_u32_b32 v1, -1, 0
	v_mbcnt_hi_u32_b32 v2, -1, v1
	v_and_b32_e32 v3, 63, v2
	v_cmp_ne_u32_e32 vcc, 63, v3
	s_waitcnt lgkmcnt(0)
	s_mul_i32 s3, s7, s11
	s_mul_hi_u32 s4, s7, s10
	s_mul_i32 s5, s6, s10
	s_add_i32 s3, s4, s3
	s_mul_i32 s2, s7, s10
	s_add_i32 s3, s3, s5
	s_lshl_b64 s[2:3], s[2:3], 3
	v_addc_co_u32_e32 v1, vcc, 0, v2, vcc
	s_mul_i32 s10, s7, s15
	s_add_u32 s39, s8, s2
	s_mul_hi_u32 s2, s7, s14
	v_cmp_gt_u32_e32 vcc, 62, v3
	s_addc_u32 s40, s9, s3
	s_add_i32 s2, s2, s10
	s_mul_i32 s3, s6, s14
	v_cndmask_b32_e64 v4, 0, 1, vcc
	s_add_i32 s3, s2, s3
	s_mul_i32 s2, s7, s14
	v_lshlrev_b32_e32 v4, 1, v4
	v_cmp_gt_u32_e32 vcc, 60, v3
	s_lshl_b64 s[2:3], s[2:3], 4
	v_add_lshl_u32 v19, v4, v2, 2
	v_cndmask_b32_e64 v4, 0, 1, vcc
	s_add_u32 s41, s12, s2
	s_mul_i32 s2, s33, s33
	v_lshlrev_b32_e32 v4, 2, v4
	v_cmp_gt_u32_e32 vcc, 56, v3
	s_addc_u32 s42, s13, s3
	s_lshl_b32 s2, s2, 4
	v_add_lshl_u32 v20, v4, v2, 2
	v_cndmask_b32_e64 v4, 0, 1, vcc
	s_add_i32 s6, s2, 0
	s_lshl_b32 s44, s33, 4
	v_lshlrev_b32_e32 v4, 3, v4
	v_cmp_gt_u32_e32 vcc, 48, v3
	s_add_i32 s47, s6, s44
	v_add_lshl_u32 v21, v4, v2, 2
	v_cndmask_b32_e64 v4, 0, 1, vcc
	v_cmp_gt_u32_e32 vcc, 32, v3
	s_add_i32 s43, s6, 16
	s_add_i32 s45, s47, s44
	v_cndmask_b32_e64 v3, 0, 1, vcc
	v_lshlrev_b32_e32 v3, 5, v3
	s_cmp_eq_u64 s[8:9], 0
	v_lshlrev_b32_e32 v4, 4, v4
	v_add_lshl_u32 v23, v3, v2, 2
	s_cselect_b64 s[12:13], -1, 0
	s_cmp_lg_u64 s[8:9], 0
	v_lshlrev_b32_e32 v3, 4, v0
	v_add_lshl_u32 v22, v4, v2, 2
	s_cselect_b64 s[14:15], -1, 0
	v_add_u32_e32 v4, s6, v3
	v_add_u32_e32 v5, 32, v3
	s_add_i32 s48, s44, 16
	s_add_i32 s6, s44, 0
	v_and_b32_e32 v2, 63, v0
	v_add_u32_e32 v27, s6, v5
	s_mul_i32 s6, s33, s48
	s_mov_b32 s11, 0
	v_cmp_eq_u32_e64 s[2:3], 0, v2
	v_lshrrev_b32_e32 v2, 2, v0
	s_add_i32 s6, s6, 0
	s_mov_b32 s16, 0
	v_lshlrev_b32_e32 v1, 2, v1
	v_cmp_eq_u32_e64 s[4:5], 0, v0
	s_add_i32 s46, s33, -2
	s_add_i32 s47, s47, 16
	v_add_u32_e32 v24, 16, v4
	v_add_u32_e32 v25, 0, v5
	v_add_u32_e32 v26, 32, v4
	v_add3_u32 v28, s6, v3, 16
	s_brev_b32 s17, 8
	v_mov_b32_e32 v29, 0x260
	v_mov_b32_e32 v8, 0
	v_add_u32_e32 v30, s45, v2
	v_mov_b32_e32 v31, 0xffffff80
	s_mov_b32 s10, s11
	s_branch .LBB173_19
.LBB173_18:                             ;   in Loop: Header=BB173_19 Depth=1
	s_or_b64 exec, exec, s[8:9]
	s_add_i32 s6, s10, 1
	v_add_u32_e32 v25, s48, v25
	v_add_u32_e32 v27, s48, v27
	s_cmp_eq_u32 s10, s46
	s_mov_b32 s10, s6
	s_waitcnt lgkmcnt(0)
	s_barrier
	s_cbranch_scc1 .LBB173_66
.LBB173_19:                             ; =>This Loop Header: Depth=1
                                        ;     Child Loop BB173_21 Depth 2
                                        ;     Child Loop BB173_24 Depth 2
	;; [unrolled: 1-line block ×4, first 2 shown]
                                        ;       Child Loop BB173_46 Depth 3
                                        ;     Child Loop BB173_49 Depth 2
                                        ;     Child Loop BB173_52 Depth 2
	;; [unrolled: 1-line block ×4, first 2 shown]
                                        ;       Child Loop BB173_64 Depth 3
	s_not_b32 s49, s10
	s_add_i32 s49, s49, s33
	v_cmp_gt_i32_e64 s[6:7], s49, v0
	s_and_saveexec_b64 s[8:9], s[6:7]
	s_cbranch_execz .LBB173_22
; %bb.20:                               ;   in Loop: Header=BB173_19 Depth=1
	s_mov_b64 s[18:19], 0
	v_mov_b32_e32 v2, v25
	v_mov_b32_e32 v3, v24
	;; [unrolled: 1-line block ×3, first 2 shown]
.LBB173_21:                             ;   Parent Loop BB173_19 Depth=1
                                        ; =>  This Inner Loop Header: Depth=2
	ds_read2_b64 v[10:13], v2 offset1:1
	v_add_u32_e32 v4, 0x100, v4
	v_cmp_le_i32_e32 vcc, s49, v4
	v_add_u32_e32 v2, 0x1000, v2
	s_or_b64 s[18:19], vcc, s[18:19]
	s_waitcnt lgkmcnt(0)
	ds_write2_b64 v3, v[10:11], v[12:13] offset1:1
	v_add_u32_e32 v3, 0x1000, v3
	s_andn2_b64 exec, exec, s[18:19]
	s_cbranch_execnz .LBB173_21
.LBB173_22:                             ;   in Loop: Header=BB173_19 Depth=1
	s_or_b64 exec, exec, s[8:9]
	s_add_i32 s50, s49, -1
	v_pk_mov_b32 v[2:3], 0, 0
	v_cmp_gt_i32_e64 s[8:9], s50, v0
	v_pk_mov_b32 v[4:5], v[2:3], v[2:3] op_sel:[0,1]
	s_waitcnt lgkmcnt(0)
	s_barrier
	s_and_saveexec_b64 s[18:19], s[8:9]
	s_cbranch_execz .LBB173_26
; %bb.23:                               ;   in Loop: Header=BB173_19 Depth=1
	v_pk_mov_b32 v[2:3], 0, 0
	s_mov_b64 s[20:21], 0
	v_mov_b32_e32 v9, v26
	v_mov_b32_e32 v10, v0
	v_pk_mov_b32 v[4:5], v[2:3], v[2:3] op_sel:[0,1]
.LBB173_24:                             ;   Parent Loop BB173_19 Depth=1
                                        ; =>  This Inner Loop Header: Depth=2
	ds_read2_b64 v[12:15], v9 offset1:1
	v_add_u32_e32 v10, 0x100, v10
	v_cmp_le_i32_e32 vcc, s50, v10
	v_add_u32_e32 v9, 0x1000, v9
	s_or_b64 s[20:21], vcc, s[20:21]
	s_waitcnt lgkmcnt(0)
	v_mul_f64 v[16:17], v[14:15], v[14:15]
	v_mul_f64 v[32:33], v[12:13], v[14:15]
	v_fmac_f64_e32 v[16:17], v[12:13], v[12:13]
	v_fma_f64 v[12:13], v[12:13], v[14:15], -v[32:33]
	v_add_f64 v[4:5], v[4:5], v[16:17]
	v_add_f64 v[2:3], v[2:3], v[12:13]
	s_andn2_b64 exec, exec, s[20:21]
	s_cbranch_execnz .LBB173_24
; %bb.25:                               ;   in Loop: Header=BB173_19 Depth=1
	s_or_b64 exec, exec, s[20:21]
.LBB173_26:                             ;   in Loop: Header=BB173_19 Depth=1
	s_or_b64 exec, exec, s[18:19]
	ds_bpermute_b32 v10, v1, v4
	ds_bpermute_b32 v11, v1, v5
	;; [unrolled: 1-line block ×4, first 2 shown]
	s_waitcnt lgkmcnt(2)
	v_add_f64 v[4:5], v[4:5], v[10:11]
	ds_bpermute_b32 v10, v19, v4
	s_waitcnt lgkmcnt(1)
	v_add_f64 v[2:3], v[2:3], v[12:13]
	ds_bpermute_b32 v11, v19, v5
	ds_bpermute_b32 v12, v19, v2
	ds_bpermute_b32 v13, v19, v3
	s_waitcnt lgkmcnt(2)
	v_add_f64 v[4:5], v[4:5], v[10:11]
	ds_bpermute_b32 v10, v20, v4
	s_waitcnt lgkmcnt(1)
	v_add_f64 v[2:3], v[2:3], v[12:13]
	ds_bpermute_b32 v11, v20, v5
	ds_bpermute_b32 v12, v20, v2
	ds_bpermute_b32 v13, v20, v3
	;; [unrolled: 8-line block ×4, first 2 shown]
	s_waitcnt lgkmcnt(2)
	v_add_f64 v[14:15], v[4:5], v[10:11]
	s_waitcnt lgkmcnt(0)
	v_add_f64 v[4:5], v[2:3], v[12:13]
	ds_bpermute_b32 v2, v23, v14
	ds_bpermute_b32 v3, v23, v15
	;; [unrolled: 1-line block ×4, first 2 shown]
	s_waitcnt lgkmcnt(2)
	v_add_f64 v[2:3], v[14:15], v[2:3]
	s_and_saveexec_b64 s[18:19], s[2:3]
	s_cbranch_execz .LBB173_28
; %bb.27:                               ;   in Loop: Header=BB173_19 Depth=1
	s_waitcnt lgkmcnt(0)
	v_add_f64 v[4:5], v[4:5], v[10:11]
	ds_write2_b64 v30, v[2:3], v[4:5] offset0:2 offset1:3
.LBB173_28:                             ;   in Loop: Header=BB173_19 Depth=1
	s_or_b64 exec, exec, s[18:19]
	s_waitcnt lgkmcnt(0)
	s_barrier
	s_and_saveexec_b64 s[18:19], s[4:5]
	s_cbranch_execz .LBB173_40
; %bb.29:                               ;   in Loop: Header=BB173_19 Depth=1
	v_mov_b32_e32 v4, s45
	ds_read2_b64 v[12:15], v4 offset0:4 offset1:6
	v_mov_b32_e32 v5, s43
	ds_read_b64 v[10:11], v5 offset:8
	ds_read_b64 v[4:5], v4 offset:64
	s_mov_b64 s[28:29], 0
	s_mov_b64 s[24:25], 0
	s_waitcnt lgkmcnt(2)
	v_add_f64 v[2:3], v[2:3], v[12:13]
	v_add_f64 v[2:3], v[2:3], v[14:15]
	s_waitcnt lgkmcnt(1)
	v_mul_f64 v[12:13], v[10:11], v[10:11]
	s_waitcnt lgkmcnt(0)
	v_add_f64 v[16:17], v[2:3], v[4:5]
	v_max_f64 v[2:3], v[16:17], v[12:13]
	v_cmp_nlt_f64_e32 vcc, 0, v[2:3]
                                        ; implicit-def: $sgpr20_sgpr21
                                        ; implicit-def: $sgpr22_sgpr23
                                        ; implicit-def: $sgpr34_sgpr35
                                        ; implicit-def: $sgpr30_sgpr31
	s_and_saveexec_b64 s[26:27], vcc
	s_xor_b64 s[26:27], exec, s[26:27]
                                        ; implicit-def: $vgpr2_vgpr3_vgpr4_vgpr5
	s_cbranch_execz .LBB173_33
; %bb.30:                               ;   in Loop: Header=BB173_19 Depth=1
	s_mov_b32 s20, s11
	s_mov_b32 s21, s11
	;; [unrolled: 1-line block ×4, first 2 shown]
	v_pk_mov_b32 v[2:3], s[20:21], s[20:21] op_sel:[0,1]
	v_pk_mov_b32 v[4:5], s[22:23], s[22:23] op_sel:[0,1]
	s_mov_b64 s[20:21], 0
	s_and_b64 vcc, exec, s[14:15]
	ds_write2_b64 v8, v[2:3], v[4:5] offset1:1
                                        ; implicit-def: $sgpr34_sgpr35
                                        ; implicit-def: $sgpr30_sgpr31
                                        ; implicit-def: $vgpr2_vgpr3_vgpr4_vgpr5
	s_cbranch_vccz .LBB173_32
; %bb.31:                               ;   in Loop: Header=BB173_19 Depth=1
	v_mov_b32_e32 v2, s43
	ds_read_b64 v[2:3], v2
	s_mov_b64 s[24:25], -1
	s_mov_b64 s[30:31], 1.0
	s_mov_b64 s[34:35], 0
.LBB173_32:                             ;   in Loop: Header=BB173_19 Depth=1
	s_mov_b64 s[22:23], 1.0
	s_and_b64 s[24:25], s[24:25], exec
                                        ; implicit-def: $vgpr12_vgpr13
                                        ; implicit-def: $vgpr16_vgpr17
                                        ; implicit-def: $vgpr10_vgpr11
.LBB173_33:                             ;   in Loop: Header=BB173_19 Depth=1
	s_or_saveexec_b64 s[26:27], s[26:27]
	v_pk_mov_b32 v[14:15], s[34:35], s[34:35] op_sel:[0,1]
	v_pk_mov_b32 v[4:5], s[30:31], s[30:31] op_sel:[0,1]
	s_xor_b64 exec, exec, s[26:27]
	s_cbranch_execz .LBB173_35
; %bb.34:                               ;   in Loop: Header=BB173_19 Depth=1
	s_waitcnt lgkmcnt(0)
	v_mov_b32_e32 v2, s43
	ds_read_b64 v[14:15], v2
	s_andn2_b64 s[24:25], s[24:25], exec
	s_and_b64 s[30:31], s[14:15], exec
	s_or_b64 s[24:25], s[24:25], s[30:31]
	s_waitcnt lgkmcnt(0)
	v_fma_f64 v[2:3], v[14:15], v[14:15], v[12:13]
	v_add_f64 v[2:3], v[16:17], v[2:3]
	v_cmp_gt_f64_e32 vcc, s[16:17], v[2:3]
	v_cndmask_b32_e64 v4, 0, 1, vcc
	v_lshlrev_b32_e32 v4, 8, v4
	v_ldexp_f64 v[2:3], v[2:3], v4
	v_rsq_f64_e32 v[4:5], v[2:3]
	v_cndmask_b32_e32 v9, 0, v31, vcc
	v_cmp_class_f64_e32 vcc, v[2:3], v29
	v_mul_f64 v[16:17], v[2:3], v[4:5]
	v_mul_f64 v[4:5], v[4:5], 0.5
	v_fma_f64 v[32:33], -v[4:5], v[16:17], 0.5
	v_fmac_f64_e32 v[16:17], v[16:17], v[32:33]
	v_fmac_f64_e32 v[4:5], v[4:5], v[32:33]
	v_fma_f64 v[32:33], -v[16:17], v[16:17], v[2:3]
	v_fmac_f64_e32 v[16:17], v[32:33], v[4:5]
	v_fma_f64 v[32:33], -v[16:17], v[16:17], v[2:3]
	v_fmac_f64_e32 v[16:17], v[32:33], v[4:5]
	v_ldexp_f64 v[4:5], v[16:17], v9
	v_cndmask_b32_e32 v3, v5, v3, vcc
	v_cndmask_b32_e32 v2, v4, v2, vcc
	v_xor_b32_e32 v4, 0x80000000, v3
	v_cmp_le_f64_e32 vcc, 0, v[14:15]
	v_cndmask_b32_e32 v3, v3, v4, vcc
	v_add_f64 v[4:5], v[14:15], -v[2:3]
	v_fmac_f64_e32 v[12:13], v[4:5], v[4:5]
	v_div_scale_f64 v[16:17], s[28:29], v[12:13], v[12:13], v[4:5]
	v_rcp_f64_e32 v[32:33], v[16:17]
	v_div_scale_f64 v[34:35], vcc, v[4:5], v[12:13], v[4:5]
	v_fma_f64 v[36:37], -v[16:17], v[32:33], 1.0
	v_fmac_f64_e32 v[32:33], v[32:33], v[36:37]
	v_fma_f64 v[36:37], -v[16:17], v[32:33], 1.0
	v_fmac_f64_e32 v[32:33], v[32:33], v[36:37]
	v_mul_f64 v[36:37], v[34:35], v[32:33]
	v_fma_f64 v[16:17], -v[16:17], v[36:37], v[34:35]
	v_div_scale_f64 v[34:35], s[28:29], v[12:13], v[12:13], -v[10:11]
	v_rcp_f64_e32 v[38:39], v[34:35]
	v_div_fmas_f64 v[16:17], v[16:17], v[32:33], v[36:37]
	v_div_fixup_f64 v[4:5], v[16:17], v[12:13], v[4:5]
	v_fma_f64 v[16:17], -v[34:35], v[38:39], 1.0
	v_fmac_f64_e32 v[38:39], v[38:39], v[16:17]
	v_fma_f64 v[16:17], -v[34:35], v[38:39], 1.0
	v_fmac_f64_e32 v[38:39], v[38:39], v[16:17]
	v_div_scale_f64 v[16:17], vcc, -v[10:11], v[12:13], -v[10:11]
	v_mul_f64 v[32:33], v[16:17], v[38:39]
	v_fma_f64 v[16:17], -v[34:35], v[32:33], v[16:17]
	v_add_f64 v[34:35], v[2:3], -v[14:15]
	v_div_scale_f64 v[36:37], s[28:29], v[2:3], v[2:3], v[34:35]
	v_rcp_f64_e32 v[40:41], v[36:37]
	v_div_fmas_f64 v[14:15], v[16:17], v[38:39], v[32:33]
	v_div_fixup_f64 v[14:15], v[14:15], v[12:13], -v[10:11]
	v_div_scale_f64 v[32:33], s[28:29], v[2:3], v[2:3], -v[10:11]
	v_fma_f64 v[12:13], -v[36:37], v[40:41], 1.0
	v_fmac_f64_e32 v[40:41], v[40:41], v[12:13]
	v_fma_f64 v[12:13], -v[36:37], v[40:41], 1.0
	v_fmac_f64_e32 v[40:41], v[40:41], v[12:13]
	v_div_scale_f64 v[12:13], vcc, v[34:35], v[2:3], v[34:35]
	v_mul_f64 v[16:17], v[12:13], v[40:41]
	v_fma_f64 v[12:13], -v[36:37], v[16:17], v[12:13]
	v_rcp_f64_e32 v[36:37], v[32:33]
	s_nop 0
	v_div_fmas_f64 v[12:13], v[12:13], v[40:41], v[16:17]
	v_div_fixup_f64 v[12:13], v[12:13], v[2:3], v[34:35]
	s_and_b64 s[28:29], s[12:13], exec
	v_fma_f64 v[16:17], -v[32:33], v[36:37], 1.0
	v_fmac_f64_e32 v[36:37], v[36:37], v[16:17]
	v_fma_f64 v[16:17], -v[32:33], v[36:37], 1.0
	v_fmac_f64_e32 v[36:37], v[36:37], v[16:17]
	v_div_scale_f64 v[16:17], vcc, -v[10:11], v[2:3], -v[10:11]
	v_mul_f64 v[34:35], v[16:17], v[36:37]
	v_fma_f64 v[16:17], -v[32:33], v[34:35], v[16:17]
	s_nop 1
	v_div_fmas_f64 v[16:17], v[16:17], v[36:37], v[34:35]
	v_div_fixup_f64 v[10:11], v[16:17], v[2:3], -v[10:11]
	ds_write2_b64 v8, v[12:13], v[10:11] offset1:1
.LBB173_35:                             ;   in Loop: Header=BB173_19 Depth=1
	s_or_b64 exec, exec, s[26:27]
	s_and_saveexec_b64 s[26:27], s[24:25]
	s_cbranch_execz .LBB173_37
; %bb.36:                               ;   in Loop: Header=BB173_19 Depth=1
	s_lshl_b64 s[24:25], s[10:11], 3
	s_add_u32 s24, s39, s24
	s_addc_u32 s25, s40, s25
	s_waitcnt lgkmcnt(0)
	global_store_dwordx2 v8, v[2:3], s[24:25]
	v_mov_b32_e32 v2, 0
	v_mov_b32_e32 v3, 0x3ff00000
	s_or_b64 s[28:29], s[28:29], exec
.LBB173_37:                             ;   in Loop: Header=BB173_19 Depth=1
	s_or_b64 exec, exec, s[26:27]
	v_pk_mov_b32 v[10:11], s[22:23], s[22:23] op_sel:[0,1]
	v_pk_mov_b32 v[12:13], s[20:21], s[20:21] op_sel:[0,1]
	s_and_saveexec_b64 s[20:21], s[28:29]
	s_cbranch_execz .LBB173_39
; %bb.38:                               ;   in Loop: Header=BB173_19 Depth=1
	v_mov_b32_e32 v9, v8
	v_mov_b32_e32 v10, s43
	s_waitcnt lgkmcnt(0)
	ds_write2_b64 v10, v[2:3], v[8:9] offset1:1
	v_pk_mov_b32 v[10:11], v[4:5], v[4:5] op_sel:[0,1]
	v_pk_mov_b32 v[12:13], v[14:15], v[14:15] op_sel:[0,1]
.LBB173_39:                             ;   in Loop: Header=BB173_19 Depth=1
	s_or_b64 exec, exec, s[20:21]
	s_waitcnt lgkmcnt(0)
	ds_read2_b64 v[2:5], v8 offset1:1
	s_lshl_b64 s[20:21], s[10:11], 4
	s_add_u32 s20, s41, s20
	v_mov_b32_e32 v9, s45
	s_addc_u32 s21, s42, s21
	s_waitcnt lgkmcnt(0)
	global_store_dwordx4 v8, v[2:5], s[20:21]
	ds_write2_b64 v9, v[10:11], v[12:13] offset0:2 offset1:3
.LBB173_40:                             ;   in Loop: Header=BB173_19 Depth=1
	s_or_b64 exec, exec, s[18:19]
	s_waitcnt lgkmcnt(0)
	s_barrier
	s_and_saveexec_b64 s[18:19], s[8:9]
	s_cbranch_execz .LBB173_43
; %bb.41:                               ;   in Loop: Header=BB173_19 Depth=1
	s_mov_b64 s[8:9], 0
	v_mov_b32_e32 v2, v26
	v_mov_b32_e32 v3, v0
.LBB173_42:                             ;   Parent Loop BB173_19 Depth=1
                                        ; =>  This Inner Loop Header: Depth=2
	v_mov_b32_e32 v4, s45
	ds_read2_b64 v[10:13], v2 offset1:1
	ds_read2_b64 v[14:17], v4 offset0:2 offset1:3
	v_add_u32_e32 v3, 0x100, v3
	v_cmp_le_i32_e32 vcc, s50, v3
	s_or_b64 s[8:9], vcc, s[8:9]
	s_waitcnt lgkmcnt(0)
	v_mul_f64 v[4:5], v[16:17], v[12:13]
	v_mul_f64 v[12:13], v[14:15], v[12:13]
	v_fma_f64 v[4:5], v[14:15], v[10:11], -v[4:5]
	v_fmac_f64_e32 v[12:13], v[16:17], v[10:11]
	ds_write2_b64 v2, v[4:5], v[12:13] offset1:1
	v_add_u32_e32 v2, 0x1000, v2
	s_andn2_b64 exec, exec, s[8:9]
	s_cbranch_execnz .LBB173_42
.LBB173_43:                             ;   in Loop: Header=BB173_19 Depth=1
	s_or_b64 exec, exec, s[18:19]
	s_waitcnt lgkmcnt(0)
	s_barrier
	s_and_saveexec_b64 s[8:9], s[6:7]
	s_cbranch_execz .LBB173_50
; %bb.44:                               ;   in Loop: Header=BB173_19 Depth=1
	s_mov_b64 s[18:19], 0
	v_mov_b32_e32 v9, v27
	v_mov_b32_e32 v10, v0
.LBB173_45:                             ;   Parent Loop BB173_19 Depth=1
                                        ; =>  This Loop Header: Depth=2
                                        ;       Child Loop BB173_46 Depth 3
	v_pk_mov_b32 v[2:3], 0, 0
	s_mov_b32 s20, 0
	v_mov_b32_e32 v11, v9
	s_mov_b32 s21, s43
	v_pk_mov_b32 v[4:5], v[2:3], v[2:3] op_sel:[0,1]
.LBB173_46:                             ;   Parent Loop BB173_19 Depth=1
                                        ;     Parent Loop BB173_45 Depth=2
                                        ; =>    This Inner Loop Header: Depth=3
	v_mov_b32_e32 v16, s21
	ds_read2_b64 v[12:15], v11 offset1:1
	ds_read2_b64 v[32:35], v16 offset1:1
	s_add_i32 s20, s20, 1
	s_add_i32 s21, s21, 16
	v_add_u32_e32 v11, s44, v11
	s_cmp_ge_i32 s20, s49
	s_waitcnt lgkmcnt(0)
	v_mul_f64 v[16:17], v[34:35], v[14:15]
	v_mul_f64 v[14:15], v[32:33], v[14:15]
	v_fma_f64 v[16:17], v[32:33], v[12:13], -v[16:17]
	v_fmac_f64_e32 v[14:15], v[34:35], v[12:13]
	v_add_f64 v[4:5], v[4:5], v[16:17]
	v_add_f64 v[2:3], v[2:3], v[14:15]
	s_cbranch_scc0 .LBB173_46
; %bb.47:                               ;   in Loop: Header=BB173_45 Depth=2
	ds_read2_b64 v[12:15], v8 offset1:1
	v_lshl_add_u32 v11, v10, 4, s47
	v_add_u32_e32 v10, 0x100, v10
	v_cmp_le_i32_e32 vcc, s49, v10
	s_or_b64 s[18:19], vcc, s[18:19]
	s_waitcnt lgkmcnt(0)
	v_mul_f64 v[16:17], v[2:3], v[14:15]
	v_mul_f64 v[14:15], v[4:5], v[14:15]
	v_fma_f64 v[4:5], v[4:5], v[12:13], -v[16:17]
	v_fmac_f64_e32 v[14:15], v[2:3], v[12:13]
	v_add_u32_e32 v9, 0x1000, v9
	ds_write2_b64 v11, v[4:5], v[14:15] offset1:1
	s_andn2_b64 exec, exec, s[18:19]
	s_cbranch_execnz .LBB173_45
; %bb.48:                               ;   in Loop: Header=BB173_19 Depth=1
	s_or_b64 exec, exec, s[18:19]
	s_mov_b32 s20, 0
	s_mov_b64 s[18:19], 0
	v_mov_b32_e32 v2, v0
.LBB173_49:                             ;   Parent Loop BB173_19 Depth=1
                                        ; =>  This Inner Loop Header: Depth=2
	v_add_u32_e32 v3, s20, v24
	ds_read2_b64 v[10:13], v3 offset1:1
	v_add_u32_e32 v2, 0x100, v2
	v_add_u32_e32 v4, s20, v25
	s_addk_i32 s20, 0x1000
	v_cmp_le_i32_e32 vcc, s49, v2
	s_or_b64 s[18:19], vcc, s[18:19]
	s_waitcnt lgkmcnt(0)
	ds_write2_b64 v4, v[10:11], v[12:13] offset1:1
	s_andn2_b64 exec, exec, s[18:19]
	s_cbranch_execnz .LBB173_49
.LBB173_50:                             ;   in Loop: Header=BB173_19 Depth=1
	s_or_b64 exec, exec, s[8:9]
	v_pk_mov_b32 v[2:3], 0, 0
	v_pk_mov_b32 v[4:5], v[2:3], v[2:3] op_sel:[0,1]
	s_waitcnt lgkmcnt(0)
	s_barrier
	s_and_saveexec_b64 s[8:9], s[6:7]
	s_cbranch_execz .LBB173_54
; %bb.51:                               ;   in Loop: Header=BB173_19 Depth=1
	v_pk_mov_b32 v[2:3], 0, 0
	s_mov_b64 s[18:19], 0
	v_mov_b32_e32 v9, v24
	v_mov_b32_e32 v10, v28
	;; [unrolled: 1-line block ×3, first 2 shown]
	v_pk_mov_b32 v[4:5], v[2:3], v[2:3] op_sel:[0,1]
.LBB173_52:                             ;   Parent Loop BB173_19 Depth=1
                                        ; =>  This Inner Loop Header: Depth=2
	ds_read2_b64 v[12:15], v10 offset1:1
	ds_read2_b64 v[32:35], v9 offset1:1
	v_add_u32_e32 v11, 0x100, v11
	v_cmp_le_i32_e32 vcc, s49, v11
	v_add_u32_e32 v10, 0x1000, v10
	v_add_u32_e32 v9, 0x1000, v9
	s_waitcnt lgkmcnt(0)
	v_mul_f64 v[16:17], v[14:15], v[34:35]
	v_mul_f64 v[14:15], v[14:15], v[32:33]
	v_fmac_f64_e32 v[16:17], v[12:13], v[32:33]
	v_fma_f64 v[12:13], v[12:13], v[34:35], -v[14:15]
	s_or_b64 s[18:19], vcc, s[18:19]
	v_add_f64 v[4:5], v[4:5], v[16:17]
	v_add_f64 v[2:3], v[2:3], v[12:13]
	s_andn2_b64 exec, exec, s[18:19]
	s_cbranch_execnz .LBB173_52
; %bb.53:                               ;   in Loop: Header=BB173_19 Depth=1
	s_or_b64 exec, exec, s[18:19]
.LBB173_54:                             ;   in Loop: Header=BB173_19 Depth=1
	s_or_b64 exec, exec, s[8:9]
	ds_bpermute_b32 v10, v1, v4
	ds_bpermute_b32 v11, v1, v5
	;; [unrolled: 1-line block ×4, first 2 shown]
	s_waitcnt lgkmcnt(2)
	v_add_f64 v[4:5], v[4:5], v[10:11]
	ds_bpermute_b32 v10, v19, v4
	s_waitcnt lgkmcnt(1)
	v_add_f64 v[2:3], v[2:3], v[12:13]
	ds_bpermute_b32 v11, v19, v5
	ds_bpermute_b32 v12, v19, v2
	ds_bpermute_b32 v13, v19, v3
	s_waitcnt lgkmcnt(2)
	v_add_f64 v[4:5], v[4:5], v[10:11]
	ds_bpermute_b32 v10, v20, v4
	s_waitcnt lgkmcnt(1)
	v_add_f64 v[2:3], v[2:3], v[12:13]
	ds_bpermute_b32 v11, v20, v5
	ds_bpermute_b32 v12, v20, v2
	ds_bpermute_b32 v13, v20, v3
	s_waitcnt lgkmcnt(2)
	v_add_f64 v[4:5], v[4:5], v[10:11]
	ds_bpermute_b32 v10, v21, v4
	s_waitcnt lgkmcnt(1)
	v_add_f64 v[2:3], v[2:3], v[12:13]
	ds_bpermute_b32 v11, v21, v5
	ds_bpermute_b32 v12, v21, v2
	ds_bpermute_b32 v13, v21, v3
	s_waitcnt lgkmcnt(2)
	v_add_f64 v[4:5], v[4:5], v[10:11]
	ds_bpermute_b32 v10, v22, v4
	s_waitcnt lgkmcnt(1)
	v_add_f64 v[2:3], v[2:3], v[12:13]
	ds_bpermute_b32 v11, v22, v5
	ds_bpermute_b32 v12, v22, v2
	ds_bpermute_b32 v13, v22, v3
	s_waitcnt lgkmcnt(2)
	v_add_f64 v[4:5], v[4:5], v[10:11]
	s_waitcnt lgkmcnt(0)
	v_add_f64 v[10:11], v[2:3], v[12:13]
	ds_bpermute_b32 v2, v23, v4
	ds_bpermute_b32 v3, v23, v5
	;; [unrolled: 1-line block ×4, first 2 shown]
	s_waitcnt lgkmcnt(2)
	v_add_f64 v[2:3], v[4:5], v[2:3]
	s_waitcnt lgkmcnt(0)
	v_add_f64 v[4:5], v[10:11], v[12:13]
	s_and_saveexec_b64 s[8:9], s[2:3]
	s_cbranch_execz .LBB173_56
; %bb.55:                               ;   in Loop: Header=BB173_19 Depth=1
	ds_write2_b64 v30, v[2:3], v[4:5] offset0:2 offset1:3
.LBB173_56:                             ;   in Loop: Header=BB173_19 Depth=1
	s_or_b64 exec, exec, s[8:9]
	s_waitcnt lgkmcnt(0)
	s_barrier
	s_and_saveexec_b64 s[8:9], s[4:5]
	s_cbranch_execz .LBB173_58
; %bb.57:                               ;   in Loop: Header=BB173_19 Depth=1
	v_mov_b32_e32 v9, s45
	ds_read2_b64 v[10:13], v9 offset0:4 offset1:5
	ds_read2_b64 v[14:17], v9 offset0:6 offset1:7
	;; [unrolled: 1-line block ×3, first 2 shown]
	ds_read2_b64 v[36:39], v8 offset1:1
	s_waitcnt lgkmcnt(3)
	v_add_f64 v[4:5], v[4:5], v[12:13]
	v_add_f64 v[2:3], v[2:3], v[10:11]
	s_waitcnt lgkmcnt(2)
	v_add_f64 v[4:5], v[4:5], v[16:17]
	v_add_f64 v[2:3], v[2:3], v[14:15]
	s_waitcnt lgkmcnt(1)
	v_add_f64 v[4:5], v[4:5], v[34:35]
	s_waitcnt lgkmcnt(0)
	v_mul_f64 v[12:13], v[38:39], -0.5
	v_add_f64 v[2:3], v[2:3], v[32:33]
	v_mul_f64 v[10:11], v[36:37], -0.5
	v_mul_f64 v[14:15], v[4:5], v[12:13]
	v_fma_f64 v[14:15], v[2:3], v[10:11], -v[14:15]
	v_mul_f64 v[2:3], v[2:3], v[12:13]
	v_fmac_f64_e32 v[2:3], v[4:5], v[10:11]
	ds_write2_b64 v9, v[14:15], v[2:3] offset0:2 offset1:3
.LBB173_58:                             ;   in Loop: Header=BB173_19 Depth=1
	s_or_b64 exec, exec, s[8:9]
	s_waitcnt lgkmcnt(0)
	s_barrier
	s_and_saveexec_b64 s[8:9], s[6:7]
	s_cbranch_execz .LBB173_61
; %bb.59:                               ;   in Loop: Header=BB173_19 Depth=1
	s_mov_b64 s[18:19], 0
	v_mov_b32_e32 v2, v24
	v_mov_b32_e32 v3, v28
	;; [unrolled: 1-line block ×3, first 2 shown]
.LBB173_60:                             ;   Parent Loop BB173_19 Depth=1
                                        ; =>  This Inner Loop Header: Depth=2
	v_mov_b32_e32 v5, s45
	ds_read2_b64 v[10:13], v2 offset1:1
	ds_read2_b64 v[32:35], v5 offset0:2 offset1:3
	ds_read2_b64 v[14:17], v3 offset1:1
	v_add_u32_e32 v4, 0x100, v4
	v_cmp_le_i32_e32 vcc, s49, v4
	v_add_u32_e32 v2, 0x1000, v2
	s_waitcnt lgkmcnt(1)
	v_mul_f64 v[36:37], v[12:13], v[34:35]
	v_mul_f64 v[34:35], v[10:11], v[34:35]
	v_fma_f64 v[10:11], v[10:11], v[32:33], -v[36:37]
	v_fmac_f64_e32 v[34:35], v[12:13], v[32:33]
	s_waitcnt lgkmcnt(0)
	v_add_f64 v[10:11], v[14:15], v[10:11]
	v_add_f64 v[12:13], v[16:17], v[34:35]
	s_or_b64 s[18:19], vcc, s[18:19]
	ds_write2_b64 v3, v[10:11], v[12:13] offset1:1
	v_add_u32_e32 v3, 0x1000, v3
	s_andn2_b64 exec, exec, s[18:19]
	s_cbranch_execnz .LBB173_60
.LBB173_61:                             ;   in Loop: Header=BB173_19 Depth=1
	s_or_b64 exec, exec, s[8:9]
	s_waitcnt lgkmcnt(0)
	s_barrier
	s_and_saveexec_b64 s[8:9], s[6:7]
	s_cbranch_execz .LBB173_18
; %bb.62:                               ;   in Loop: Header=BB173_19 Depth=1
	s_mov_b64 s[6:7], 0
	v_mov_b32_e32 v2, v27
	v_mov_b32_e32 v3, v0
.LBB173_63:                             ;   Parent Loop BB173_19 Depth=1
                                        ; =>  This Loop Header: Depth=2
                                        ;       Child Loop BB173_64 Depth 3
	v_lshlrev_b32_e32 v5, 4, v3
	v_add_u32_e32 v4, s43, v5
	v_add_u32_e32 v5, s47, v5
	s_mov_b32 s18, 0
	v_mov_b32_e32 v9, v2
	s_mov_b32 s19, s47
	s_mov_b32 s20, s43
.LBB173_64:                             ;   Parent Loop BB173_19 Depth=1
                                        ;     Parent Loop BB173_63 Depth=2
                                        ; =>    This Inner Loop Header: Depth=3
	v_mov_b32_e32 v36, s19
	v_mov_b32_e32 v40, s20
	ds_read2_b64 v[10:13], v9 offset1:1
	ds_read2_b64 v[14:17], v4 offset1:1
	;; [unrolled: 1-line block ×5, first 2 shown]
	s_add_i32 s18, s18, 1
	s_add_i32 s20, s20, 16
	s_add_i32 s19, s19, 16
	s_waitcnt lgkmcnt(1)
	v_mul_f64 v[44:45], v[38:39], v[16:17]
	v_mul_f64 v[38:39], v[38:39], v[14:15]
	s_waitcnt lgkmcnt(0)
	v_mul_f64 v[46:47], v[42:43], v[34:35]
	v_mul_f64 v[42:43], v[42:43], v[32:33]
	v_fmac_f64_e32 v[44:45], v[36:37], v[14:15]
	v_fma_f64 v[14:15], v[36:37], v[16:17], -v[38:39]
	v_fmac_f64_e32 v[46:47], v[40:41], v[32:33]
	v_fma_f64 v[16:17], v[40:41], v[34:35], -v[42:43]
	v_add_f64 v[10:11], v[10:11], -v[44:45]
	v_add_f64 v[12:13], v[12:13], -v[14:15]
	;; [unrolled: 1-line block ×4, first 2 shown]
	s_cmp_ge_i32 s18, s49
	ds_write2_b64 v9, v[10:11], v[12:13] offset1:1
	v_add_u32_e32 v9, s44, v9
	s_cbranch_scc0 .LBB173_64
; %bb.65:                               ;   in Loop: Header=BB173_63 Depth=2
	v_add_u32_e32 v3, 0x100, v3
	v_cmp_le_i32_e32 vcc, s49, v3
	s_or_b64 s[6:7], vcc, s[6:7]
	v_add_u32_e32 v2, 0x1000, v2
	s_andn2_b64 exec, exec, s[6:7]
	s_cbranch_execnz .LBB173_63
	s_branch .LBB173_18
.LBB173_66:
	s_and_saveexec_b64 s[2:3], s[0:1]
	s_cbranch_execz .LBB173_74
; %bb.67:
	v_mad_u64_u32 v[0:1], s[0:1], s38, v7, v[6:7]
	v_mul_lo_u32 v1, s33, v7
	v_lshl_add_u32 v1, v1, 4, v18
	v_cmp_gt_u32_e32 vcc, s33, v7
	s_lshl_b32 s10, s38, 1
	v_add3_u32 v1, v1, 0, 16
	s_lshl_b32 s11, s33, 5
	s_mov_b64 s[2:3], 0
	s_branch .LBB173_69
.LBB173_68:                             ;   in Loop: Header=BB173_69 Depth=1
	s_or_b64 exec, exec, s[4:5]
	v_add_u32_e32 v6, 0x80, v6
	v_cmp_le_i32_e64 s[0:1], s33, v6
	v_add_u32_e32 v0, 0x80, v0
	s_or_b64 s[2:3], s[0:1], s[2:3]
	v_add_u32_e32 v1, 0x800, v1
	s_andn2_b64 exec, exec, s[2:3]
	s_cbranch_execz .LBB173_74
.LBB173_69:                             ; =>This Loop Header: Depth=1
                                        ;     Child Loop BB173_72 Depth 2
	s_and_saveexec_b64 s[4:5], vcc
	s_cbranch_execz .LBB173_68
; %bb.70:                               ;   in Loop: Header=BB173_69 Depth=1
	s_mov_b64 s[6:7], 0
	v_mov_b32_e32 v4, v1
	v_mov_b32_e32 v2, v0
	;; [unrolled: 1-line block ×3, first 2 shown]
	s_branch .LBB173_72
.LBB173_71:                             ;   in Loop: Header=BB173_72 Depth=2
	s_or_b64 exec, exec, s[8:9]
	v_add_u32_e32 v5, 2, v5
	v_cmp_le_i32_e64 s[0:1], s33, v5
	v_add_u32_e32 v2, s10, v2
	s_or_b64 s[6:7], s[0:1], s[6:7]
	v_add_u32_e32 v4, s11, v4
	s_andn2_b64 exec, exec, s[6:7]
	s_cbranch_execz .LBB173_68
.LBB173_72:                             ;   Parent Loop BB173_69 Depth=1
                                        ; =>  This Inner Loop Header: Depth=2
	v_cmp_ge_u32_e64 s[0:1], v6, v5
	s_and_saveexec_b64 s[8:9], s[0:1]
	s_cbranch_execz .LBB173_71
; %bb.73:                               ;   in Loop: Header=BB173_72 Depth=2
	ds_read2_b64 v[8:11], v4 offset1:1
	v_ashrrev_i32_e32 v3, 31, v2
	v_lshlrev_b64 v[12:13], 4, v[2:3]
	v_mov_b32_e32 v3, s37
	v_add_co_u32_e64 v12, s[0:1], s36, v12
	v_addc_co_u32_e64 v13, s[0:1], v3, v13, s[0:1]
	s_waitcnt lgkmcnt(0)
	global_store_dwordx4 v[12:13], v[8:11], off
	s_branch .LBB173_71
.LBB173_74:
	s_endpgm
	.section	.rodata,"a",@progbits
	.p2align	6, 0x0
	.amdhsa_kernel _ZN9rocsolver6v33100L24sytd2_lower_kernel_smallILi256E19rocblas_complex_numIdEidPS3_EEvT1_T3_lS5_lPT2_lS8_lPT0_l
		.amdhsa_group_segment_fixed_size 0
		.amdhsa_private_segment_fixed_size 0
		.amdhsa_kernarg_size 88
		.amdhsa_user_sgpr_count 6
		.amdhsa_user_sgpr_private_segment_buffer 1
		.amdhsa_user_sgpr_dispatch_ptr 0
		.amdhsa_user_sgpr_queue_ptr 0
		.amdhsa_user_sgpr_kernarg_segment_ptr 1
		.amdhsa_user_sgpr_dispatch_id 0
		.amdhsa_user_sgpr_flat_scratch_init 0
		.amdhsa_user_sgpr_kernarg_preload_length 0
		.amdhsa_user_sgpr_kernarg_preload_offset 0
		.amdhsa_user_sgpr_private_segment_size 0
		.amdhsa_uses_dynamic_stack 0
		.amdhsa_system_sgpr_private_segment_wavefront_offset 0
		.amdhsa_system_sgpr_workgroup_id_x 1
		.amdhsa_system_sgpr_workgroup_id_y 0
		.amdhsa_system_sgpr_workgroup_id_z 1
		.amdhsa_system_sgpr_workgroup_info 0
		.amdhsa_system_vgpr_workitem_id 0
		.amdhsa_next_free_vgpr 48
		.amdhsa_next_free_sgpr 51
		.amdhsa_accum_offset 48
		.amdhsa_reserve_vcc 1
		.amdhsa_reserve_flat_scratch 0
		.amdhsa_float_round_mode_32 0
		.amdhsa_float_round_mode_16_64 0
		.amdhsa_float_denorm_mode_32 3
		.amdhsa_float_denorm_mode_16_64 3
		.amdhsa_dx10_clamp 1
		.amdhsa_ieee_mode 1
		.amdhsa_fp16_overflow 0
		.amdhsa_tg_split 0
		.amdhsa_exception_fp_ieee_invalid_op 0
		.amdhsa_exception_fp_denorm_src 0
		.amdhsa_exception_fp_ieee_div_zero 0
		.amdhsa_exception_fp_ieee_overflow 0
		.amdhsa_exception_fp_ieee_underflow 0
		.amdhsa_exception_fp_ieee_inexact 0
		.amdhsa_exception_int_div_zero 0
	.end_amdhsa_kernel
	.section	.text._ZN9rocsolver6v33100L24sytd2_lower_kernel_smallILi256E19rocblas_complex_numIdEidPS3_EEvT1_T3_lS5_lPT2_lS8_lPT0_l,"axG",@progbits,_ZN9rocsolver6v33100L24sytd2_lower_kernel_smallILi256E19rocblas_complex_numIdEidPS3_EEvT1_T3_lS5_lPT2_lS8_lPT0_l,comdat
.Lfunc_end173:
	.size	_ZN9rocsolver6v33100L24sytd2_lower_kernel_smallILi256E19rocblas_complex_numIdEidPS3_EEvT1_T3_lS5_lPT2_lS8_lPT0_l, .Lfunc_end173-_ZN9rocsolver6v33100L24sytd2_lower_kernel_smallILi256E19rocblas_complex_numIdEidPS3_EEvT1_T3_lS5_lPT2_lS8_lPT0_l
                                        ; -- End function
	.section	.AMDGPU.csdata,"",@progbits
; Kernel info:
; codeLenInByte = 4492
; NumSgprs: 55
; NumVgprs: 48
; NumAgprs: 0
; TotalNumVgprs: 48
; ScratchSize: 0
; MemoryBound: 0
; FloatMode: 240
; IeeeMode: 1
; LDSByteSize: 0 bytes/workgroup (compile time only)
; SGPRBlocks: 6
; VGPRBlocks: 5
; NumSGPRsForWavesPerEU: 55
; NumVGPRsForWavesPerEU: 48
; AccumOffset: 48
; Occupancy: 8
; WaveLimiterHint : 0
; COMPUTE_PGM_RSRC2:SCRATCH_EN: 0
; COMPUTE_PGM_RSRC2:USER_SGPR: 6
; COMPUTE_PGM_RSRC2:TRAP_HANDLER: 0
; COMPUTE_PGM_RSRC2:TGID_X_EN: 1
; COMPUTE_PGM_RSRC2:TGID_Y_EN: 0
; COMPUTE_PGM_RSRC2:TGID_Z_EN: 1
; COMPUTE_PGM_RSRC2:TIDIG_COMP_CNT: 0
; COMPUTE_PGM_RSRC3_GFX90A:ACCUM_OFFSET: 11
; COMPUTE_PGM_RSRC3_GFX90A:TG_SPLIT: 0
	.section	.text._ZN9rocsolver6v33100L16reset_batch_infoI19rocblas_complex_numIdEiiPS3_EEvT2_lT0_T1_,"axG",@progbits,_ZN9rocsolver6v33100L16reset_batch_infoI19rocblas_complex_numIdEiiPS3_EEvT2_lT0_T1_,comdat
	.globl	_ZN9rocsolver6v33100L16reset_batch_infoI19rocblas_complex_numIdEiiPS3_EEvT2_lT0_T1_ ; -- Begin function _ZN9rocsolver6v33100L16reset_batch_infoI19rocblas_complex_numIdEiiPS3_EEvT2_lT0_T1_
	.p2align	8
	.type	_ZN9rocsolver6v33100L16reset_batch_infoI19rocblas_complex_numIdEiiPS3_EEvT2_lT0_T1_,@function
_ZN9rocsolver6v33100L16reset_batch_infoI19rocblas_complex_numIdEiiPS3_EEvT2_lT0_T1_: ; @_ZN9rocsolver6v33100L16reset_batch_infoI19rocblas_complex_numIdEiiPS3_EEvT2_lT0_T1_
; %bb.0:
	s_load_dword s2, s[4:5], 0x24
	s_load_dwordx2 s[0:1], s[4:5], 0x10
	s_waitcnt lgkmcnt(0)
	s_and_b32 s2, s2, 0xffff
	s_mul_i32 s6, s6, s2
	v_add_u32_e32 v0, s6, v0
	v_cmp_gt_i32_e32 vcc, s0, v0
	s_and_saveexec_b64 s[2:3], vcc
	s_cbranch_execz .LBB174_2
; %bb.1:
	s_load_dwordx4 s[8:11], s[4:5], 0x0
	s_ashr_i32 s0, s7, 31
	v_ashrrev_i32_e32 v1, 31, v0
	v_lshlrev_b64 v[0:1], 4, v[0:1]
	s_waitcnt lgkmcnt(0)
	s_mul_i32 s3, s7, s11
	s_mul_hi_u32 s4, s7, s10
	s_mul_i32 s0, s0, s10
	s_add_i32 s3, s4, s3
	s_mul_i32 s2, s7, s10
	s_add_i32 s3, s3, s0
	s_lshl_b64 s[2:3], s[2:3], 4
	s_add_u32 s0, s8, s2
	s_addc_u32 s2, s9, s3
	v_mov_b32_e32 v2, s2
	v_add_co_u32_e32 v4, vcc, s0, v0
	v_addc_co_u32_e32 v5, vcc, v2, v1, vcc
	v_mov_b32_e32 v2, 0
	v_cvt_f64_i32_e32 v[0:1], s1
	v_mov_b32_e32 v3, v2
	global_store_dwordx4 v[4:5], v[0:3], off
.LBB174_2:
	s_endpgm
	.section	.rodata,"a",@progbits
	.p2align	6, 0x0
	.amdhsa_kernel _ZN9rocsolver6v33100L16reset_batch_infoI19rocblas_complex_numIdEiiPS3_EEvT2_lT0_T1_
		.amdhsa_group_segment_fixed_size 0
		.amdhsa_private_segment_fixed_size 0
		.amdhsa_kernarg_size 280
		.amdhsa_user_sgpr_count 6
		.amdhsa_user_sgpr_private_segment_buffer 1
		.amdhsa_user_sgpr_dispatch_ptr 0
		.amdhsa_user_sgpr_queue_ptr 0
		.amdhsa_user_sgpr_kernarg_segment_ptr 1
		.amdhsa_user_sgpr_dispatch_id 0
		.amdhsa_user_sgpr_flat_scratch_init 0
		.amdhsa_user_sgpr_kernarg_preload_length 0
		.amdhsa_user_sgpr_kernarg_preload_offset 0
		.amdhsa_user_sgpr_private_segment_size 0
		.amdhsa_uses_dynamic_stack 0
		.amdhsa_system_sgpr_private_segment_wavefront_offset 0
		.amdhsa_system_sgpr_workgroup_id_x 1
		.amdhsa_system_sgpr_workgroup_id_y 1
		.amdhsa_system_sgpr_workgroup_id_z 0
		.amdhsa_system_sgpr_workgroup_info 0
		.amdhsa_system_vgpr_workitem_id 0
		.amdhsa_next_free_vgpr 6
		.amdhsa_next_free_sgpr 12
		.amdhsa_accum_offset 8
		.amdhsa_reserve_vcc 1
		.amdhsa_reserve_flat_scratch 0
		.amdhsa_float_round_mode_32 0
		.amdhsa_float_round_mode_16_64 0
		.amdhsa_float_denorm_mode_32 3
		.amdhsa_float_denorm_mode_16_64 3
		.amdhsa_dx10_clamp 1
		.amdhsa_ieee_mode 1
		.amdhsa_fp16_overflow 0
		.amdhsa_tg_split 0
		.amdhsa_exception_fp_ieee_invalid_op 0
		.amdhsa_exception_fp_denorm_src 0
		.amdhsa_exception_fp_ieee_div_zero 0
		.amdhsa_exception_fp_ieee_overflow 0
		.amdhsa_exception_fp_ieee_underflow 0
		.amdhsa_exception_fp_ieee_inexact 0
		.amdhsa_exception_int_div_zero 0
	.end_amdhsa_kernel
	.section	.text._ZN9rocsolver6v33100L16reset_batch_infoI19rocblas_complex_numIdEiiPS3_EEvT2_lT0_T1_,"axG",@progbits,_ZN9rocsolver6v33100L16reset_batch_infoI19rocblas_complex_numIdEiiPS3_EEvT2_lT0_T1_,comdat
.Lfunc_end174:
	.size	_ZN9rocsolver6v33100L16reset_batch_infoI19rocblas_complex_numIdEiiPS3_EEvT2_lT0_T1_, .Lfunc_end174-_ZN9rocsolver6v33100L16reset_batch_infoI19rocblas_complex_numIdEiiPS3_EEvT2_lT0_T1_
                                        ; -- End function
	.section	.AMDGPU.csdata,"",@progbits
; Kernel info:
; codeLenInByte = 148
; NumSgprs: 16
; NumVgprs: 6
; NumAgprs: 0
; TotalNumVgprs: 6
; ScratchSize: 0
; MemoryBound: 0
; FloatMode: 240
; IeeeMode: 1
; LDSByteSize: 0 bytes/workgroup (compile time only)
; SGPRBlocks: 1
; VGPRBlocks: 0
; NumSGPRsForWavesPerEU: 16
; NumVGPRsForWavesPerEU: 6
; AccumOffset: 8
; Occupancy: 8
; WaveLimiterHint : 0
; COMPUTE_PGM_RSRC2:SCRATCH_EN: 0
; COMPUTE_PGM_RSRC2:USER_SGPR: 6
; COMPUTE_PGM_RSRC2:TRAP_HANDLER: 0
; COMPUTE_PGM_RSRC2:TGID_X_EN: 1
; COMPUTE_PGM_RSRC2:TGID_Y_EN: 1
; COMPUTE_PGM_RSRC2:TGID_Z_EN: 0
; COMPUTE_PGM_RSRC2:TIDIG_COMP_CNT: 0
; COMPUTE_PGM_RSRC3_GFX90A:ACCUM_OFFSET: 1
; COMPUTE_PGM_RSRC3_GFX90A:TG_SPLIT: 0
	.section	.text._ZN9rocsolver6v33100L8set_diagI19rocblas_complex_numIdEidPS3_TnNSt9enable_ifIXaa18rocblas_is_complexIT_Ent18rocblas_is_complexIT1_EEiE4typeELi0EEEvPS7_llT2_lT0_lSC_b,"axG",@progbits,_ZN9rocsolver6v33100L8set_diagI19rocblas_complex_numIdEidPS3_TnNSt9enable_ifIXaa18rocblas_is_complexIT_Ent18rocblas_is_complexIT1_EEiE4typeELi0EEEvPS7_llT2_lT0_lSC_b,comdat
	.globl	_ZN9rocsolver6v33100L8set_diagI19rocblas_complex_numIdEidPS3_TnNSt9enable_ifIXaa18rocblas_is_complexIT_Ent18rocblas_is_complexIT1_EEiE4typeELi0EEEvPS7_llT2_lT0_lSC_b ; -- Begin function _ZN9rocsolver6v33100L8set_diagI19rocblas_complex_numIdEidPS3_TnNSt9enable_ifIXaa18rocblas_is_complexIT_Ent18rocblas_is_complexIT1_EEiE4typeELi0EEEvPS7_llT2_lT0_lSC_b
	.p2align	8
	.type	_ZN9rocsolver6v33100L8set_diagI19rocblas_complex_numIdEidPS3_TnNSt9enable_ifIXaa18rocblas_is_complexIT_Ent18rocblas_is_complexIT1_EEiE4typeELi0EEEvPS7_llT2_lT0_lSC_b,@function
_ZN9rocsolver6v33100L8set_diagI19rocblas_complex_numIdEidPS3_TnNSt9enable_ifIXaa18rocblas_is_complexIT_Ent18rocblas_is_complexIT1_EEiE4typeELi0EEEvPS7_llT2_lT0_lSC_b: ; @_ZN9rocsolver6v33100L8set_diagI19rocblas_complex_numIdEidPS3_TnNSt9enable_ifIXaa18rocblas_is_complexIT_Ent18rocblas_is_complexIT1_EEiE4typeELi0EEEvPS7_llT2_lT0_lSC_b
; %bb.0:
	s_load_dword s2, s[4:5], 0x4c
	s_load_dwordx2 s[0:1], s[4:5], 0x38
	v_bfe_u32 v0, v0, 10, 10
	s_waitcnt lgkmcnt(0)
	s_lshr_b32 s2, s2, 16
	s_mul_i32 s7, s7, s2
	v_add_u32_e32 v2, s7, v0
	v_cmp_gt_i32_e32 vcc, s0, v2
	s_and_saveexec_b64 s[2:3], vcc
	s_cbranch_execz .LBB175_5
; %bb.1:
	s_load_dwordx2 s[2:3], s[4:5], 0x20
	s_load_dword s7, s[4:5], 0x28
	s_load_dwordx2 s[16:17], s[4:5], 0x30
	s_load_dwordx8 s[8:15], s[4:5], 0x0
	s_bitcmp1_b32 s1, 0
	s_cselect_b64 s[0:1], -1, 0
	s_ashr_i32 s18, s6, 31
	s_waitcnt lgkmcnt(0)
	s_mul_i32 s4, s6, s17
	s_mul_hi_u32 s5, s6, s16
	s_add_i32 s4, s5, s4
	s_mul_i32 s5, s18, s16
	s_add_i32 s5, s4, s5
	s_mul_i32 s4, s6, s16
	s_lshl_b64 s[4:5], s[4:5], 4
	s_add_u32 s4, s14, s4
	s_addc_u32 s5, s15, s5
	s_lshl_b64 s[2:3], s[2:3], 4
	s_add_u32 s4, s4, s2
	s_addc_u32 s5, s5, s3
	v_mad_u64_u32 v[0:1], s[2:3], v2, s7, v[2:3]
	v_ashrrev_i32_e32 v1, 31, v0
	v_lshlrev_b64 v[0:1], 4, v[0:1]
	v_mov_b32_e32 v3, s5
	v_add_co_u32_e32 v4, vcc, s4, v0
	v_addc_co_u32_e32 v5, vcc, v3, v1, vcc
	global_load_dwordx2 v[0:1], v[4:5], off
	s_mul_i32 s3, s6, s13
	s_mul_hi_u32 s4, s6, s12
	s_mul_i32 s18, s18, s12
	s_add_i32 s3, s4, s3
	s_mul_i32 s2, s6, s12
	s_add_i32 s3, s3, s18
	s_lshl_b64 s[2:3], s[2:3], 3
	s_add_u32 s4, s8, s2
	s_addc_u32 s5, s9, s3
	s_lshl_b64 s[2:3], s[10:11], 3
	v_ashrrev_i32_e32 v3, 31, v2
	s_add_u32 s2, s4, s2
	v_lshlrev_b64 v[2:3], 3, v[2:3]
	s_addc_u32 s3, s5, s3
	s_and_b64 vcc, exec, s[0:1]
	v_mov_b32_e32 v6, s3
	v_add_co_u32_e64 v2, s[0:1], s2, v2
	v_addc_co_u32_e64 v3, s[0:1], v6, v3, s[0:1]
	s_waitcnt vmcnt(0)
	global_store_dwordx2 v[2:3], v[0:1], off
	s_cbranch_vccnz .LBB175_3
; %bb.2:
	global_load_dwordx2 v[2:3], v[4:5], off offset:8
	s_branch .LBB175_4
.LBB175_3:
	v_mov_b32_e32 v0, 0
	v_pk_mov_b32 v[2:3], 0, 0
	v_mov_b32_e32 v1, 0x3ff00000
.LBB175_4:
	s_waitcnt vmcnt(0)
	global_store_dwordx4 v[4:5], v[0:3], off
.LBB175_5:
	s_endpgm
	.section	.rodata,"a",@progbits
	.p2align	6, 0x0
	.amdhsa_kernel _ZN9rocsolver6v33100L8set_diagI19rocblas_complex_numIdEidPS3_TnNSt9enable_ifIXaa18rocblas_is_complexIT_Ent18rocblas_is_complexIT1_EEiE4typeELi0EEEvPS7_llT2_lT0_lSC_b
		.amdhsa_group_segment_fixed_size 0
		.amdhsa_private_segment_fixed_size 0
		.amdhsa_kernarg_size 320
		.amdhsa_user_sgpr_count 6
		.amdhsa_user_sgpr_private_segment_buffer 1
		.amdhsa_user_sgpr_dispatch_ptr 0
		.amdhsa_user_sgpr_queue_ptr 0
		.amdhsa_user_sgpr_kernarg_segment_ptr 1
		.amdhsa_user_sgpr_dispatch_id 0
		.amdhsa_user_sgpr_flat_scratch_init 0
		.amdhsa_user_sgpr_kernarg_preload_length 0
		.amdhsa_user_sgpr_kernarg_preload_offset 0
		.amdhsa_user_sgpr_private_segment_size 0
		.amdhsa_uses_dynamic_stack 0
		.amdhsa_system_sgpr_private_segment_wavefront_offset 0
		.amdhsa_system_sgpr_workgroup_id_x 1
		.amdhsa_system_sgpr_workgroup_id_y 1
		.amdhsa_system_sgpr_workgroup_id_z 0
		.amdhsa_system_sgpr_workgroup_info 0
		.amdhsa_system_vgpr_workitem_id 1
		.amdhsa_next_free_vgpr 7
		.amdhsa_next_free_sgpr 19
		.amdhsa_accum_offset 8
		.amdhsa_reserve_vcc 1
		.amdhsa_reserve_flat_scratch 0
		.amdhsa_float_round_mode_32 0
		.amdhsa_float_round_mode_16_64 0
		.amdhsa_float_denorm_mode_32 3
		.amdhsa_float_denorm_mode_16_64 3
		.amdhsa_dx10_clamp 1
		.amdhsa_ieee_mode 1
		.amdhsa_fp16_overflow 0
		.amdhsa_tg_split 0
		.amdhsa_exception_fp_ieee_invalid_op 0
		.amdhsa_exception_fp_denorm_src 0
		.amdhsa_exception_fp_ieee_div_zero 0
		.amdhsa_exception_fp_ieee_overflow 0
		.amdhsa_exception_fp_ieee_underflow 0
		.amdhsa_exception_fp_ieee_inexact 0
		.amdhsa_exception_int_div_zero 0
	.end_amdhsa_kernel
	.section	.text._ZN9rocsolver6v33100L8set_diagI19rocblas_complex_numIdEidPS3_TnNSt9enable_ifIXaa18rocblas_is_complexIT_Ent18rocblas_is_complexIT1_EEiE4typeELi0EEEvPS7_llT2_lT0_lSC_b,"axG",@progbits,_ZN9rocsolver6v33100L8set_diagI19rocblas_complex_numIdEidPS3_TnNSt9enable_ifIXaa18rocblas_is_complexIT_Ent18rocblas_is_complexIT1_EEiE4typeELi0EEEvPS7_llT2_lT0_lSC_b,comdat
.Lfunc_end175:
	.size	_ZN9rocsolver6v33100L8set_diagI19rocblas_complex_numIdEidPS3_TnNSt9enable_ifIXaa18rocblas_is_complexIT_Ent18rocblas_is_complexIT1_EEiE4typeELi0EEEvPS7_llT2_lT0_lSC_b, .Lfunc_end175-_ZN9rocsolver6v33100L8set_diagI19rocblas_complex_numIdEidPS3_TnNSt9enable_ifIXaa18rocblas_is_complexIT_Ent18rocblas_is_complexIT1_EEiE4typeELi0EEEvPS7_llT2_lT0_lSC_b
                                        ; -- End function
	.section	.AMDGPU.csdata,"",@progbits
; Kernel info:
; codeLenInByte = 336
; NumSgprs: 23
; NumVgprs: 7
; NumAgprs: 0
; TotalNumVgprs: 7
; ScratchSize: 0
; MemoryBound: 0
; FloatMode: 240
; IeeeMode: 1
; LDSByteSize: 0 bytes/workgroup (compile time only)
; SGPRBlocks: 2
; VGPRBlocks: 0
; NumSGPRsForWavesPerEU: 23
; NumVGPRsForWavesPerEU: 7
; AccumOffset: 8
; Occupancy: 8
; WaveLimiterHint : 0
; COMPUTE_PGM_RSRC2:SCRATCH_EN: 0
; COMPUTE_PGM_RSRC2:USER_SGPR: 6
; COMPUTE_PGM_RSRC2:TRAP_HANDLER: 0
; COMPUTE_PGM_RSRC2:TGID_X_EN: 1
; COMPUTE_PGM_RSRC2:TGID_Y_EN: 1
; COMPUTE_PGM_RSRC2:TGID_Z_EN: 0
; COMPUTE_PGM_RSRC2:TIDIG_COMP_CNT: 1
; COMPUTE_PGM_RSRC3_GFX90A:ACCUM_OFFSET: 1
; COMPUTE_PGM_RSRC3_GFX90A:TG_SPLIT: 0
	.section	.text._ZN9rocsolver6v33100L11set_taubetaI19rocblas_complex_numIdEidPS3_EEvPT_lS6_T2_llPT1_ll,"axG",@progbits,_ZN9rocsolver6v33100L11set_taubetaI19rocblas_complex_numIdEidPS3_EEvPT_lS6_T2_llPT1_ll,comdat
	.globl	_ZN9rocsolver6v33100L11set_taubetaI19rocblas_complex_numIdEidPS3_EEvPT_lS6_T2_llPT1_ll ; -- Begin function _ZN9rocsolver6v33100L11set_taubetaI19rocblas_complex_numIdEidPS3_EEvPT_lS6_T2_llPT1_ll
	.p2align	8
	.type	_ZN9rocsolver6v33100L11set_taubetaI19rocblas_complex_numIdEidPS3_EEvPT_lS6_T2_llPT1_ll,@function
_ZN9rocsolver6v33100L11set_taubetaI19rocblas_complex_numIdEidPS3_EEvPT_lS6_T2_llPT1_ll: ; @_ZN9rocsolver6v33100L11set_taubetaI19rocblas_complex_numIdEidPS3_EEvPT_lS6_T2_llPT1_ll
; %bb.0:
	s_load_dwordx16 s[8:23], s[4:5], 0x0
	s_ashr_i32 s7, s6, 31
	s_mov_b64 s[24:25], 0
	s_mov_b64 s[0:1], 0
	s_waitcnt lgkmcnt(0)
	s_cmp_eq_u64 s[20:21], 0
	s_cbranch_scc1 .LBB176_2
; %bb.1:
	s_load_dwordx2 s[0:1], s[4:5], 0x40
	s_waitcnt lgkmcnt(0)
	s_mul_i32 s1, s6, s1
	s_mul_hi_u32 s2, s6, s0
	s_mul_i32 s3, s7, s0
	s_add_i32 s1, s2, s1
	s_mul_i32 s0, s6, s0
	s_add_i32 s1, s1, s3
	s_lshl_b64 s[0:1], s[0:1], 3
	s_add_u32 s2, s20, s0
	s_addc_u32 s3, s21, s1
	s_lshl_b64 s[0:1], s[22:23], 3
	s_add_u32 s0, s2, s0
	s_addc_u32 s1, s3, s1
.LBB176_2:
	s_mul_i32 s2, s6, s19
	s_mul_hi_u32 s3, s6, s18
	s_add_i32 s2, s3, s2
	s_mul_i32 s3, s7, s18
	s_add_i32 s3, s2, s3
	s_mul_i32 s2, s6, s18
	s_lshl_b64 s[2:3], s[2:3], 4
	s_add_u32 s4, s14, s2
	s_addc_u32 s5, s15, s3
	s_lshl_b64 s[2:3], s[16:17], 4
	s_add_u32 s2, s4, s2
	s_addc_u32 s3, s5, s3
	s_mul_i32 s4, s6, s11
	s_mul_hi_u32 s5, s6, s10
	s_add_i32 s4, s5, s4
	s_mul_i32 s5, s7, s10
	s_add_i32 s5, s4, s5
	s_mul_i32 s4, s6, s10
	s_lshl_b64 s[4:5], s[4:5], 4
	s_add_u32 s8, s8, s4
	s_addc_u32 s9, s9, s5
	s_lshl_b64 s[4:5], s[6:7], 4
	s_add_u32 s12, s12, s4
	s_addc_u32 s13, s13, s5
	s_load_dwordx2 s[10:11], s[2:3], 0x8
	s_load_dwordx2 s[14:15], s[12:13], 0x0
	s_cmp_eq_u64 s[0:1], 0
	s_cselect_b64 s[4:5], -1, 0
	s_cmp_lg_u64 s[0:1], 0
	s_waitcnt lgkmcnt(0)
	v_mul_f64 v[4:5], s[10:11], s[10:11]
	v_max_f64 v[0:1], s[14:15], s[14:15]
	v_max_f64 v[0:1], v[0:1], v[4:5]
	v_cmp_nlt_f64_e32 vcc, 0, v[0:1]
	s_cselect_b64 s[6:7], -1, 0
	s_cbranch_vccz .LBB176_6
; %bb.3:
	v_mov_b32_e32 v0, 0
	v_mov_b32_e32 v1, 0x3ff00000
	;; [unrolled: 1-line block ×4, first 2 shown]
	global_store_dwordx4 v0, v[0:3], s[12:13]
	s_mov_b64 s[16:17], 0
	v_mov_b32_e32 v1, v0
	s_and_b64 vcc, exec, s[6:7]
	global_store_dwordx4 v0, v[0:3], s[8:9]
	s_cbranch_vccz .LBB176_7
; %bb.4:
	global_load_dwordx2 v[0:1], v0, s[2:3]
	s_mov_b64 s[24:25], -1
	s_and_b64 vcc, exec, s[16:17]
	s_cbranch_vccnz .LBB176_8
.LBB176_5:
	s_mov_b64 s[4:5], 0
	s_andn2_b64 vcc, exec, s[24:25]
	s_cbranch_vccz .LBB176_9
	s_branch .LBB176_10
.LBB176_6:
	s_mov_b64 s[16:17], -1
.LBB176_7:
                                        ; implicit-def: $vgpr0_vgpr1
	s_and_b64 vcc, exec, s[16:17]
	s_cbranch_vccz .LBB176_5
.LBB176_8:
	s_load_dwordx2 s[16:17], s[2:3], 0x0
	s_mov_b32 s18, 0
	s_brev_b32 s19, 8
	s_mov_b64 s[24:25], s[6:7]
	s_waitcnt vmcnt(0) lgkmcnt(0)
	v_fma_f64 v[0:1], s[16:17], s[16:17], v[4:5]
	v_add_f64 v[0:1], s[14:15], v[0:1]
	v_cmp_gt_f64_e32 vcc, s[18:19], v[0:1]
	v_cndmask_b32_e64 v2, 0, 1, vcc
	v_lshlrev_b32_e32 v2, 8, v2
	v_ldexp_f64 v[0:1], v[0:1], v2
	v_rsq_f64_e32 v[2:3], v[0:1]
	s_and_b64 s[14:15], vcc, exec
	s_cselect_b32 s14, 0xffffff80, 0
	v_mul_f64 v[6:7], v[0:1], v[2:3]
	v_mul_f64 v[2:3], v[2:3], 0.5
	v_fma_f64 v[8:9], -v[2:3], v[6:7], 0.5
	v_fmac_f64_e32 v[6:7], v[6:7], v[8:9]
	v_fmac_f64_e32 v[2:3], v[2:3], v[8:9]
	v_fma_f64 v[8:9], -v[6:7], v[6:7], v[0:1]
	v_fmac_f64_e32 v[6:7], v[8:9], v[2:3]
	v_fma_f64 v[8:9], -v[6:7], v[6:7], v[0:1]
	v_fmac_f64_e32 v[6:7], v[8:9], v[2:3]
	v_ldexp_f64 v[2:3], v[6:7], s14
	v_mov_b32_e32 v6, 0x260
	v_cmp_class_f64_e32 vcc, v[0:1], v6
	v_cndmask_b32_e32 v1, v3, v1, vcc
	v_cndmask_b32_e32 v0, v2, v0, vcc
	v_xor_b32_e32 v2, 0x80000000, v1
	v_cmp_ge_f64_e64 vcc, s[16:17], 0
	v_cndmask_b32_e32 v1, v1, v2, vcc
	v_add_f64 v[2:3], s[16:17], -v[0:1]
	v_fmac_f64_e32 v[4:5], v[2:3], v[2:3]
	v_div_scale_f64 v[6:7], s[14:15], v[4:5], v[4:5], v[2:3]
	v_rcp_f64_e32 v[8:9], v[6:7]
	v_fma_f64 v[10:11], -v[6:7], v[8:9], 1.0
	v_fmac_f64_e32 v[8:9], v[8:9], v[10:11]
	v_fma_f64 v[10:11], -v[6:7], v[8:9], 1.0
	v_fmac_f64_e32 v[8:9], v[8:9], v[10:11]
	v_div_scale_f64 v[10:11], vcc, v[2:3], v[4:5], v[2:3]
	v_mul_f64 v[12:13], v[10:11], v[8:9]
	v_fma_f64 v[6:7], -v[6:7], v[12:13], v[10:11]
	v_div_scale_f64 v[10:11], s[14:15], v[4:5], v[4:5], -s[10:11]
	v_rcp_f64_e32 v[14:15], v[10:11]
	v_div_fmas_f64 v[6:7], v[6:7], v[8:9], v[12:13]
	v_div_fixup_f64 v[2:3], v[6:7], v[4:5], v[2:3]
	v_fma_f64 v[6:7], -v[10:11], v[14:15], 1.0
	v_fmac_f64_e32 v[14:15], v[14:15], v[6:7]
	v_fma_f64 v[6:7], -v[10:11], v[14:15], 1.0
	v_fmac_f64_e32 v[14:15], v[14:15], v[6:7]
	v_div_scale_f64 v[6:7], vcc, -s[10:11], v[4:5], -s[10:11]
	v_mul_f64 v[8:9], v[6:7], v[14:15]
	v_fma_f64 v[6:7], -v[10:11], v[8:9], v[6:7]
	s_nop 1
	v_div_fmas_f64 v[6:7], v[6:7], v[14:15], v[8:9]
	v_add_f64 v[8:9], v[0:1], -s[16:17]
	v_div_scale_f64 v[10:11], s[14:15], v[0:1], v[0:1], v[8:9]
	v_rcp_f64_e32 v[12:13], v[10:11]
	v_div_fixup_f64 v[4:5], v[6:7], v[4:5], -s[10:11]
	v_mov_b32_e32 v14, 0
	global_store_dwordx4 v14, v[2:5], s[12:13]
	v_div_scale_f64 v[6:7], s[12:13], v[0:1], v[0:1], -s[10:11]
	v_fma_f64 v[2:3], -v[10:11], v[12:13], 1.0
	v_fmac_f64_e32 v[12:13], v[12:13], v[2:3]
	v_fma_f64 v[2:3], -v[10:11], v[12:13], 1.0
	v_fmac_f64_e32 v[12:13], v[12:13], v[2:3]
	v_div_scale_f64 v[2:3], vcc, v[8:9], v[0:1], v[8:9]
	v_mul_f64 v[4:5], v[2:3], v[12:13]
	v_fma_f64 v[2:3], -v[10:11], v[4:5], v[2:3]
	v_rcp_f64_e32 v[10:11], v[6:7]
	s_nop 0
	v_div_fmas_f64 v[2:3], v[2:3], v[12:13], v[4:5]
	v_div_fixup_f64 v[2:3], v[2:3], v[0:1], v[8:9]
	v_fma_f64 v[4:5], -v[6:7], v[10:11], 1.0
	v_fmac_f64_e32 v[10:11], v[10:11], v[4:5]
	v_fma_f64 v[4:5], -v[6:7], v[10:11], 1.0
	v_fmac_f64_e32 v[10:11], v[10:11], v[4:5]
	v_div_scale_f64 v[4:5], vcc, -s[10:11], v[0:1], -s[10:11]
	v_mul_f64 v[8:9], v[4:5], v[10:11]
	v_fma_f64 v[4:5], -v[6:7], v[8:9], v[4:5]
	s_nop 1
	v_div_fmas_f64 v[4:5], v[4:5], v[10:11], v[8:9]
	v_div_fixup_f64 v[4:5], v[4:5], v[0:1], -s[10:11]
	global_store_dwordx4 v14, v[2:5], s[8:9]
	s_andn2_b64 vcc, exec, s[24:25]
	s_cbranch_vccnz .LBB176_10
.LBB176_9:
	v_pk_mov_b32 v[2:3], s[0:1], s[0:1] op_sel:[0,1]
	s_waitcnt vmcnt(0)
	flat_store_dwordx2 v[2:3], v[0:1]
	v_mov_b32_e32 v0, 0
	s_mov_b64 s[4:5], -1
	v_mov_b32_e32 v1, 0x3ff00000
.LBB176_10:
	s_andn2_b64 vcc, exec, s[4:5]
	s_cbranch_vccz .LBB176_12
; %bb.11:
	s_endpgm
.LBB176_12:
	v_mov_b32_e32 v2, 0
	v_mov_b32_e32 v3, v2
	s_waitcnt vmcnt(0) lgkmcnt(0)
	global_store_dwordx4 v2, v[0:3], s[2:3]
	s_endpgm
	.section	.rodata,"a",@progbits
	.p2align	6, 0x0
	.amdhsa_kernel _ZN9rocsolver6v33100L11set_taubetaI19rocblas_complex_numIdEidPS3_EEvPT_lS6_T2_llPT1_ll
		.amdhsa_group_segment_fixed_size 0
		.amdhsa_private_segment_fixed_size 0
		.amdhsa_kernarg_size 72
		.amdhsa_user_sgpr_count 6
		.amdhsa_user_sgpr_private_segment_buffer 1
		.amdhsa_user_sgpr_dispatch_ptr 0
		.amdhsa_user_sgpr_queue_ptr 0
		.amdhsa_user_sgpr_kernarg_segment_ptr 1
		.amdhsa_user_sgpr_dispatch_id 0
		.amdhsa_user_sgpr_flat_scratch_init 0
		.amdhsa_user_sgpr_kernarg_preload_length 0
		.amdhsa_user_sgpr_kernarg_preload_offset 0
		.amdhsa_user_sgpr_private_segment_size 0
		.amdhsa_uses_dynamic_stack 0
		.amdhsa_system_sgpr_private_segment_wavefront_offset 0
		.amdhsa_system_sgpr_workgroup_id_x 1
		.amdhsa_system_sgpr_workgroup_id_y 0
		.amdhsa_system_sgpr_workgroup_id_z 0
		.amdhsa_system_sgpr_workgroup_info 0
		.amdhsa_system_vgpr_workitem_id 0
		.amdhsa_next_free_vgpr 16
		.amdhsa_next_free_sgpr 26
		.amdhsa_accum_offset 16
		.amdhsa_reserve_vcc 1
		.amdhsa_reserve_flat_scratch 0
		.amdhsa_float_round_mode_32 0
		.amdhsa_float_round_mode_16_64 0
		.amdhsa_float_denorm_mode_32 3
		.amdhsa_float_denorm_mode_16_64 3
		.amdhsa_dx10_clamp 1
		.amdhsa_ieee_mode 1
		.amdhsa_fp16_overflow 0
		.amdhsa_tg_split 0
		.amdhsa_exception_fp_ieee_invalid_op 0
		.amdhsa_exception_fp_denorm_src 0
		.amdhsa_exception_fp_ieee_div_zero 0
		.amdhsa_exception_fp_ieee_overflow 0
		.amdhsa_exception_fp_ieee_underflow 0
		.amdhsa_exception_fp_ieee_inexact 0
		.amdhsa_exception_int_div_zero 0
	.end_amdhsa_kernel
	.section	.text._ZN9rocsolver6v33100L11set_taubetaI19rocblas_complex_numIdEidPS3_EEvPT_lS6_T2_llPT1_ll,"axG",@progbits,_ZN9rocsolver6v33100L11set_taubetaI19rocblas_complex_numIdEidPS3_EEvPT_lS6_T2_llPT1_ll,comdat
.Lfunc_end176:
	.size	_ZN9rocsolver6v33100L11set_taubetaI19rocblas_complex_numIdEidPS3_EEvPT_lS6_T2_llPT1_ll, .Lfunc_end176-_ZN9rocsolver6v33100L11set_taubetaI19rocblas_complex_numIdEidPS3_EEvPT_lS6_T2_llPT1_ll
                                        ; -- End function
	.section	.AMDGPU.csdata,"",@progbits
; Kernel info:
; codeLenInByte = 976
; NumSgprs: 30
; NumVgprs: 16
; NumAgprs: 0
; TotalNumVgprs: 16
; ScratchSize: 0
; MemoryBound: 0
; FloatMode: 240
; IeeeMode: 1
; LDSByteSize: 0 bytes/workgroup (compile time only)
; SGPRBlocks: 3
; VGPRBlocks: 1
; NumSGPRsForWavesPerEU: 30
; NumVGPRsForWavesPerEU: 16
; AccumOffset: 16
; Occupancy: 8
; WaveLimiterHint : 0
; COMPUTE_PGM_RSRC2:SCRATCH_EN: 0
; COMPUTE_PGM_RSRC2:USER_SGPR: 6
; COMPUTE_PGM_RSRC2:TRAP_HANDLER: 0
; COMPUTE_PGM_RSRC2:TGID_X_EN: 1
; COMPUTE_PGM_RSRC2:TGID_Y_EN: 0
; COMPUTE_PGM_RSRC2:TGID_Z_EN: 0
; COMPUTE_PGM_RSRC2:TIDIG_COMP_CNT: 0
; COMPUTE_PGM_RSRC3_GFX90A:ACCUM_OFFSET: 3
; COMPUTE_PGM_RSRC3_GFX90A:TG_SPLIT: 0
	.section	.text._ZN9rocsolver6v33100L20latrd_dot_scale_axpyILi64E19rocblas_complex_numIdEiPS3_EEvT1_T2_llPT0_llS8_l,"axG",@progbits,_ZN9rocsolver6v33100L20latrd_dot_scale_axpyILi64E19rocblas_complex_numIdEiPS3_EEvT1_T2_llPT0_llS8_l,comdat
	.globl	_ZN9rocsolver6v33100L20latrd_dot_scale_axpyILi64E19rocblas_complex_numIdEiPS3_EEvT1_T2_llPT0_llS8_l ; -- Begin function _ZN9rocsolver6v33100L20latrd_dot_scale_axpyILi64E19rocblas_complex_numIdEiPS3_EEvT1_T2_llPT0_llS8_l
	.p2align	8
	.type	_ZN9rocsolver6v33100L20latrd_dot_scale_axpyILi64E19rocblas_complex_numIdEiPS3_EEvT1_T2_llPT0_llS8_l,@function
_ZN9rocsolver6v33100L20latrd_dot_scale_axpyILi64E19rocblas_complex_numIdEiPS3_EEvT1_T2_llPT0_llS8_l: ; @_ZN9rocsolver6v33100L20latrd_dot_scale_axpyILi64E19rocblas_complex_numIdEiPS3_EEvT1_T2_llPT0_llS8_l
; %bb.0:
	s_load_dword s6, s[4:5], 0x0
	s_load_dwordx16 s[8:23], s[4:5], 0x8
	s_ashr_i32 s33, s7, 31
	v_pk_mov_b32 v[10:11], 0, 0
	v_lshlrev_b32_e32 v1, 4, v0
	s_waitcnt lgkmcnt(0)
	v_cmp_gt_i32_e64 s[0:1], s6, v0
	s_mul_i32 s26, s12, s33
	s_mul_hi_u32 s27, s12, s7
	s_mul_i32 s28, s13, s7
	s_mul_i32 s4, s12, s7
	;; [unrolled: 1-line block ×3, first 2 shown]
	s_mul_hi_u32 s30, s18, s7
	s_mul_i32 s31, s19, s7
	s_mul_i32 s12, s18, s7
	v_pk_mov_b32 v[12:13], v[10:11], v[10:11] op_sel:[0,1]
	s_and_saveexec_b64 s[18:19], s[0:1]
	s_cbranch_execz .LBB177_6
; %bb.1:
	s_add_i32 s2, s27, s26
	s_add_i32 s5, s2, s28
	s_lshl_b64 s[2:3], s[4:5], 4
	s_lshl_b64 s[24:25], s[10:11], 4
	s_add_u32 s2, s2, s24
	s_addc_u32 s3, s3, s25
	v_lshlrev_b32_e32 v18, 4, v0
	s_add_u32 s2, s8, s2
	s_addc_u32 s3, s9, s3
	v_add_co_u32_e32 v3, vcc, s2, v18
	s_add_i32 s2, s30, s29
	s_add_i32 s13, s2, s31
	v_mov_b32_e32 v2, s3
	s_lshl_b64 s[2:3], s[12:13], 4
	s_lshl_b64 s[24:25], s[16:17], 4
	s_add_u32 s2, s2, s24
	v_addc_co_u32_e32 v2, vcc, 0, v2, vcc
	s_addc_u32 s3, s3, s25
	v_add_co_u32_e32 v14, vcc, 8, v3
	s_add_u32 s2, s14, s2
	v_addc_co_u32_e32 v15, vcc, 0, v2, vcc
	s_addc_u32 s3, s15, s3
	v_mov_b32_e32 v2, s3
	v_add_co_u32_e32 v3, vcc, s2, v18
	v_addc_co_u32_e32 v2, vcc, 0, v2, vcc
	v_add_co_u32_e32 v16, vcc, 8, v3
	v_pk_mov_b32 v[10:11], 0, 0
	v_addc_co_u32_e32 v17, vcc, 0, v2, vcc
	s_mov_b64 s[24:25], 0
	v_mov_b32_e32 v19, v0
	v_pk_mov_b32 v[12:13], v[10:11], v[10:11] op_sel:[0,1]
	s_branch .LBB177_3
.LBB177_2:                              ;   in Loop: Header=BB177_3 Depth=1
	s_or_b64 exec, exec, s[2:3]
	s_waitcnt vmcnt(0)
	v_mul_f64 v[20:21], v[4:5], v[8:9]
	v_add_co_u32_e32 v14, vcc, 0x400, v14
	v_fmac_f64_e32 v[20:21], v[2:3], v[6:7]
	v_mul_f64 v[2:3], v[2:3], v[8:9]
	v_add_u32_e32 v19, 64, v19
	v_addc_co_u32_e32 v15, vcc, 0, v15, vcc
	v_fma_f64 v[2:3], v[4:5], v[6:7], -v[2:3]
	v_add_co_u32_e32 v16, vcc, 0x400, v16
	v_cmp_le_i32_e64 s[2:3], s6, v19
	v_add_f64 v[12:13], v[12:13], v[20:21]
	v_add_f64 v[10:11], v[10:11], v[2:3]
	v_add_u32_e32 v18, 0x400, v18
	s_or_b64 s[24:25], s[2:3], s[24:25]
	v_addc_co_u32_e32 v17, vcc, 0, v17, vcc
	s_andn2_b64 exec, exec, s[24:25]
	s_cbranch_execz .LBB177_5
.LBB177_3:                              ; =>This Inner Loop Header: Depth=1
	global_load_dwordx4 v[2:5], v[14:15], off offset:-8
	global_load_dwordx4 v[6:9], v[16:17], off offset:-8
	v_cmp_gt_u32_e32 vcc, 64, v19
	s_and_saveexec_b64 s[2:3], vcc
	s_cbranch_execz .LBB177_2
; %bb.4:                                ;   in Loop: Header=BB177_3 Depth=1
	s_waitcnt vmcnt(1)
	ds_write_b128 v18, v[2:5]
	s_waitcnt vmcnt(0)
	ds_write_b128 v18, v[6:9] offset:1024
	s_branch .LBB177_2
.LBB177_5:
	s_or_b64 exec, exec, s[24:25]
.LBB177_6:
	s_or_b64 exec, exec, s[18:19]
	v_mbcnt_lo_u32_b32 v2, -1, 0
	v_mbcnt_hi_u32_b32 v14, -1, v2
	v_and_b32_e32 v15, 63, v14
	v_cmp_ne_u32_e32 vcc, 63, v15
	v_addc_co_u32_e32 v2, vcc, 0, v14, vcc
	v_lshlrev_b32_e32 v5, 2, v2
	ds_bpermute_b32 v2, v5, v12
	ds_bpermute_b32 v3, v5, v13
	;; [unrolled: 1-line block ×4, first 2 shown]
	v_cmp_gt_u32_e32 vcc, 62, v15
	v_cndmask_b32_e64 v6, 0, 1, vcc
	v_lshlrev_b32_e32 v6, 1, v6
	s_waitcnt lgkmcnt(2)
	v_add_f64 v[2:3], v[12:13], v[2:3]
	v_add_lshl_u32 v9, v6, v14, 2
	ds_bpermute_b32 v6, v9, v2
	ds_bpermute_b32 v7, v9, v3
	s_waitcnt lgkmcnt(2)
	v_add_f64 v[4:5], v[10:11], v[4:5]
	ds_bpermute_b32 v8, v9, v4
	ds_bpermute_b32 v9, v9, v5
	v_cmp_gt_u32_e32 vcc, 60, v15
	s_waitcnt lgkmcnt(2)
	v_add_f64 v[2:3], v[2:3], v[6:7]
	v_cndmask_b32_e64 v6, 0, 1, vcc
	v_lshlrev_b32_e32 v6, 2, v6
	s_waitcnt lgkmcnt(0)
	v_add_f64 v[4:5], v[4:5], v[8:9]
	v_add_lshl_u32 v9, v6, v14, 2
	ds_bpermute_b32 v6, v9, v2
	ds_bpermute_b32 v7, v9, v3
	ds_bpermute_b32 v8, v9, v4
	ds_bpermute_b32 v9, v9, v5
	v_cmp_gt_u32_e32 vcc, 56, v15
	s_waitcnt lgkmcnt(2)
	v_add_f64 v[2:3], v[2:3], v[6:7]
	v_cndmask_b32_e64 v6, 0, 1, vcc
	v_lshlrev_b32_e32 v6, 3, v6
	s_waitcnt lgkmcnt(0)
	v_add_f64 v[4:5], v[4:5], v[8:9]
	v_add_lshl_u32 v9, v6, v14, 2
	ds_bpermute_b32 v6, v9, v2
	ds_bpermute_b32 v7, v9, v3
	;; [unrolled: 12-line block ×4, first 2 shown]
	ds_bpermute_b32 v8, v9, v4
	ds_bpermute_b32 v9, v9, v5
	v_cmp_eq_u32_e32 vcc, 0, v0
	s_waitcnt lgkmcnt(2)
	v_add_f64 v[2:3], v[2:3], v[6:7]
	s_waitcnt lgkmcnt(0)
	v_add_f64 v[4:5], v[4:5], v[8:9]
	s_and_saveexec_b64 s[2:3], vcc
	s_cbranch_execz .LBB177_8
; %bb.7:
	v_mov_b32_e32 v6, 0
	ds_write_b128 v6, v[2:5] offset:2048
.LBB177_8:
	s_or_b64 exec, exec, s[2:3]
	v_cmp_eq_u32_e32 vcc, 0, v0
	s_waitcnt lgkmcnt(0)
	; wave barrier
	s_waitcnt lgkmcnt(0)
	s_and_saveexec_b64 s[2:3], vcc
	s_cbranch_execz .LBB177_10
; %bb.9:
	s_mul_i32 s5, s7, s23
	s_mul_hi_u32 s13, s7, s22
	s_add_i32 s5, s13, s5
	s_mul_i32 s13, s33, s22
	s_add_i32 s19, s5, s13
	s_mul_i32 s18, s7, s22
	s_lshl_b64 s[18:19], s[18:19], 4
	s_add_u32 s18, s20, s18
	s_addc_u32 s19, s21, s19
	s_load_dwordx4 s[20:23], s[18:19], 0x0
	s_waitcnt lgkmcnt(0)
	v_mul_f64 v[8:9], s[22:23], -0.5
	v_mul_f64 v[10:11], s[20:21], -0.5
	v_mul_f64 v[6:7], v[4:5], v[8:9]
	v_mul_f64 v[8:9], v[2:3], v[8:9]
	v_fma_f64 v[6:7], v[2:3], v[10:11], -v[6:7]
	v_fmac_f64_e32 v[8:9], v[4:5], v[10:11]
	v_mov_b32_e32 v2, 0
	ds_write_b128 v2, v[6:9] offset:2048
.LBB177_10:
	s_or_b64 exec, exec, s[2:3]
	s_waitcnt lgkmcnt(0)
	; wave barrier
	s_waitcnt lgkmcnt(0)
	s_and_saveexec_b64 s[2:3], s[0:1]
	s_cbranch_execz .LBB177_17
; %bb.11:
	s_add_i32 s0, s30, s29
	s_add_i32 s13, s0, s31
	s_lshl_b64 s[0:1], s[12:13], 4
	s_lshl_b64 s[2:3], s[16:17], 4
	s_add_u32 s0, s0, s2
	s_addc_u32 s1, s1, s3
	s_add_u32 s0, s14, s0
	s_addc_u32 s1, s15, s1
	v_add_co_u32_e32 v7, vcc, s0, v1
	s_add_i32 s0, s27, s26
	s_add_i32 s5, s0, s28
	v_mov_b32_e32 v6, s1
	s_lshl_b64 s[0:1], s[4:5], 4
	s_lshl_b64 s[2:3], s[10:11], 4
	s_add_u32 s0, s0, s2
	v_addc_co_u32_e32 v8, vcc, 0, v6, vcc
	s_addc_u32 s1, s1, s3
	v_mov_b32_e32 v2, 0
	v_add_co_u32_e32 v6, vcc, 8, v7
	s_add_u32 s0, s8, s0
	ds_read_b128 v[2:5], v2 offset:2048
	v_addc_co_u32_e32 v7, vcc, 0, v8, vcc
	s_addc_u32 s1, s9, s1
	v_mov_b32_e32 v8, s1
	v_add_co_u32_e32 v9, vcc, s0, v1
	v_addc_co_u32_e32 v10, vcc, 0, v8, vcc
	v_add_co_u32_e32 v8, vcc, 8, v9
	v_addc_co_u32_e32 v9, vcc, 0, v10, vcc
	s_mov_b64 s[2:3], 0
	s_branch .LBB177_13
.LBB177_12:                             ;   in Loop: Header=BB177_13 Depth=1
	s_or_b64 exec, exec, s[0:1]
	v_add_co_u32_e32 v6, vcc, 0x400, v6
	v_add_u32_e32 v0, 64, v0
	v_addc_co_u32_e32 v7, vcc, 0, v7, vcc
	v_add_co_u32_e32 v8, vcc, 0x400, v8
	v_cmp_le_i32_e64 s[0:1], s6, v0
	v_add_u32_e32 v1, 0x400, v1
	s_or_b64 s[2:3], s[0:1], s[2:3]
	v_addc_co_u32_e32 v9, vcc, 0, v9, vcc
	s_andn2_b64 exec, exec, s[2:3]
	s_cbranch_execz .LBB177_17
.LBB177_13:                             ; =>This Inner Loop Header: Depth=1
	v_cmp_lt_u32_e32 vcc, 63, v0
	s_and_saveexec_b64 s[0:1], vcc
	s_xor_b64 s[0:1], exec, s[0:1]
	s_cbranch_execz .LBB177_15
; %bb.14:                               ;   in Loop: Header=BB177_13 Depth=1
	global_load_dwordx4 v[10:13], v[8:9], off offset:-8
	global_load_dwordx4 v[14:17], v[6:7], off offset:-8
	s_waitcnt vmcnt(1) lgkmcnt(0)
	v_mul_f64 v[18:19], v[12:13], v[4:5]
	v_mul_f64 v[20:21], v[10:11], v[4:5]
	v_fma_f64 v[10:11], v[10:11], v[2:3], -v[18:19]
	v_fmac_f64_e32 v[20:21], v[12:13], v[2:3]
	s_waitcnt vmcnt(0)
	v_add_f64 v[10:11], v[14:15], v[10:11]
	v_add_f64 v[12:13], v[16:17], v[20:21]
	global_store_dwordx4 v[6:7], v[10:13], off offset:-8
.LBB177_15:                             ;   in Loop: Header=BB177_13 Depth=1
	s_andn2_saveexec_b64 s[0:1], s[0:1]
	s_cbranch_execz .LBB177_12
; %bb.16:                               ;   in Loop: Header=BB177_13 Depth=1
	ds_read_b128 v[10:13], v1
	ds_read_b128 v[14:17], v1 offset:1024
	s_waitcnt lgkmcnt(1)
	v_mul_f64 v[18:19], v[12:13], v[4:5]
	v_mul_f64 v[20:21], v[10:11], v[4:5]
	v_fma_f64 v[10:11], v[10:11], v[2:3], -v[18:19]
	v_fmac_f64_e32 v[20:21], v[12:13], v[2:3]
	s_waitcnt lgkmcnt(0)
	v_add_f64 v[10:11], v[14:15], v[10:11]
	v_add_f64 v[12:13], v[16:17], v[20:21]
	global_store_dwordx4 v[6:7], v[10:13], off offset:-8
	s_branch .LBB177_12
.LBB177_17:
	s_endpgm
	.section	.rodata,"a",@progbits
	.p2align	6, 0x0
	.amdhsa_kernel _ZN9rocsolver6v33100L20latrd_dot_scale_axpyILi64E19rocblas_complex_numIdEiPS3_EEvT1_T2_llPT0_llS8_l
		.amdhsa_group_segment_fixed_size 2064
		.amdhsa_private_segment_fixed_size 0
		.amdhsa_kernarg_size 72
		.amdhsa_user_sgpr_count 6
		.amdhsa_user_sgpr_private_segment_buffer 1
		.amdhsa_user_sgpr_dispatch_ptr 0
		.amdhsa_user_sgpr_queue_ptr 0
		.amdhsa_user_sgpr_kernarg_segment_ptr 1
		.amdhsa_user_sgpr_dispatch_id 0
		.amdhsa_user_sgpr_flat_scratch_init 0
		.amdhsa_user_sgpr_kernarg_preload_length 0
		.amdhsa_user_sgpr_kernarg_preload_offset 0
		.amdhsa_user_sgpr_private_segment_size 0
		.amdhsa_uses_dynamic_stack 0
		.amdhsa_system_sgpr_private_segment_wavefront_offset 0
		.amdhsa_system_sgpr_workgroup_id_x 1
		.amdhsa_system_sgpr_workgroup_id_y 0
		.amdhsa_system_sgpr_workgroup_id_z 1
		.amdhsa_system_sgpr_workgroup_info 0
		.amdhsa_system_vgpr_workitem_id 0
		.amdhsa_next_free_vgpr 22
		.amdhsa_next_free_sgpr 34
		.amdhsa_accum_offset 24
		.amdhsa_reserve_vcc 1
		.amdhsa_reserve_flat_scratch 0
		.amdhsa_float_round_mode_32 0
		.amdhsa_float_round_mode_16_64 0
		.amdhsa_float_denorm_mode_32 3
		.amdhsa_float_denorm_mode_16_64 3
		.amdhsa_dx10_clamp 1
		.amdhsa_ieee_mode 1
		.amdhsa_fp16_overflow 0
		.amdhsa_tg_split 0
		.amdhsa_exception_fp_ieee_invalid_op 0
		.amdhsa_exception_fp_denorm_src 0
		.amdhsa_exception_fp_ieee_div_zero 0
		.amdhsa_exception_fp_ieee_overflow 0
		.amdhsa_exception_fp_ieee_underflow 0
		.amdhsa_exception_fp_ieee_inexact 0
		.amdhsa_exception_int_div_zero 0
	.end_amdhsa_kernel
	.section	.text._ZN9rocsolver6v33100L20latrd_dot_scale_axpyILi64E19rocblas_complex_numIdEiPS3_EEvT1_T2_llPT0_llS8_l,"axG",@progbits,_ZN9rocsolver6v33100L20latrd_dot_scale_axpyILi64E19rocblas_complex_numIdEiPS3_EEvT1_T2_llPT0_llS8_l,comdat
.Lfunc_end177:
	.size	_ZN9rocsolver6v33100L20latrd_dot_scale_axpyILi64E19rocblas_complex_numIdEiPS3_EEvT1_T2_llPT0_llS8_l, .Lfunc_end177-_ZN9rocsolver6v33100L20latrd_dot_scale_axpyILi64E19rocblas_complex_numIdEiPS3_EEvT1_T2_llPT0_llS8_l
                                        ; -- End function
	.section	.AMDGPU.csdata,"",@progbits
; Kernel info:
; codeLenInByte = 1428
; NumSgprs: 38
; NumVgprs: 22
; NumAgprs: 0
; TotalNumVgprs: 22
; ScratchSize: 0
; MemoryBound: 0
; FloatMode: 240
; IeeeMode: 1
; LDSByteSize: 2064 bytes/workgroup (compile time only)
; SGPRBlocks: 4
; VGPRBlocks: 2
; NumSGPRsForWavesPerEU: 38
; NumVGPRsForWavesPerEU: 22
; AccumOffset: 24
; Occupancy: 8
; WaveLimiterHint : 0
; COMPUTE_PGM_RSRC2:SCRATCH_EN: 0
; COMPUTE_PGM_RSRC2:USER_SGPR: 6
; COMPUTE_PGM_RSRC2:TRAP_HANDLER: 0
; COMPUTE_PGM_RSRC2:TGID_X_EN: 1
; COMPUTE_PGM_RSRC2:TGID_Y_EN: 0
; COMPUTE_PGM_RSRC2:TGID_Z_EN: 1
; COMPUTE_PGM_RSRC2:TIDIG_COMP_CNT: 0
; COMPUTE_PGM_RSRC3_GFX90A:ACCUM_OFFSET: 5
; COMPUTE_PGM_RSRC3_GFX90A:TG_SPLIT: 0
	.section	.text._ZN9rocsolver6v33100L7set_tauI19rocblas_complex_numIdEEEviPT_S5_l,"axG",@progbits,_ZN9rocsolver6v33100L7set_tauI19rocblas_complex_numIdEEEviPT_S5_l,comdat
	.globl	_ZN9rocsolver6v33100L7set_tauI19rocblas_complex_numIdEEEviPT_S5_l ; -- Begin function _ZN9rocsolver6v33100L7set_tauI19rocblas_complex_numIdEEEviPT_S5_l
	.p2align	8
	.type	_ZN9rocsolver6v33100L7set_tauI19rocblas_complex_numIdEEEviPT_S5_l,@function
_ZN9rocsolver6v33100L7set_tauI19rocblas_complex_numIdEEEviPT_S5_l: ; @_ZN9rocsolver6v33100L7set_tauI19rocblas_complex_numIdEEEviPT_S5_l
; %bb.0:
	s_load_dword s0, s[4:5], 0x2c
	s_load_dword s1, s[4:5], 0x0
	s_waitcnt lgkmcnt(0)
	s_and_b32 s0, s0, 0xffff
	s_mul_i32 s6, s6, s0
	v_add_u32_e32 v0, s6, v0
	v_cmp_gt_i32_e32 vcc, s1, v0
	s_and_saveexec_b64 s[0:1], vcc
	s_cbranch_execz .LBB178_2
; %bb.1:
	s_load_dwordx4 s[0:3], s[4:5], 0x8
	s_load_dwordx2 s[6:7], s[4:5], 0x18
	v_ashrrev_i32_e32 v1, 31, v0
	v_lshlrev_b64 v[2:3], 4, v[0:1]
	s_waitcnt lgkmcnt(0)
	v_mov_b32_e32 v4, s1
	v_add_co_u32_e32 v2, vcc, s0, v2
	v_addc_co_u32_e32 v3, vcc, v4, v3, vcc
	global_load_dwordx4 v[2:5], v[2:3], off
	v_mul_lo_u32 v6, v0, s7
	v_mul_lo_u32 v7, v1, s6
	v_mad_u64_u32 v[0:1], s[0:1], v0, s6, 0
	v_add3_u32 v1, v1, v6, v7
	v_lshlrev_b64 v[0:1], 4, v[0:1]
	v_mov_b32_e32 v6, s3
	v_add_co_u32_e32 v0, vcc, s2, v0
	v_addc_co_u32_e32 v1, vcc, v6, v1, vcc
	s_waitcnt vmcnt(0)
	global_store_dwordx4 v[0:1], v[2:5], off
.LBB178_2:
	s_endpgm
	.section	.rodata,"a",@progbits
	.p2align	6, 0x0
	.amdhsa_kernel _ZN9rocsolver6v33100L7set_tauI19rocblas_complex_numIdEEEviPT_S5_l
		.amdhsa_group_segment_fixed_size 0
		.amdhsa_private_segment_fixed_size 0
		.amdhsa_kernarg_size 288
		.amdhsa_user_sgpr_count 6
		.amdhsa_user_sgpr_private_segment_buffer 1
		.amdhsa_user_sgpr_dispatch_ptr 0
		.amdhsa_user_sgpr_queue_ptr 0
		.amdhsa_user_sgpr_kernarg_segment_ptr 1
		.amdhsa_user_sgpr_dispatch_id 0
		.amdhsa_user_sgpr_flat_scratch_init 0
		.amdhsa_user_sgpr_kernarg_preload_length 0
		.amdhsa_user_sgpr_kernarg_preload_offset 0
		.amdhsa_user_sgpr_private_segment_size 0
		.amdhsa_uses_dynamic_stack 0
		.amdhsa_system_sgpr_private_segment_wavefront_offset 0
		.amdhsa_system_sgpr_workgroup_id_x 1
		.amdhsa_system_sgpr_workgroup_id_y 0
		.amdhsa_system_sgpr_workgroup_id_z 0
		.amdhsa_system_sgpr_workgroup_info 0
		.amdhsa_system_vgpr_workitem_id 0
		.amdhsa_next_free_vgpr 8
		.amdhsa_next_free_sgpr 8
		.amdhsa_accum_offset 8
		.amdhsa_reserve_vcc 1
		.amdhsa_reserve_flat_scratch 0
		.amdhsa_float_round_mode_32 0
		.amdhsa_float_round_mode_16_64 0
		.amdhsa_float_denorm_mode_32 3
		.amdhsa_float_denorm_mode_16_64 3
		.amdhsa_dx10_clamp 1
		.amdhsa_ieee_mode 1
		.amdhsa_fp16_overflow 0
		.amdhsa_tg_split 0
		.amdhsa_exception_fp_ieee_invalid_op 0
		.amdhsa_exception_fp_denorm_src 0
		.amdhsa_exception_fp_ieee_div_zero 0
		.amdhsa_exception_fp_ieee_overflow 0
		.amdhsa_exception_fp_ieee_underflow 0
		.amdhsa_exception_fp_ieee_inexact 0
		.amdhsa_exception_int_div_zero 0
	.end_amdhsa_kernel
	.section	.text._ZN9rocsolver6v33100L7set_tauI19rocblas_complex_numIdEEEviPT_S5_l,"axG",@progbits,_ZN9rocsolver6v33100L7set_tauI19rocblas_complex_numIdEEEviPT_S5_l,comdat
.Lfunc_end178:
	.size	_ZN9rocsolver6v33100L7set_tauI19rocblas_complex_numIdEEEviPT_S5_l, .Lfunc_end178-_ZN9rocsolver6v33100L7set_tauI19rocblas_complex_numIdEEEviPT_S5_l
                                        ; -- End function
	.section	.AMDGPU.csdata,"",@progbits
; Kernel info:
; codeLenInByte = 168
; NumSgprs: 12
; NumVgprs: 8
; NumAgprs: 0
; TotalNumVgprs: 8
; ScratchSize: 0
; MemoryBound: 0
; FloatMode: 240
; IeeeMode: 1
; LDSByteSize: 0 bytes/workgroup (compile time only)
; SGPRBlocks: 1
; VGPRBlocks: 0
; NumSGPRsForWavesPerEU: 12
; NumVGPRsForWavesPerEU: 8
; AccumOffset: 8
; Occupancy: 8
; WaveLimiterHint : 0
; COMPUTE_PGM_RSRC2:SCRATCH_EN: 0
; COMPUTE_PGM_RSRC2:USER_SGPR: 6
; COMPUTE_PGM_RSRC2:TRAP_HANDLER: 0
; COMPUTE_PGM_RSRC2:TGID_X_EN: 1
; COMPUTE_PGM_RSRC2:TGID_Y_EN: 0
; COMPUTE_PGM_RSRC2:TGID_Z_EN: 0
; COMPUTE_PGM_RSRC2:TIDIG_COMP_CNT: 0
; COMPUTE_PGM_RSRC3_GFX90A:ACCUM_OFFSET: 1
; COMPUTE_PGM_RSRC3_GFX90A:TG_SPLIT: 0
	.section	.text._ZN9rocsolver6v33100L24sytd2_upper_kernel_smallILi256E19rocblas_complex_numIdEidPS3_EEvT1_T3_lS5_lPT2_lS8_lPT0_l,"axG",@progbits,_ZN9rocsolver6v33100L24sytd2_upper_kernel_smallILi256E19rocblas_complex_numIdEidPS3_EEvT1_T3_lS5_lPT2_lS8_lPT0_l,comdat
	.globl	_ZN9rocsolver6v33100L24sytd2_upper_kernel_smallILi256E19rocblas_complex_numIdEidPS3_EEvT1_T3_lS5_lPT2_lS8_lPT0_l ; -- Begin function _ZN9rocsolver6v33100L24sytd2_upper_kernel_smallILi256E19rocblas_complex_numIdEidPS3_EEvT1_T3_lS5_lPT2_lS8_lPT0_l
	.p2align	8
	.type	_ZN9rocsolver6v33100L24sytd2_upper_kernel_smallILi256E19rocblas_complex_numIdEidPS3_EEvT1_T3_lS5_lPT2_lS8_lPT0_l,@function
_ZN9rocsolver6v33100L24sytd2_upper_kernel_smallILi256E19rocblas_complex_numIdEidPS3_EEvT1_T3_lS5_lPT2_lS8_lPT0_l: ; @_ZN9rocsolver6v33100L24sytd2_upper_kernel_smallILi256E19rocblas_complex_numIdEidPS3_EEvT1_T3_lS5_lPT2_lS8_lPT0_l
; %bb.0:
	s_load_dwordx2 s[8:9], s[4:5], 0x20
	s_load_dword s33, s[4:5], 0x0
	s_load_dwordx4 s[0:3], s[4:5], 0x8
	s_load_dword s38, s[4:5], 0x18
	s_ashr_i32 s6, s7, 31
	s_waitcnt lgkmcnt(0)
	s_mul_i32 s9, s7, s9
	s_mul_hi_u32 s10, s7, s8
	s_add_i32 s9, s10, s9
	s_mul_i32 s10, s6, s8
	s_add_i32 s9, s9, s10
	s_mul_i32 s8, s7, s8
	s_lshl_b64 s[8:9], s[8:9], 4
	s_add_u32 s8, s0, s8
	s_addc_u32 s9, s1, s9
	s_lshl_b64 s[0:1], s[2:3], 4
	s_add_u32 s36, s8, s0
	v_and_b32_e32 v6, 0x7f, v0
	s_addc_u32 s37, s9, s1
	v_cmp_gt_i32_e64 s[0:1], s33, v6
	v_lshrrev_b32_e32 v7, 7, v0
	v_lshlrev_b32_e32 v18, 4, v6
	s_and_saveexec_b64 s[8:9], s[0:1]
	s_cbranch_execz .LBB179_6
; %bb.1:
	v_lshrrev_b32_e32 v1, 7, v0
	v_mul_lo_u32 v2, s33, v1
	v_lshl_add_u32 v2, v2, 4, v18
	v_add3_u32 v8, v2, 0, 16
	v_mad_u64_u32 v[2:3], s[2:3], s38, v1, v[6:7]
	v_cmp_gt_u32_e32 vcc, s33, v1
	s_lshl_b32 s16, s33, 5
	s_lshl_b32 s17, s38, 1
	s_mov_b64 s[10:11], 0
	v_mov_b32_e32 v3, v6
	s_branch .LBB179_3
.LBB179_2:                              ;   in Loop: Header=BB179_3 Depth=1
	s_or_b64 exec, exec, s[12:13]
	v_add_u32_e32 v3, 0x80, v3
	v_cmp_le_i32_e64 s[2:3], s33, v3
	v_add_u32_e32 v8, 0x800, v8
	s_or_b64 s[10:11], s[2:3], s[10:11]
	v_add_u32_e32 v2, 0x80, v2
	s_andn2_b64 exec, exec, s[10:11]
	s_cbranch_execz .LBB179_6
.LBB179_3:                              ; =>This Loop Header: Depth=1
                                        ;     Child Loop BB179_5 Depth 2
	s_and_saveexec_b64 s[12:13], vcc
	s_cbranch_execz .LBB179_2
; %bb.4:                                ;   in Loop: Header=BB179_3 Depth=1
	s_mov_b64 s[14:15], 0
	v_mov_b32_e32 v4, v2
	v_mov_b32_e32 v9, v8
	;; [unrolled: 1-line block ×3, first 2 shown]
.LBB179_5:                              ;   Parent Loop BB179_3 Depth=1
                                        ; =>  This Inner Loop Header: Depth=2
	v_ashrrev_i32_e32 v5, 31, v4
	v_lshlrev_b64 v[12:13], 4, v[4:5]
	v_mov_b32_e32 v11, s37
	v_add_co_u32_e64 v12, s[2:3], s36, v12
	v_addc_co_u32_e64 v13, s[2:3], v11, v13, s[2:3]
	global_load_dwordx4 v[12:15], v[12:13], off
	v_add_u32_e32 v10, 2, v10
	v_cmp_le_i32_e64 s[2:3], s33, v10
	v_add_u32_e32 v4, s17, v4
	s_or_b64 s[14:15], s[2:3], s[14:15]
	s_waitcnt vmcnt(0)
	ds_write2_b64 v9, v[12:13], v[14:15] offset1:1
	v_add_u32_e32 v9, s16, v9
	s_andn2_b64 exec, exec, s[14:15]
	s_cbranch_execnz .LBB179_5
	s_branch .LBB179_2
.LBB179_6:
	s_or_b64 exec, exec, s[8:9]
	s_waitcnt lgkmcnt(0)
	s_barrier
	s_and_saveexec_b64 s[8:9], s[0:1]
	s_cbranch_execz .LBB179_16
; %bb.7:
	v_lshrrev_b32_e32 v1, 7, v0
	v_mul_lo_u32 v2, s33, v6
	v_lshlrev_b32_e32 v3, 4, v1
	v_lshl_add_u32 v2, v2, 4, v3
	v_add3_u32 v4, v2, 0, 16
	v_mul_lo_u32 v2, s33, v1
	v_lshl_add_u32 v2, v2, 4, v18
	v_cmp_gt_u32_e32 vcc, s33, v1
	s_lshl_b32 s18, s33, 11
	v_add3_u32 v5, v2, 0, 16
	s_lshl_b32 s19, s33, 5
	s_mov_b64 s[10:11], 0
	v_mov_b32_e32 v2, 0
	v_mov_b32_e32 v8, v6
	s_branch .LBB179_9
.LBB179_8:                              ;   in Loop: Header=BB179_9 Depth=1
	s_or_b64 exec, exec, s[12:13]
	v_add_u32_e32 v8, 0x80, v8
	v_cmp_le_i32_e64 s[2:3], s33, v8
	v_add_u32_e32 v4, s18, v4
	s_or_b64 s[10:11], s[2:3], s[10:11]
	v_add_u32_e32 v5, 0x800, v5
	s_andn2_b64 exec, exec, s[10:11]
	s_cbranch_execz .LBB179_16
.LBB179_9:                              ; =>This Loop Header: Depth=1
                                        ;     Child Loop BB179_12 Depth 2
	s_and_saveexec_b64 s[12:13], vcc
	s_cbranch_execz .LBB179_8
; %bb.10:                               ;   in Loop: Header=BB179_9 Depth=1
	v_mul_lo_u32 v9, v8, s33
	v_lshl_add_u32 v3, v8, 4, 0
	v_lshlrev_b32_e32 v9, 4, v9
	v_add3_u32 v9, v3, v9, 8
	s_mov_b64 s[14:15], 0
	v_mov_b32_e32 v10, v5
	v_mov_b32_e32 v11, v4
	;; [unrolled: 1-line block ×3, first 2 shown]
	s_branch .LBB179_12
.LBB179_11:                             ;   in Loop: Header=BB179_12 Depth=2
	s_or_b64 exec, exec, s[16:17]
	v_add_u32_e32 v12, 2, v12
	v_cmp_le_i32_e64 s[2:3], s33, v12
	v_add_u32_e32 v11, 32, v11
	s_or_b64 s[14:15], s[2:3], s[14:15]
	v_add_u32_e32 v10, s19, v10
	s_andn2_b64 exec, exec, s[14:15]
	s_cbranch_execz .LBB179_8
.LBB179_12:                             ;   Parent Loop BB179_9 Depth=1
                                        ; =>  This Inner Loop Header: Depth=2
	v_cmp_eq_u32_e64 s[2:3], v8, v12
	s_and_saveexec_b64 s[16:17], s[2:3]
	s_cbranch_execz .LBB179_14
; %bb.13:                               ;   in Loop: Header=BB179_12 Depth=2
	v_mov_b32_e32 v3, v2
	ds_write_b64 v9, v[2:3] offset:16
.LBB179_14:                             ;   in Loop: Header=BB179_12 Depth=2
	s_or_b64 exec, exec, s[16:17]
	v_cmp_gt_u32_e64 s[2:3], v8, v12
	s_and_saveexec_b64 s[16:17], s[2:3]
	s_cbranch_execz .LBB179_11
; %bb.15:                               ;   in Loop: Header=BB179_12 Depth=2
	ds_read2_b64 v[14:17], v11 offset1:1
	s_waitcnt lgkmcnt(0)
	v_xor_b32_e32 v17, 0x80000000, v17
	ds_write2_b64 v10, v[14:15], v[16:17] offset1:1
	s_branch .LBB179_11
.LBB179_16:
	s_or_b64 exec, exec, s[8:9]
	s_cmp_lt_i32 s33, 2
	s_waitcnt lgkmcnt(0)
	s_barrier
	s_cbranch_scc1 .LBB179_66
; %bb.17:
	s_load_dwordx8 s[8:15], s[4:5], 0x38
	v_mbcnt_lo_u32_b32 v1, -1, 0
	v_mbcnt_hi_u32_b32 v2, -1, v1
	v_and_b32_e32 v3, 63, v2
	v_cmp_ne_u32_e32 vcc, 63, v3
	s_waitcnt lgkmcnt(0)
	s_mul_i32 s3, s7, s11
	s_mul_hi_u32 s4, s7, s10
	s_mul_i32 s5, s6, s10
	s_add_i32 s3, s4, s3
	s_mul_i32 s2, s7, s10
	s_add_i32 s3, s3, s5
	s_lshl_b64 s[2:3], s[2:3], 3
	s_mul_i32 s10, s7, s15
	s_add_u32 s39, s8, s2
	s_mul_hi_u32 s2, s7, s14
	s_addc_u32 s40, s9, s3
	s_add_i32 s2, s2, s10
	s_mul_i32 s3, s6, s14
	s_add_i32 s3, s2, s3
	s_mul_i32 s2, s7, s14
	v_addc_co_u32_e32 v1, vcc, 0, v2, vcc
	s_lshl_b64 s[2:3], s[2:3], 4
	v_cmp_gt_u32_e32 vcc, 62, v3
	s_add_u32 s41, s12, s2
	s_mul_i32 s2, s33, s33
	v_cndmask_b32_e64 v4, 0, 1, vcc
	s_addc_u32 s42, s13, s3
	s_lshl_b32 s2, s2, 4
	v_lshlrev_b32_e32 v4, 1, v4
	v_cmp_gt_u32_e32 vcc, 60, v3
	s_add_i32 s2, s2, 0
	s_lshl_b32 s44, s33, 4
	v_add_lshl_u32 v19, v4, v2, 2
	v_cndmask_b32_e64 v4, 0, 1, vcc
	s_add_i32 s46, s2, s44
	v_lshlrev_b32_e32 v4, 2, v4
	v_cmp_gt_u32_e32 vcc, 56, v3
	s_add_i32 s43, s2, 16
	s_add_i32 s45, s46, s44
	v_add_lshl_u32 v20, v4, v2, 2
	v_cndmask_b32_e64 v4, 0, 1, vcc
	v_lshlrev_b32_e32 v4, 3, v4
	v_cmp_gt_u32_e32 vcc, 48, v3
	s_cmp_eq_u64 s[8:9], 0
	v_add_lshl_u32 v21, v4, v2, 2
	v_cndmask_b32_e64 v4, 0, 1, vcc
	v_cmp_gt_u32_e32 vcc, 32, v3
	s_cselect_b64 s[12:13], -1, 0
	s_cmp_lg_u64 s[8:9], 0
	v_cndmask_b32_e64 v3, 0, 1, vcc
	s_cselect_b64 s[14:15], -1, 0
	s_add_i32 s6, s33, -1
	v_lshlrev_b32_e32 v3, 5, v3
	s_mul_i32 s6, s33, s6
	v_add_lshl_u32 v23, v3, v2, 2
	v_lshlrev_b32_e32 v3, 4, v0
	s_lshl_b32 s6, s6, 4
	v_add_u32_e32 v24, s43, v3
	s_add_i32 s6, s6, 0
	v_add_u32_e32 v3, 16, v3
	v_lshlrev_b32_e32 v4, 4, v4
	v_add_u32_e32 v25, s6, v3
	s_add_i32 s6, s44, 16
	v_add_lshl_u32 v22, v4, v2, 2
	v_and_b32_e32 v2, 63, v0
	s_mul_i32 s6, s33, s6
	v_cmp_eq_u32_e64 s[2:3], 0, v2
	v_lshrrev_b32_e32 v2, 2, v0
	s_add_i32 s6, s6, 0
	s_mov_b32 s16, 0
	s_mov_b32 s11, 0
	v_lshlrev_b32_e32 v1, 2, v1
	v_cmp_eq_u32_e64 s[4:5], 0, v0
	s_add_i32 s46, s46, 16
	s_sub_i32 s47, 0, s44
	v_add_u32_e32 v26, 0, v3
	v_add_u32_e32 v27, s6, v3
	s_brev_b32 s17, 8
	v_mov_b32_e32 v28, 0x260
	v_mov_b32_e32 v8, 0
	v_add_u32_e32 v29, s45, v2
	v_mov_b32_e32 v30, 0xffffff80
	s_mov_b32 s48, s33
	s_branch .LBB179_19
.LBB179_18:                             ;   in Loop: Header=BB179_19 Depth=1
	s_or_b64 exec, exec, s[8:9]
	v_add_u32_e32 v25, s47, v25
	s_cmp_lt_i32 s48, 3
	s_mov_b32 s48, s49
	s_waitcnt lgkmcnt(0)
	s_barrier
	s_cbranch_scc1 .LBB179_66
.LBB179_19:                             ; =>This Loop Header: Depth=1
                                        ;     Child Loop BB179_21 Depth 2
                                        ;     Child Loop BB179_24 Depth 2
	;; [unrolled: 1-line block ×4, first 2 shown]
                                        ;       Child Loop BB179_46 Depth 3
                                        ;     Child Loop BB179_49 Depth 2
                                        ;     Child Loop BB179_52 Depth 2
	;; [unrolled: 1-line block ×4, first 2 shown]
                                        ;       Child Loop BB179_64 Depth 3
	s_add_i32 s49, s48, -1
	v_cmp_gt_i32_e64 s[6:7], s49, v0
	s_and_saveexec_b64 s[8:9], s[6:7]
	s_cbranch_execz .LBB179_22
; %bb.20:                               ;   in Loop: Header=BB179_19 Depth=1
	s_mov_b64 s[18:19], 0
	v_mov_b32_e32 v2, v25
	v_mov_b32_e32 v3, v24
	;; [unrolled: 1-line block ×3, first 2 shown]
.LBB179_21:                             ;   Parent Loop BB179_19 Depth=1
                                        ; =>  This Inner Loop Header: Depth=2
	ds_read2_b64 v[10:13], v2 offset1:1
	v_add_u32_e32 v4, 0x100, v4
	v_cmp_le_i32_e32 vcc, s49, v4
	v_add_u32_e32 v2, 0x1000, v2
	s_or_b64 s[18:19], vcc, s[18:19]
	s_waitcnt lgkmcnt(0)
	ds_write2_b64 v3, v[10:11], v[12:13] offset1:1
	v_add_u32_e32 v3, 0x1000, v3
	s_andn2_b64 exec, exec, s[18:19]
	s_cbranch_execnz .LBB179_21
.LBB179_22:                             ;   in Loop: Header=BB179_19 Depth=1
	s_or_b64 exec, exec, s[8:9]
	s_add_i32 s10, s48, -2
	v_pk_mov_b32 v[2:3], 0, 0
	v_cmp_gt_i32_e64 s[8:9], s10, v0
	v_pk_mov_b32 v[4:5], v[2:3], v[2:3] op_sel:[0,1]
	s_waitcnt lgkmcnt(0)
	s_barrier
	s_and_saveexec_b64 s[18:19], s[8:9]
	s_cbranch_execz .LBB179_26
; %bb.23:                               ;   in Loop: Header=BB179_19 Depth=1
	v_pk_mov_b32 v[2:3], 0, 0
	s_mov_b64 s[20:21], 0
	v_mov_b32_e32 v9, v24
	v_mov_b32_e32 v10, v0
	v_pk_mov_b32 v[4:5], v[2:3], v[2:3] op_sel:[0,1]
.LBB179_24:                             ;   Parent Loop BB179_19 Depth=1
                                        ; =>  This Inner Loop Header: Depth=2
	ds_read2_b64 v[12:15], v9 offset1:1
	v_add_u32_e32 v10, 0x100, v10
	v_cmp_le_i32_e32 vcc, s10, v10
	v_add_u32_e32 v9, 0x1000, v9
	s_or_b64 s[20:21], vcc, s[20:21]
	s_waitcnt lgkmcnt(0)
	v_mul_f64 v[16:17], v[14:15], v[14:15]
	v_mul_f64 v[32:33], v[12:13], v[14:15]
	v_fmac_f64_e32 v[16:17], v[12:13], v[12:13]
	v_fma_f64 v[12:13], v[12:13], v[14:15], -v[32:33]
	v_add_f64 v[4:5], v[4:5], v[16:17]
	v_add_f64 v[2:3], v[2:3], v[12:13]
	s_andn2_b64 exec, exec, s[20:21]
	s_cbranch_execnz .LBB179_24
; %bb.25:                               ;   in Loop: Header=BB179_19 Depth=1
	s_or_b64 exec, exec, s[20:21]
.LBB179_26:                             ;   in Loop: Header=BB179_19 Depth=1
	s_or_b64 exec, exec, s[18:19]
	ds_bpermute_b32 v10, v1, v4
	ds_bpermute_b32 v11, v1, v5
	;; [unrolled: 1-line block ×4, first 2 shown]
	s_waitcnt lgkmcnt(2)
	v_add_f64 v[4:5], v[4:5], v[10:11]
	ds_bpermute_b32 v10, v19, v4
	s_waitcnt lgkmcnt(1)
	v_add_f64 v[2:3], v[2:3], v[12:13]
	ds_bpermute_b32 v11, v19, v5
	ds_bpermute_b32 v12, v19, v2
	ds_bpermute_b32 v13, v19, v3
	s_waitcnt lgkmcnt(2)
	v_add_f64 v[4:5], v[4:5], v[10:11]
	ds_bpermute_b32 v10, v20, v4
	s_waitcnt lgkmcnt(1)
	v_add_f64 v[2:3], v[2:3], v[12:13]
	ds_bpermute_b32 v11, v20, v5
	ds_bpermute_b32 v12, v20, v2
	ds_bpermute_b32 v13, v20, v3
	s_waitcnt lgkmcnt(2)
	v_add_f64 v[4:5], v[4:5], v[10:11]
	ds_bpermute_b32 v10, v21, v4
	s_waitcnt lgkmcnt(1)
	v_add_f64 v[2:3], v[2:3], v[12:13]
	ds_bpermute_b32 v11, v21, v5
	ds_bpermute_b32 v12, v21, v2
	ds_bpermute_b32 v13, v21, v3
	s_waitcnt lgkmcnt(2)
	v_add_f64 v[4:5], v[4:5], v[10:11]
	ds_bpermute_b32 v10, v22, v4
	s_waitcnt lgkmcnt(1)
	v_add_f64 v[2:3], v[2:3], v[12:13]
	ds_bpermute_b32 v11, v22, v5
	ds_bpermute_b32 v12, v22, v2
	ds_bpermute_b32 v13, v22, v3
	s_waitcnt lgkmcnt(2)
	v_add_f64 v[14:15], v[4:5], v[10:11]
	s_waitcnt lgkmcnt(0)
	v_add_f64 v[4:5], v[2:3], v[12:13]
	ds_bpermute_b32 v2, v23, v14
	ds_bpermute_b32 v3, v23, v15
	ds_bpermute_b32 v10, v23, v4
	ds_bpermute_b32 v11, v23, v5
	s_waitcnt lgkmcnt(2)
	v_add_f64 v[2:3], v[14:15], v[2:3]
	s_and_saveexec_b64 s[18:19], s[2:3]
	s_cbranch_execz .LBB179_28
; %bb.27:                               ;   in Loop: Header=BB179_19 Depth=1
	s_waitcnt lgkmcnt(0)
	v_add_f64 v[4:5], v[4:5], v[10:11]
	ds_write2_b64 v29, v[2:3], v[4:5] offset0:2 offset1:3
.LBB179_28:                             ;   in Loop: Header=BB179_19 Depth=1
	s_or_b64 exec, exec, s[18:19]
	s_waitcnt lgkmcnt(0)
	s_barrier
	s_and_saveexec_b64 s[18:19], s[4:5]
	s_cbranch_execz .LBB179_40
; %bb.29:                               ;   in Loop: Header=BB179_19 Depth=1
	v_mov_b32_e32 v4, s45
	ds_read2_b64 v[12:15], v4 offset0:4 offset1:6
	s_lshl_b32 s20, s10, 4
	s_add_i32 s50, s43, s20
	v_mov_b32_e32 v9, s50
	ds_read_b64 v[4:5], v4 offset:64
	ds_read_b64 v[10:11], v9 offset:8
	s_waitcnt lgkmcnt(2)
	v_add_f64 v[2:3], v[2:3], v[12:13]
	v_add_f64 v[2:3], v[2:3], v[14:15]
	s_mov_b64 s[28:29], 0
	s_waitcnt lgkmcnt(1)
	v_add_f64 v[16:17], v[2:3], v[4:5]
	s_waitcnt lgkmcnt(0)
	v_mul_f64 v[12:13], v[10:11], v[10:11]
	v_max_f64 v[2:3], v[16:17], v[12:13]
	v_cmp_nlt_f64_e32 vcc, 0, v[2:3]
	s_mov_b64 s[24:25], 0
                                        ; implicit-def: $sgpr20_sgpr21
                                        ; implicit-def: $sgpr22_sgpr23
                                        ; implicit-def: $sgpr34_sgpr35
                                        ; implicit-def: $sgpr30_sgpr31
	s_and_saveexec_b64 s[26:27], vcc
	s_xor_b64 s[26:27], exec, s[26:27]
                                        ; implicit-def: $vgpr2_vgpr3_vgpr4_vgpr5
	s_cbranch_execz .LBB179_33
; %bb.30:                               ;   in Loop: Header=BB179_19 Depth=1
	s_mov_b32 s20, s11
	s_mov_b32 s21, s11
	;; [unrolled: 1-line block ×4, first 2 shown]
	v_pk_mov_b32 v[2:3], s[20:21], s[20:21] op_sel:[0,1]
	v_pk_mov_b32 v[4:5], s[22:23], s[22:23] op_sel:[0,1]
	s_mov_b64 s[20:21], 0
	s_and_b64 vcc, exec, s[14:15]
	ds_write2_b64 v8, v[2:3], v[4:5] offset1:1
                                        ; implicit-def: $sgpr34_sgpr35
                                        ; implicit-def: $sgpr30_sgpr31
                                        ; implicit-def: $vgpr2_vgpr3_vgpr4_vgpr5
	s_cbranch_vccz .LBB179_32
; %bb.31:                               ;   in Loop: Header=BB179_19 Depth=1
	v_mov_b32_e32 v2, s50
	ds_read_b64 v[2:3], v2
	s_mov_b64 s[24:25], -1
	s_mov_b64 s[30:31], 1.0
	s_mov_b64 s[34:35], 0
.LBB179_32:                             ;   in Loop: Header=BB179_19 Depth=1
	s_mov_b64 s[22:23], 1.0
	s_and_b64 s[24:25], s[24:25], exec
                                        ; implicit-def: $vgpr12_vgpr13
                                        ; implicit-def: $vgpr16_vgpr17
                                        ; implicit-def: $vgpr10_vgpr11
.LBB179_33:                             ;   in Loop: Header=BB179_19 Depth=1
	s_or_saveexec_b64 s[26:27], s[26:27]
	v_pk_mov_b32 v[14:15], s[34:35], s[34:35] op_sel:[0,1]
	v_pk_mov_b32 v[4:5], s[30:31], s[30:31] op_sel:[0,1]
	s_xor_b64 exec, exec, s[26:27]
	s_cbranch_execz .LBB179_35
; %bb.34:                               ;   in Loop: Header=BB179_19 Depth=1
	s_waitcnt lgkmcnt(0)
	v_mov_b32_e32 v2, s50
	ds_read_b64 v[14:15], v2
	s_andn2_b64 s[24:25], s[24:25], exec
	s_and_b64 s[30:31], s[14:15], exec
	s_or_b64 s[24:25], s[24:25], s[30:31]
	s_waitcnt lgkmcnt(0)
	v_fma_f64 v[2:3], v[14:15], v[14:15], v[12:13]
	v_add_f64 v[2:3], v[16:17], v[2:3]
	v_cmp_gt_f64_e32 vcc, s[16:17], v[2:3]
	v_cndmask_b32_e64 v4, 0, 1, vcc
	v_lshlrev_b32_e32 v4, 8, v4
	v_ldexp_f64 v[2:3], v[2:3], v4
	v_rsq_f64_e32 v[4:5], v[2:3]
	v_cndmask_b32_e32 v9, 0, v30, vcc
	v_cmp_class_f64_e32 vcc, v[2:3], v28
	v_mul_f64 v[16:17], v[2:3], v[4:5]
	v_mul_f64 v[4:5], v[4:5], 0.5
	v_fma_f64 v[32:33], -v[4:5], v[16:17], 0.5
	v_fmac_f64_e32 v[16:17], v[16:17], v[32:33]
	v_fmac_f64_e32 v[4:5], v[4:5], v[32:33]
	v_fma_f64 v[32:33], -v[16:17], v[16:17], v[2:3]
	v_fmac_f64_e32 v[16:17], v[32:33], v[4:5]
	v_fma_f64 v[32:33], -v[16:17], v[16:17], v[2:3]
	v_fmac_f64_e32 v[16:17], v[32:33], v[4:5]
	v_ldexp_f64 v[4:5], v[16:17], v9
	v_cndmask_b32_e32 v3, v5, v3, vcc
	v_cndmask_b32_e32 v2, v4, v2, vcc
	v_xor_b32_e32 v4, 0x80000000, v3
	v_cmp_le_f64_e32 vcc, 0, v[14:15]
	v_cndmask_b32_e32 v3, v3, v4, vcc
	v_add_f64 v[4:5], v[14:15], -v[2:3]
	v_fmac_f64_e32 v[12:13], v[4:5], v[4:5]
	v_div_scale_f64 v[16:17], s[28:29], v[12:13], v[12:13], v[4:5]
	v_rcp_f64_e32 v[32:33], v[16:17]
	v_div_scale_f64 v[34:35], vcc, v[4:5], v[12:13], v[4:5]
	v_fma_f64 v[36:37], -v[16:17], v[32:33], 1.0
	v_fmac_f64_e32 v[32:33], v[32:33], v[36:37]
	v_fma_f64 v[36:37], -v[16:17], v[32:33], 1.0
	v_fmac_f64_e32 v[32:33], v[32:33], v[36:37]
	v_mul_f64 v[36:37], v[34:35], v[32:33]
	v_fma_f64 v[16:17], -v[16:17], v[36:37], v[34:35]
	v_div_scale_f64 v[34:35], s[28:29], v[12:13], v[12:13], -v[10:11]
	v_rcp_f64_e32 v[38:39], v[34:35]
	v_div_fmas_f64 v[16:17], v[16:17], v[32:33], v[36:37]
	v_div_fixup_f64 v[4:5], v[16:17], v[12:13], v[4:5]
	v_fma_f64 v[16:17], -v[34:35], v[38:39], 1.0
	v_fmac_f64_e32 v[38:39], v[38:39], v[16:17]
	v_fma_f64 v[16:17], -v[34:35], v[38:39], 1.0
	v_fmac_f64_e32 v[38:39], v[38:39], v[16:17]
	v_div_scale_f64 v[16:17], vcc, -v[10:11], v[12:13], -v[10:11]
	v_mul_f64 v[32:33], v[16:17], v[38:39]
	v_fma_f64 v[16:17], -v[34:35], v[32:33], v[16:17]
	v_add_f64 v[34:35], v[2:3], -v[14:15]
	v_div_scale_f64 v[36:37], s[28:29], v[2:3], v[2:3], v[34:35]
	v_rcp_f64_e32 v[40:41], v[36:37]
	v_div_fmas_f64 v[14:15], v[16:17], v[38:39], v[32:33]
	v_div_fixup_f64 v[14:15], v[14:15], v[12:13], -v[10:11]
	v_div_scale_f64 v[32:33], s[28:29], v[2:3], v[2:3], -v[10:11]
	v_fma_f64 v[12:13], -v[36:37], v[40:41], 1.0
	v_fmac_f64_e32 v[40:41], v[40:41], v[12:13]
	v_fma_f64 v[12:13], -v[36:37], v[40:41], 1.0
	v_fmac_f64_e32 v[40:41], v[40:41], v[12:13]
	v_div_scale_f64 v[12:13], vcc, v[34:35], v[2:3], v[34:35]
	v_mul_f64 v[16:17], v[12:13], v[40:41]
	v_fma_f64 v[12:13], -v[36:37], v[16:17], v[12:13]
	v_rcp_f64_e32 v[36:37], v[32:33]
	s_nop 0
	v_div_fmas_f64 v[12:13], v[12:13], v[40:41], v[16:17]
	v_div_fixup_f64 v[12:13], v[12:13], v[2:3], v[34:35]
	s_and_b64 s[28:29], s[12:13], exec
	v_fma_f64 v[16:17], -v[32:33], v[36:37], 1.0
	v_fmac_f64_e32 v[36:37], v[36:37], v[16:17]
	v_fma_f64 v[16:17], -v[32:33], v[36:37], 1.0
	v_fmac_f64_e32 v[36:37], v[36:37], v[16:17]
	v_div_scale_f64 v[16:17], vcc, -v[10:11], v[2:3], -v[10:11]
	v_mul_f64 v[34:35], v[16:17], v[36:37]
	v_fma_f64 v[16:17], -v[32:33], v[34:35], v[16:17]
	s_nop 1
	v_div_fmas_f64 v[16:17], v[16:17], v[36:37], v[34:35]
	v_div_fixup_f64 v[10:11], v[16:17], v[2:3], -v[10:11]
	ds_write2_b64 v8, v[12:13], v[10:11] offset1:1
.LBB179_35:                             ;   in Loop: Header=BB179_19 Depth=1
	s_or_b64 exec, exec, s[26:27]
	s_and_saveexec_b64 s[26:27], s[24:25]
	s_cbranch_execz .LBB179_37
; %bb.36:                               ;   in Loop: Header=BB179_19 Depth=1
	s_lshl_b64 s[24:25], s[10:11], 3
	s_add_u32 s24, s39, s24
	s_addc_u32 s25, s40, s25
	s_waitcnt lgkmcnt(0)
	global_store_dwordx2 v8, v[2:3], s[24:25]
	v_mov_b32_e32 v2, 0
	v_mov_b32_e32 v3, 0x3ff00000
	s_or_b64 s[28:29], s[28:29], exec
.LBB179_37:                             ;   in Loop: Header=BB179_19 Depth=1
	s_or_b64 exec, exec, s[26:27]
	v_pk_mov_b32 v[10:11], s[22:23], s[22:23] op_sel:[0,1]
	v_pk_mov_b32 v[12:13], s[20:21], s[20:21] op_sel:[0,1]
	s_and_saveexec_b64 s[20:21], s[28:29]
	s_cbranch_execz .LBB179_39
; %bb.38:                               ;   in Loop: Header=BB179_19 Depth=1
	v_mov_b32_e32 v9, v8
	v_mov_b32_e32 v10, s50
	s_waitcnt lgkmcnt(0)
	ds_write2_b64 v10, v[2:3], v[8:9] offset1:1
	v_pk_mov_b32 v[10:11], v[4:5], v[4:5] op_sel:[0,1]
	v_pk_mov_b32 v[12:13], v[14:15], v[14:15] op_sel:[0,1]
.LBB179_39:                             ;   in Loop: Header=BB179_19 Depth=1
	s_or_b64 exec, exec, s[20:21]
	s_waitcnt lgkmcnt(0)
	ds_read2_b64 v[2:5], v8 offset1:1
	s_lshl_b64 s[20:21], s[10:11], 4
	s_add_u32 s20, s41, s20
	v_mov_b32_e32 v9, s45
	s_addc_u32 s21, s42, s21
	s_waitcnt lgkmcnt(0)
	global_store_dwordx4 v8, v[2:5], s[20:21]
	ds_write2_b64 v9, v[10:11], v[12:13] offset0:2 offset1:3
.LBB179_40:                             ;   in Loop: Header=BB179_19 Depth=1
	s_or_b64 exec, exec, s[18:19]
	s_waitcnt lgkmcnt(0)
	s_barrier
	s_and_saveexec_b64 s[18:19], s[8:9]
	s_cbranch_execz .LBB179_43
; %bb.41:                               ;   in Loop: Header=BB179_19 Depth=1
	s_mov_b64 s[8:9], 0
	v_mov_b32_e32 v2, v24
	v_mov_b32_e32 v3, v0
.LBB179_42:                             ;   Parent Loop BB179_19 Depth=1
                                        ; =>  This Inner Loop Header: Depth=2
	v_mov_b32_e32 v4, s45
	ds_read2_b64 v[10:13], v2 offset1:1
	ds_read2_b64 v[14:17], v4 offset0:2 offset1:3
	v_add_u32_e32 v3, 0x100, v3
	v_cmp_le_i32_e32 vcc, s10, v3
	s_or_b64 s[8:9], vcc, s[8:9]
	s_waitcnt lgkmcnt(0)
	v_mul_f64 v[4:5], v[16:17], v[12:13]
	v_mul_f64 v[12:13], v[14:15], v[12:13]
	v_fma_f64 v[4:5], v[14:15], v[10:11], -v[4:5]
	v_fmac_f64_e32 v[12:13], v[16:17], v[10:11]
	ds_write2_b64 v2, v[4:5], v[12:13] offset1:1
	v_add_u32_e32 v2, 0x1000, v2
	s_andn2_b64 exec, exec, s[8:9]
	s_cbranch_execnz .LBB179_42
.LBB179_43:                             ;   in Loop: Header=BB179_19 Depth=1
	s_or_b64 exec, exec, s[18:19]
	s_waitcnt lgkmcnt(0)
	s_barrier
	s_and_saveexec_b64 s[8:9], s[6:7]
	s_cbranch_execz .LBB179_50
; %bb.44:                               ;   in Loop: Header=BB179_19 Depth=1
	s_mov_b64 s[18:19], 0
	v_mov_b32_e32 v9, v26
	v_mov_b32_e32 v10, v0
.LBB179_45:                             ;   Parent Loop BB179_19 Depth=1
                                        ; =>  This Loop Header: Depth=2
                                        ;       Child Loop BB179_46 Depth 3
	v_pk_mov_b32 v[2:3], 0, 0
	s_mov_b32 s10, 0
	v_mov_b32_e32 v11, v9
	s_mov_b32 s20, s43
	v_pk_mov_b32 v[4:5], v[2:3], v[2:3] op_sel:[0,1]
.LBB179_46:                             ;   Parent Loop BB179_19 Depth=1
                                        ;     Parent Loop BB179_45 Depth=2
                                        ; =>    This Inner Loop Header: Depth=3
	v_mov_b32_e32 v16, s20
	ds_read2_b64 v[12:15], v11 offset1:1
	ds_read2_b64 v[32:35], v16 offset1:1
	s_add_i32 s10, s10, 1
	s_add_i32 s20, s20, 16
	v_add_u32_e32 v11, s44, v11
	s_cmp_ge_i32 s10, s49
	s_waitcnt lgkmcnt(0)
	v_mul_f64 v[16:17], v[34:35], v[14:15]
	v_mul_f64 v[14:15], v[32:33], v[14:15]
	v_fma_f64 v[16:17], v[32:33], v[12:13], -v[16:17]
	v_fmac_f64_e32 v[14:15], v[34:35], v[12:13]
	v_add_f64 v[4:5], v[4:5], v[16:17]
	v_add_f64 v[2:3], v[2:3], v[14:15]
	s_cbranch_scc0 .LBB179_46
; %bb.47:                               ;   in Loop: Header=BB179_45 Depth=2
	ds_read2_b64 v[12:15], v8 offset1:1
	v_lshl_add_u32 v11, v10, 4, s46
	v_add_u32_e32 v10, 0x100, v10
	v_cmp_le_i32_e32 vcc, s49, v10
	s_or_b64 s[18:19], vcc, s[18:19]
	s_waitcnt lgkmcnt(0)
	v_mul_f64 v[16:17], v[2:3], v[14:15]
	v_mul_f64 v[14:15], v[4:5], v[14:15]
	v_fma_f64 v[4:5], v[4:5], v[12:13], -v[16:17]
	v_fmac_f64_e32 v[14:15], v[2:3], v[12:13]
	v_add_u32_e32 v9, 0x1000, v9
	ds_write2_b64 v11, v[4:5], v[14:15] offset1:1
	s_andn2_b64 exec, exec, s[18:19]
	s_cbranch_execnz .LBB179_45
; %bb.48:                               ;   in Loop: Header=BB179_19 Depth=1
	s_or_b64 exec, exec, s[18:19]
	s_mov_b32 s10, 0
	s_mov_b64 s[18:19], 0
	v_mov_b32_e32 v2, v0
.LBB179_49:                             ;   Parent Loop BB179_19 Depth=1
                                        ; =>  This Inner Loop Header: Depth=2
	v_add_u32_e32 v3, s10, v24
	ds_read2_b64 v[10:13], v3 offset1:1
	v_add_u32_e32 v2, 0x100, v2
	v_add_u32_e32 v4, s10, v25
	s_addk_i32 s10, 0x1000
	v_cmp_le_i32_e32 vcc, s49, v2
	s_or_b64 s[18:19], vcc, s[18:19]
	s_waitcnt lgkmcnt(0)
	ds_write2_b64 v4, v[10:11], v[12:13] offset1:1
	s_andn2_b64 exec, exec, s[18:19]
	s_cbranch_execnz .LBB179_49
.LBB179_50:                             ;   in Loop: Header=BB179_19 Depth=1
	s_or_b64 exec, exec, s[8:9]
	v_pk_mov_b32 v[2:3], 0, 0
	v_pk_mov_b32 v[4:5], v[2:3], v[2:3] op_sel:[0,1]
	s_waitcnt lgkmcnt(0)
	s_barrier
	s_and_saveexec_b64 s[8:9], s[6:7]
	s_cbranch_execz .LBB179_54
; %bb.51:                               ;   in Loop: Header=BB179_19 Depth=1
	v_pk_mov_b32 v[2:3], 0, 0
	s_mov_b64 s[18:19], 0
	v_mov_b32_e32 v9, v24
	v_mov_b32_e32 v10, v27
	;; [unrolled: 1-line block ×3, first 2 shown]
	v_pk_mov_b32 v[4:5], v[2:3], v[2:3] op_sel:[0,1]
.LBB179_52:                             ;   Parent Loop BB179_19 Depth=1
                                        ; =>  This Inner Loop Header: Depth=2
	ds_read2_b64 v[12:15], v10 offset1:1
	ds_read2_b64 v[32:35], v9 offset1:1
	v_add_u32_e32 v11, 0x100, v11
	v_cmp_le_i32_e32 vcc, s49, v11
	v_add_u32_e32 v10, 0x1000, v10
	v_add_u32_e32 v9, 0x1000, v9
	s_waitcnt lgkmcnt(0)
	v_mul_f64 v[16:17], v[14:15], v[34:35]
	v_mul_f64 v[14:15], v[14:15], v[32:33]
	v_fmac_f64_e32 v[16:17], v[12:13], v[32:33]
	v_fma_f64 v[12:13], v[12:13], v[34:35], -v[14:15]
	s_or_b64 s[18:19], vcc, s[18:19]
	v_add_f64 v[4:5], v[4:5], v[16:17]
	v_add_f64 v[2:3], v[2:3], v[12:13]
	s_andn2_b64 exec, exec, s[18:19]
	s_cbranch_execnz .LBB179_52
; %bb.53:                               ;   in Loop: Header=BB179_19 Depth=1
	s_or_b64 exec, exec, s[18:19]
.LBB179_54:                             ;   in Loop: Header=BB179_19 Depth=1
	s_or_b64 exec, exec, s[8:9]
	ds_bpermute_b32 v10, v1, v4
	ds_bpermute_b32 v11, v1, v5
	ds_bpermute_b32 v12, v1, v2
	ds_bpermute_b32 v13, v1, v3
	s_waitcnt lgkmcnt(2)
	v_add_f64 v[4:5], v[4:5], v[10:11]
	ds_bpermute_b32 v10, v19, v4
	s_waitcnt lgkmcnt(1)
	v_add_f64 v[2:3], v[2:3], v[12:13]
	ds_bpermute_b32 v11, v19, v5
	ds_bpermute_b32 v12, v19, v2
	ds_bpermute_b32 v13, v19, v3
	s_waitcnt lgkmcnt(2)
	v_add_f64 v[4:5], v[4:5], v[10:11]
	ds_bpermute_b32 v10, v20, v4
	s_waitcnt lgkmcnt(1)
	v_add_f64 v[2:3], v[2:3], v[12:13]
	ds_bpermute_b32 v11, v20, v5
	ds_bpermute_b32 v12, v20, v2
	ds_bpermute_b32 v13, v20, v3
	;; [unrolled: 8-line block ×4, first 2 shown]
	s_waitcnt lgkmcnt(2)
	v_add_f64 v[4:5], v[4:5], v[10:11]
	s_waitcnt lgkmcnt(0)
	v_add_f64 v[10:11], v[2:3], v[12:13]
	ds_bpermute_b32 v2, v23, v4
	ds_bpermute_b32 v3, v23, v5
	;; [unrolled: 1-line block ×4, first 2 shown]
	s_waitcnt lgkmcnt(2)
	v_add_f64 v[2:3], v[4:5], v[2:3]
	s_waitcnt lgkmcnt(0)
	v_add_f64 v[4:5], v[10:11], v[12:13]
	s_and_saveexec_b64 s[8:9], s[2:3]
	s_cbranch_execz .LBB179_56
; %bb.55:                               ;   in Loop: Header=BB179_19 Depth=1
	ds_write2_b64 v29, v[2:3], v[4:5] offset0:2 offset1:3
.LBB179_56:                             ;   in Loop: Header=BB179_19 Depth=1
	s_or_b64 exec, exec, s[8:9]
	s_waitcnt lgkmcnt(0)
	s_barrier
	s_and_saveexec_b64 s[8:9], s[4:5]
	s_cbranch_execz .LBB179_58
; %bb.57:                               ;   in Loop: Header=BB179_19 Depth=1
	v_mov_b32_e32 v9, s45
	ds_read2_b64 v[10:13], v9 offset0:4 offset1:5
	ds_read2_b64 v[14:17], v9 offset0:6 offset1:7
	;; [unrolled: 1-line block ×3, first 2 shown]
	ds_read2_b64 v[36:39], v8 offset1:1
	s_waitcnt lgkmcnt(3)
	v_add_f64 v[4:5], v[4:5], v[12:13]
	v_add_f64 v[2:3], v[2:3], v[10:11]
	s_waitcnt lgkmcnt(2)
	v_add_f64 v[4:5], v[4:5], v[16:17]
	v_add_f64 v[2:3], v[2:3], v[14:15]
	s_waitcnt lgkmcnt(1)
	v_add_f64 v[4:5], v[4:5], v[34:35]
	s_waitcnt lgkmcnt(0)
	v_mul_f64 v[12:13], v[38:39], -0.5
	v_add_f64 v[2:3], v[2:3], v[32:33]
	v_mul_f64 v[10:11], v[36:37], -0.5
	v_mul_f64 v[14:15], v[4:5], v[12:13]
	v_fma_f64 v[14:15], v[2:3], v[10:11], -v[14:15]
	v_mul_f64 v[2:3], v[2:3], v[12:13]
	v_fmac_f64_e32 v[2:3], v[4:5], v[10:11]
	ds_write2_b64 v9, v[14:15], v[2:3] offset0:2 offset1:3
.LBB179_58:                             ;   in Loop: Header=BB179_19 Depth=1
	s_or_b64 exec, exec, s[8:9]
	s_waitcnt lgkmcnt(0)
	s_barrier
	s_and_saveexec_b64 s[8:9], s[6:7]
	s_cbranch_execz .LBB179_61
; %bb.59:                               ;   in Loop: Header=BB179_19 Depth=1
	s_mov_b64 s[18:19], 0
	v_mov_b32_e32 v2, v24
	v_mov_b32_e32 v3, v27
	;; [unrolled: 1-line block ×3, first 2 shown]
.LBB179_60:                             ;   Parent Loop BB179_19 Depth=1
                                        ; =>  This Inner Loop Header: Depth=2
	v_mov_b32_e32 v5, s45
	ds_read2_b64 v[10:13], v2 offset1:1
	ds_read2_b64 v[32:35], v5 offset0:2 offset1:3
	ds_read2_b64 v[14:17], v3 offset1:1
	v_add_u32_e32 v4, 0x100, v4
	v_cmp_le_i32_e32 vcc, s49, v4
	v_add_u32_e32 v2, 0x1000, v2
	s_waitcnt lgkmcnt(1)
	v_mul_f64 v[36:37], v[12:13], v[34:35]
	v_mul_f64 v[34:35], v[10:11], v[34:35]
	v_fma_f64 v[10:11], v[10:11], v[32:33], -v[36:37]
	v_fmac_f64_e32 v[34:35], v[12:13], v[32:33]
	s_waitcnt lgkmcnt(0)
	v_add_f64 v[10:11], v[14:15], v[10:11]
	v_add_f64 v[12:13], v[16:17], v[34:35]
	s_or_b64 s[18:19], vcc, s[18:19]
	ds_write2_b64 v3, v[10:11], v[12:13] offset1:1
	v_add_u32_e32 v3, 0x1000, v3
	s_andn2_b64 exec, exec, s[18:19]
	s_cbranch_execnz .LBB179_60
.LBB179_61:                             ;   in Loop: Header=BB179_19 Depth=1
	s_or_b64 exec, exec, s[8:9]
	s_waitcnt lgkmcnt(0)
	s_barrier
	s_and_saveexec_b64 s[8:9], s[6:7]
	s_cbranch_execz .LBB179_18
; %bb.62:                               ;   in Loop: Header=BB179_19 Depth=1
	s_mov_b64 s[6:7], 0
	v_mov_b32_e32 v2, v26
	v_mov_b32_e32 v3, v0
.LBB179_63:                             ;   Parent Loop BB179_19 Depth=1
                                        ; =>  This Loop Header: Depth=2
                                        ;       Child Loop BB179_64 Depth 3
	v_lshlrev_b32_e32 v5, 4, v3
	v_add_u32_e32 v4, s43, v5
	v_add_u32_e32 v5, s46, v5
	s_mov_b32 s10, 0
	v_mov_b32_e32 v9, v2
	s_mov_b32 s18, s46
	s_mov_b32 s19, s43
.LBB179_64:                             ;   Parent Loop BB179_19 Depth=1
                                        ;     Parent Loop BB179_63 Depth=2
                                        ; =>    This Inner Loop Header: Depth=3
	v_mov_b32_e32 v31, s18
	v_mov_b32_e32 v40, s19
	ds_read2_b64 v[10:13], v9 offset1:1
	ds_read2_b64 v[14:17], v4 offset1:1
	;; [unrolled: 1-line block ×5, first 2 shown]
	s_add_i32 s10, s10, 1
	s_add_i32 s19, s19, 16
	;; [unrolled: 1-line block ×3, first 2 shown]
	s_waitcnt lgkmcnt(1)
	v_mul_f64 v[44:45], v[38:39], v[16:17]
	v_mul_f64 v[38:39], v[38:39], v[14:15]
	s_waitcnt lgkmcnt(0)
	v_mul_f64 v[46:47], v[42:43], v[34:35]
	v_mul_f64 v[42:43], v[42:43], v[32:33]
	v_fmac_f64_e32 v[44:45], v[36:37], v[14:15]
	v_fma_f64 v[14:15], v[36:37], v[16:17], -v[38:39]
	v_fmac_f64_e32 v[46:47], v[40:41], v[32:33]
	v_fma_f64 v[16:17], v[40:41], v[34:35], -v[42:43]
	v_add_f64 v[10:11], v[10:11], -v[44:45]
	v_add_f64 v[12:13], v[12:13], -v[14:15]
	v_add_f64 v[10:11], v[10:11], -v[46:47]
	v_add_f64 v[12:13], v[12:13], -v[16:17]
	s_cmp_ge_i32 s10, s49
	ds_write2_b64 v9, v[10:11], v[12:13] offset1:1
	v_add_u32_e32 v9, s44, v9
	s_cbranch_scc0 .LBB179_64
; %bb.65:                               ;   in Loop: Header=BB179_63 Depth=2
	v_add_u32_e32 v3, 0x100, v3
	v_cmp_le_i32_e32 vcc, s49, v3
	s_or_b64 s[6:7], vcc, s[6:7]
	v_add_u32_e32 v2, 0x1000, v2
	s_andn2_b64 exec, exec, s[6:7]
	s_cbranch_execnz .LBB179_63
	s_branch .LBB179_18
.LBB179_66:
	s_and_saveexec_b64 s[2:3], s[0:1]
	s_cbranch_execz .LBB179_74
; %bb.67:
	v_mad_u64_u32 v[0:1], s[0:1], s38, v7, v[6:7]
	v_mul_lo_u32 v1, s33, v7
	v_lshl_add_u32 v1, v1, 4, v18
	v_cmp_gt_u32_e32 vcc, s33, v7
	s_lshl_b32 s10, s38, 1
	v_add3_u32 v1, v1, 0, 16
	s_lshl_b32 s11, s33, 5
	s_mov_b64 s[2:3], 0
	s_branch .LBB179_69
.LBB179_68:                             ;   in Loop: Header=BB179_69 Depth=1
	s_or_b64 exec, exec, s[4:5]
	v_add_u32_e32 v6, 0x80, v6
	v_cmp_le_i32_e64 s[0:1], s33, v6
	v_add_u32_e32 v0, 0x80, v0
	s_or_b64 s[2:3], s[0:1], s[2:3]
	v_add_u32_e32 v1, 0x800, v1
	s_andn2_b64 exec, exec, s[2:3]
	s_cbranch_execz .LBB179_74
.LBB179_69:                             ; =>This Loop Header: Depth=1
                                        ;     Child Loop BB179_72 Depth 2
	s_and_saveexec_b64 s[4:5], vcc
	s_cbranch_execz .LBB179_68
; %bb.70:                               ;   in Loop: Header=BB179_69 Depth=1
	s_mov_b64 s[6:7], 0
	v_mov_b32_e32 v4, v1
	v_mov_b32_e32 v2, v0
	;; [unrolled: 1-line block ×3, first 2 shown]
	s_branch .LBB179_72
.LBB179_71:                             ;   in Loop: Header=BB179_72 Depth=2
	s_or_b64 exec, exec, s[8:9]
	v_add_u32_e32 v5, 2, v5
	v_cmp_le_i32_e64 s[0:1], s33, v5
	v_add_u32_e32 v2, s10, v2
	s_or_b64 s[6:7], s[0:1], s[6:7]
	v_add_u32_e32 v4, s11, v4
	s_andn2_b64 exec, exec, s[6:7]
	s_cbranch_execz .LBB179_68
.LBB179_72:                             ;   Parent Loop BB179_69 Depth=1
                                        ; =>  This Inner Loop Header: Depth=2
	v_cmp_le_u32_e64 s[0:1], v6, v5
	s_and_saveexec_b64 s[8:9], s[0:1]
	s_cbranch_execz .LBB179_71
; %bb.73:                               ;   in Loop: Header=BB179_72 Depth=2
	ds_read2_b64 v[8:11], v4 offset1:1
	v_ashrrev_i32_e32 v3, 31, v2
	v_lshlrev_b64 v[12:13], 4, v[2:3]
	v_mov_b32_e32 v3, s37
	v_add_co_u32_e64 v12, s[0:1], s36, v12
	v_addc_co_u32_e64 v13, s[0:1], v3, v13, s[0:1]
	s_waitcnt lgkmcnt(0)
	global_store_dwordx4 v[12:13], v[8:11], off
	s_branch .LBB179_71
.LBB179_74:
	s_endpgm
	.section	.rodata,"a",@progbits
	.p2align	6, 0x0
	.amdhsa_kernel _ZN9rocsolver6v33100L24sytd2_upper_kernel_smallILi256E19rocblas_complex_numIdEidPS3_EEvT1_T3_lS5_lPT2_lS8_lPT0_l
		.amdhsa_group_segment_fixed_size 0
		.amdhsa_private_segment_fixed_size 0
		.amdhsa_kernarg_size 88
		.amdhsa_user_sgpr_count 6
		.amdhsa_user_sgpr_private_segment_buffer 1
		.amdhsa_user_sgpr_dispatch_ptr 0
		.amdhsa_user_sgpr_queue_ptr 0
		.amdhsa_user_sgpr_kernarg_segment_ptr 1
		.amdhsa_user_sgpr_dispatch_id 0
		.amdhsa_user_sgpr_flat_scratch_init 0
		.amdhsa_user_sgpr_kernarg_preload_length 0
		.amdhsa_user_sgpr_kernarg_preload_offset 0
		.amdhsa_user_sgpr_private_segment_size 0
		.amdhsa_uses_dynamic_stack 0
		.amdhsa_system_sgpr_private_segment_wavefront_offset 0
		.amdhsa_system_sgpr_workgroup_id_x 1
		.amdhsa_system_sgpr_workgroup_id_y 0
		.amdhsa_system_sgpr_workgroup_id_z 1
		.amdhsa_system_sgpr_workgroup_info 0
		.amdhsa_system_vgpr_workitem_id 0
		.amdhsa_next_free_vgpr 48
		.amdhsa_next_free_sgpr 51
		.amdhsa_accum_offset 48
		.amdhsa_reserve_vcc 1
		.amdhsa_reserve_flat_scratch 0
		.amdhsa_float_round_mode_32 0
		.amdhsa_float_round_mode_16_64 0
		.amdhsa_float_denorm_mode_32 3
		.amdhsa_float_denorm_mode_16_64 3
		.amdhsa_dx10_clamp 1
		.amdhsa_ieee_mode 1
		.amdhsa_fp16_overflow 0
		.amdhsa_tg_split 0
		.amdhsa_exception_fp_ieee_invalid_op 0
		.amdhsa_exception_fp_denorm_src 0
		.amdhsa_exception_fp_ieee_div_zero 0
		.amdhsa_exception_fp_ieee_overflow 0
		.amdhsa_exception_fp_ieee_underflow 0
		.amdhsa_exception_fp_ieee_inexact 0
		.amdhsa_exception_int_div_zero 0
	.end_amdhsa_kernel
	.section	.text._ZN9rocsolver6v33100L24sytd2_upper_kernel_smallILi256E19rocblas_complex_numIdEidPS3_EEvT1_T3_lS5_lPT2_lS8_lPT0_l,"axG",@progbits,_ZN9rocsolver6v33100L24sytd2_upper_kernel_smallILi256E19rocblas_complex_numIdEidPS3_EEvT1_T3_lS5_lPT2_lS8_lPT0_l,comdat
.Lfunc_end179:
	.size	_ZN9rocsolver6v33100L24sytd2_upper_kernel_smallILi256E19rocblas_complex_numIdEidPS3_EEvT1_T3_lS5_lPT2_lS8_lPT0_l, .Lfunc_end179-_ZN9rocsolver6v33100L24sytd2_upper_kernel_smallILi256E19rocblas_complex_numIdEidPS3_EEvT1_T3_lS5_lPT2_lS8_lPT0_l
                                        ; -- End function
	.section	.AMDGPU.csdata,"",@progbits
; Kernel info:
; codeLenInByte = 4488
; NumSgprs: 55
; NumVgprs: 48
; NumAgprs: 0
; TotalNumVgprs: 48
; ScratchSize: 0
; MemoryBound: 0
; FloatMode: 240
; IeeeMode: 1
; LDSByteSize: 0 bytes/workgroup (compile time only)
; SGPRBlocks: 6
; VGPRBlocks: 5
; NumSGPRsForWavesPerEU: 55
; NumVGPRsForWavesPerEU: 48
; AccumOffset: 48
; Occupancy: 8
; WaveLimiterHint : 0
; COMPUTE_PGM_RSRC2:SCRATCH_EN: 0
; COMPUTE_PGM_RSRC2:USER_SGPR: 6
; COMPUTE_PGM_RSRC2:TRAP_HANDLER: 0
; COMPUTE_PGM_RSRC2:TGID_X_EN: 1
; COMPUTE_PGM_RSRC2:TGID_Y_EN: 0
; COMPUTE_PGM_RSRC2:TGID_Z_EN: 1
; COMPUTE_PGM_RSRC2:TIDIG_COMP_CNT: 0
; COMPUTE_PGM_RSRC3_GFX90A:ACCUM_OFFSET: 11
; COMPUTE_PGM_RSRC3_GFX90A:TG_SPLIT: 0
	.section	.text._ZN9rocsolver6v33100L8copy_matI19rocblas_complex_numIdEPS3_NS0_7no_maskEEEvNS0_17copymat_directionEiiT0_iilPT_T1_13rocblas_fill_17rocblas_diagonal_,"axG",@progbits,_ZN9rocsolver6v33100L8copy_matI19rocblas_complex_numIdEPS3_NS0_7no_maskEEEvNS0_17copymat_directionEiiT0_iilPT_T1_13rocblas_fill_17rocblas_diagonal_,comdat
	.globl	_ZN9rocsolver6v33100L8copy_matI19rocblas_complex_numIdEPS3_NS0_7no_maskEEEvNS0_17copymat_directionEiiT0_iilPT_T1_13rocblas_fill_17rocblas_diagonal_ ; -- Begin function _ZN9rocsolver6v33100L8copy_matI19rocblas_complex_numIdEPS3_NS0_7no_maskEEEvNS0_17copymat_directionEiiT0_iilPT_T1_13rocblas_fill_17rocblas_diagonal_
	.p2align	8
	.type	_ZN9rocsolver6v33100L8copy_matI19rocblas_complex_numIdEPS3_NS0_7no_maskEEEvNS0_17copymat_directionEiiT0_iilPT_T1_13rocblas_fill_17rocblas_diagonal_,@function
_ZN9rocsolver6v33100L8copy_matI19rocblas_complex_numIdEPS3_NS0_7no_maskEEEvNS0_17copymat_directionEiiT0_iilPT_T1_13rocblas_fill_17rocblas_diagonal_: ; @_ZN9rocsolver6v33100L8copy_matI19rocblas_complex_numIdEPS3_NS0_7no_maskEEEvNS0_17copymat_directionEiiT0_iilPT_T1_13rocblas_fill_17rocblas_diagonal_
; %bb.0:
	s_load_dword s0, s[4:5], 0x4c
	s_load_dwordx4 s[12:15], s[4:5], 0x0
	v_bfe_u32 v1, v0, 10, 10
	v_and_b32_e32 v0, 0x3ff, v0
	s_waitcnt lgkmcnt(0)
	s_lshr_b32 s1, s0, 16
	s_and_b32 s0, s0, 0xffff
	s_mul_i32 s7, s7, s1
	s_mul_i32 s6, s6, s0
	v_add_u32_e32 v1, s7, v1
	v_add_u32_e32 v0, s6, v0
	v_cmp_gt_u32_e32 vcc, s13, v0
	v_cmp_gt_u32_e64 s[0:1], s14, v1
	s_and_b64 s[0:1], s[0:1], vcc
	s_and_saveexec_b64 s[2:3], s[0:1]
	s_cbranch_execz .LBB180_14
; %bb.1:
	s_load_dwordx2 s[2:3], s[4:5], 0x34
	s_waitcnt lgkmcnt(0)
	s_cmpk_lt_i32 s2, 0x7a
	s_cbranch_scc1 .LBB180_4
; %bb.2:
	s_cmpk_gt_i32 s2, 0x7a
	s_cbranch_scc0 .LBB180_5
; %bb.3:
	s_cmpk_lg_i32 s2, 0x7b
	s_mov_b64 s[6:7], -1
	s_cselect_b64 s[10:11], -1, 0
	s_cbranch_execz .LBB180_6
	s_branch .LBB180_7
.LBB180_4:
	s_mov_b64 s[10:11], 0
	s_mov_b64 s[6:7], 0
	s_cbranch_execnz .LBB180_8
	s_branch .LBB180_10
.LBB180_5:
	s_mov_b64 s[6:7], 0
	s_mov_b64 s[10:11], 0
.LBB180_6:
	v_cmp_gt_u32_e32 vcc, v0, v1
	v_cmp_le_u32_e64 s[0:1], v0, v1
	s_andn2_b64 s[6:7], s[6:7], exec
	s_and_b64 s[16:17], vcc, exec
	s_andn2_b64 s[10:11], s[10:11], exec
	s_and_b64 s[0:1], s[0:1], exec
	s_or_b64 s[6:7], s[6:7], s[16:17]
	s_or_b64 s[10:11], s[10:11], s[0:1]
.LBB180_7:
	s_branch .LBB180_10
.LBB180_8:
	s_cmpk_eq_i32 s2, 0x79
	s_mov_b64 s[10:11], -1
	s_cbranch_scc0 .LBB180_10
; %bb.9:
	v_cmp_gt_u32_e32 vcc, v1, v0
	v_cmp_le_u32_e64 s[0:1], v1, v0
	s_andn2_b64 s[6:7], s[6:7], exec
	s_and_b64 s[10:11], vcc, exec
	s_or_b64 s[6:7], s[6:7], s[10:11]
	s_orn2_b64 s[10:11], s[0:1], exec
.LBB180_10:
	s_and_saveexec_b64 s[0:1], s[10:11]
; %bb.11:
	s_cmpk_eq_i32 s3, 0x83
	s_cselect_b64 s[2:3], -1, 0
	v_cmp_eq_u32_e32 vcc, v0, v1
	s_and_b64 s[2:3], s[2:3], vcc
	s_andn2_b64 s[6:7], s[6:7], exec
	s_and_b64 s[2:3], s[2:3], exec
	s_or_b64 s[6:7], s[6:7], s[2:3]
; %bb.12:
	s_or_b64 exec, exec, s[0:1]
	s_and_b64 exec, exec, s[6:7]
	s_cbranch_execz .LBB180_14
; %bb.13:
	s_load_dwordx8 s[0:7], s[4:5], 0x10
	s_ashr_i32 s9, s13, 31
	s_ashr_i32 s15, s14, 31
	s_mul_i32 s9, s9, s8
	s_waitcnt lgkmcnt(0)
	s_ashr_i32 s11, s2, 31
	s_mov_b32 s10, s2
	s_mul_i32 s2, s8, s5
	s_mul_hi_u32 s5, s8, s4
	s_add_i32 s5, s5, s2
	s_mul_i32 s4, s8, s4
	s_lshl_b64 s[4:5], s[4:5], 4
	s_add_u32 s2, s0, s4
	s_addc_u32 s4, s1, s5
	s_lshl_b64 s[0:1], s[10:11], 4
	s_add_u32 s2, s2, s0
	s_mul_hi_u32 s0, s13, s8
	s_mul_i32 s5, s13, s8
	s_addc_u32 s4, s4, s1
	s_add_i32 s0, s0, s9
	s_mul_i32 s1, s5, s15
	s_mul_hi_u32 s8, s5, s14
	s_add_i32 s1, s8, s1
	s_mul_i32 s0, s0, s14
	s_add_i32 s1, s1, s0
	s_mul_i32 s0, s5, s14
	s_lshl_b64 s[0:1], s[0:1], 4
	s_add_u32 s5, s6, s0
	s_addc_u32 s6, s7, s1
	s_cmp_eq_u32 s12, 0
	s_cselect_b32 s0, s3, s13
	v_mad_u64_u32 v[6:7], s[0:1], v1, s0, v[0:1]
	v_mov_b32_e32 v7, 0
	s_cselect_b32 s7, s4, s6
	s_cselect_b32 s8, s2, s5
	v_lshlrev_b64 v[2:3], 4, v[6:7]
	v_mov_b32_e32 v4, s7
	v_add_co_u32_e32 v2, vcc, s8, v2
	v_addc_co_u32_e32 v3, vcc, v4, v3, vcc
	global_load_dwordx4 v[2:5], v[2:3], off
	s_cselect_b32 s0, s13, s3
	v_mad_u64_u32 v[0:1], s[0:1], v1, s0, v[0:1]
	v_mov_b32_e32 v1, v7
	s_cselect_b32 s3, s6, s4
	s_cselect_b32 s2, s5, s2
	v_lshlrev_b64 v[0:1], 4, v[0:1]
	v_mov_b32_e32 v6, s3
	v_add_co_u32_e32 v0, vcc, s2, v0
	v_addc_co_u32_e32 v1, vcc, v6, v1, vcc
	s_waitcnt vmcnt(0)
	global_store_dwordx4 v[0:1], v[2:5], off
.LBB180_14:
	s_endpgm
	.section	.rodata,"a",@progbits
	.p2align	6, 0x0
	.amdhsa_kernel _ZN9rocsolver6v33100L8copy_matI19rocblas_complex_numIdEPS3_NS0_7no_maskEEEvNS0_17copymat_directionEiiT0_iilPT_T1_13rocblas_fill_17rocblas_diagonal_
		.amdhsa_group_segment_fixed_size 0
		.amdhsa_private_segment_fixed_size 0
		.amdhsa_kernarg_size 320
		.amdhsa_user_sgpr_count 6
		.amdhsa_user_sgpr_private_segment_buffer 1
		.amdhsa_user_sgpr_dispatch_ptr 0
		.amdhsa_user_sgpr_queue_ptr 0
		.amdhsa_user_sgpr_kernarg_segment_ptr 1
		.amdhsa_user_sgpr_dispatch_id 0
		.amdhsa_user_sgpr_flat_scratch_init 0
		.amdhsa_user_sgpr_kernarg_preload_length 0
		.amdhsa_user_sgpr_kernarg_preload_offset 0
		.amdhsa_user_sgpr_private_segment_size 0
		.amdhsa_uses_dynamic_stack 0
		.amdhsa_system_sgpr_private_segment_wavefront_offset 0
		.amdhsa_system_sgpr_workgroup_id_x 1
		.amdhsa_system_sgpr_workgroup_id_y 1
		.amdhsa_system_sgpr_workgroup_id_z 1
		.amdhsa_system_sgpr_workgroup_info 0
		.amdhsa_system_vgpr_workitem_id 1
		.amdhsa_next_free_vgpr 8
		.amdhsa_next_free_sgpr 18
		.amdhsa_accum_offset 8
		.amdhsa_reserve_vcc 1
		.amdhsa_reserve_flat_scratch 0
		.amdhsa_float_round_mode_32 0
		.amdhsa_float_round_mode_16_64 0
		.amdhsa_float_denorm_mode_32 3
		.amdhsa_float_denorm_mode_16_64 3
		.amdhsa_dx10_clamp 1
		.amdhsa_ieee_mode 1
		.amdhsa_fp16_overflow 0
		.amdhsa_tg_split 0
		.amdhsa_exception_fp_ieee_invalid_op 0
		.amdhsa_exception_fp_denorm_src 0
		.amdhsa_exception_fp_ieee_div_zero 0
		.amdhsa_exception_fp_ieee_overflow 0
		.amdhsa_exception_fp_ieee_underflow 0
		.amdhsa_exception_fp_ieee_inexact 0
		.amdhsa_exception_int_div_zero 0
	.end_amdhsa_kernel
	.section	.text._ZN9rocsolver6v33100L8copy_matI19rocblas_complex_numIdEPS3_NS0_7no_maskEEEvNS0_17copymat_directionEiiT0_iilPT_T1_13rocblas_fill_17rocblas_diagonal_,"axG",@progbits,_ZN9rocsolver6v33100L8copy_matI19rocblas_complex_numIdEPS3_NS0_7no_maskEEEvNS0_17copymat_directionEiiT0_iilPT_T1_13rocblas_fill_17rocblas_diagonal_,comdat
.Lfunc_end180:
	.size	_ZN9rocsolver6v33100L8copy_matI19rocblas_complex_numIdEPS3_NS0_7no_maskEEEvNS0_17copymat_directionEiiT0_iilPT_T1_13rocblas_fill_17rocblas_diagonal_, .Lfunc_end180-_ZN9rocsolver6v33100L8copy_matI19rocblas_complex_numIdEPS3_NS0_7no_maskEEEvNS0_17copymat_directionEiiT0_iilPT_T1_13rocblas_fill_17rocblas_diagonal_
                                        ; -- End function
	.section	.AMDGPU.csdata,"",@progbits
; Kernel info:
; codeLenInByte = 520
; NumSgprs: 22
; NumVgprs: 8
; NumAgprs: 0
; TotalNumVgprs: 8
; ScratchSize: 0
; MemoryBound: 0
; FloatMode: 240
; IeeeMode: 1
; LDSByteSize: 0 bytes/workgroup (compile time only)
; SGPRBlocks: 2
; VGPRBlocks: 0
; NumSGPRsForWavesPerEU: 22
; NumVGPRsForWavesPerEU: 8
; AccumOffset: 8
; Occupancy: 8
; WaveLimiterHint : 0
; COMPUTE_PGM_RSRC2:SCRATCH_EN: 0
; COMPUTE_PGM_RSRC2:USER_SGPR: 6
; COMPUTE_PGM_RSRC2:TRAP_HANDLER: 0
; COMPUTE_PGM_RSRC2:TGID_X_EN: 1
; COMPUTE_PGM_RSRC2:TGID_Y_EN: 1
; COMPUTE_PGM_RSRC2:TGID_Z_EN: 1
; COMPUTE_PGM_RSRC2:TIDIG_COMP_CNT: 1
; COMPUTE_PGM_RSRC3_GFX90A:ACCUM_OFFSET: 1
; COMPUTE_PGM_RSRC3_GFX90A:TG_SPLIT: 0
	.section	.text._ZN9rocsolver6v33100L26latrd_lower_updateA_kernelI19rocblas_complex_numIdEPS3_EEviiT0_iilPT_iil,"axG",@progbits,_ZN9rocsolver6v33100L26latrd_lower_updateA_kernelI19rocblas_complex_numIdEPS3_EEviiT0_iilPT_iil,comdat
	.globl	_ZN9rocsolver6v33100L26latrd_lower_updateA_kernelI19rocblas_complex_numIdEPS3_EEviiT0_iilPT_iil ; -- Begin function _ZN9rocsolver6v33100L26latrd_lower_updateA_kernelI19rocblas_complex_numIdEPS3_EEviiT0_iilPT_iil
	.p2align	8
	.type	_ZN9rocsolver6v33100L26latrd_lower_updateA_kernelI19rocblas_complex_numIdEPS3_EEviiT0_iilPT_iil,@function
_ZN9rocsolver6v33100L26latrd_lower_updateA_kernelI19rocblas_complex_numIdEPS3_EEviiT0_iilPT_iil: ; @_ZN9rocsolver6v33100L26latrd_lower_updateA_kernelI19rocblas_complex_numIdEPS3_EEviiT0_iilPT_iil
; %bb.0:
	s_load_dword s0, s[4:5], 0x44
	s_load_dwordx2 s[24:25], s[4:5], 0x38
	s_load_dwordx2 s[10:11], s[4:5], 0x0
	s_mov_b32 s28, 0
	s_waitcnt lgkmcnt(0)
	s_and_b32 s26, s0, 0xffff
	v_cvt_f32_u32_e32 v1, s26
	s_sub_i32 s2, 0, s26
	s_sub_i32 s10, s10, s11
	s_add_i32 s1, s10, -1
	v_rcp_iflag_f32_e32 v1, v1
	s_ashr_i32 s3, s1, 31
	s_abs_i32 s1, s1
	v_mul_f32_e32 v1, 0x4f7ffffe, v1
	v_cvt_u32_f32_e32 v1, v1
	v_readfirstlane_b32 s9, v1
	s_mul_i32 s2, s2, s9
	s_mul_hi_u32 s2, s9, s2
	s_add_i32 s9, s9, s2
	s_mul_hi_u32 s2, s1, s9
	s_mul_i32 s9, s2, s26
	s_sub_i32 s1, s1, s9
	s_add_i32 s12, s2, 1
	s_sub_i32 s9, s1, s26
	s_cmp_ge_u32 s1, s26
	s_cselect_b32 s2, s12, s2
	s_cselect_b32 s1, s9, s1
	s_add_i32 s9, s2, 1
	s_cmp_ge_u32 s1, s26
	s_cselect_b32 s1, s9, s2
	s_abs_i32 s2, s24
	v_cvt_f32_u32_e32 v1, s2
	s_sub_i32 s9, 0, s2
	s_xor_b32 s1, s1, s3
	s_sub_i32 s1, s1, s3
	v_rcp_iflag_f32_e32 v1, v1
	s_xor_b32 s3, s1, s24
	s_abs_i32 s1, s1
	s_ashr_i32 s3, s3, 31
	v_mul_f32_e32 v1, 0x4f7ffffe, v1
	v_cvt_u32_f32_e32 v1, v1
	v_readfirstlane_b32 s12, v1
	s_mul_i32 s9, s9, s12
	s_mul_hi_u32 s9, s12, s9
	s_add_i32 s12, s12, s9
	s_mul_hi_u32 s9, s1, s12
	s_mul_i32 s12, s9, s2
	s_sub_i32 s1, s1, s12
	s_add_i32 s13, s9, 1
	s_sub_i32 s12, s1, s2
	s_cmp_ge_u32 s1, s2
	s_cselect_b32 s9, s13, s9
	s_cselect_b32 s1, s12, s1
	s_add_i32 s12, s9, 1
	s_cmp_ge_u32 s1, s2
	s_cselect_b32 s1, s12, s9
	s_xor_b32 s1, s1, s3
	s_sub_i32 s27, s1, s3
	s_cmp_lt_i32 s27, 0
	s_cbranch_scc1 .LBB181_20
; %bb.1:
	s_load_dwordx8 s[12:19], s[4:5], 0x8
	s_load_dwordx4 s[20:23], s[4:5], 0x28
	s_ashr_i32 s4, s8, 31
	s_lshr_b32 s29, s0, 16
	v_and_b32_e32 v18, 0x3ff, v0
	s_waitcnt lgkmcnt(0)
	s_mul_i32 s2, s8, s17
	s_mul_hi_u32 s3, s8, s16
	s_add_i32 s2, s3, s2
	s_mul_i32 s3, s4, s16
	s_add_i32 s3, s2, s3
	s_mul_i32 s2, s8, s16
	s_ashr_i32 s1, s14, 31
	s_lshl_b64 s[2:3], s[2:3], 4
	s_mov_b32 s0, s14
	s_add_u32 s2, s12, s2
	s_addc_u32 s3, s13, s3
	s_lshl_b64 s[0:1], s[0:1], 4
	s_add_u32 s5, s2, s0
	s_addc_u32 s9, s3, s1
	s_mul_i32 s2, s8, s23
	s_mul_hi_u32 s3, s8, s22
	s_add_i32 s2, s3, s2
	s_mul_i32 s4, s4, s22
	s_add_i32 s3, s2, s4
	s_mul_i32 s2, s8, s22
	s_ashr_i32 s1, s20, 31
	s_lshl_b64 s[2:3], s[2:3], 4
	s_mov_b32 s0, s20
	s_add_u32 s2, s18, s2
	v_bfe_u32 v19, v0, 10, 10
	s_addc_u32 s3, s19, s3
	s_lshl_b64 s[0:1], s[0:1], 4
	v_cvt_f32_u32_e32 v0, s29
	s_add_u32 s4, s2, s0
	s_addc_u32 s8, s3, s1
	s_ashr_i32 s1, s11, 31
	s_ashr_i32 s2, s15, 31
	s_add_u32 s12, s15, 1
	s_addc_u32 s2, s2, 0
	s_mul_i32 s3, s12, s1
	s_mul_hi_u32 s13, s12, s11
	v_rcp_iflag_f32_e32 v0, v0
	s_add_i32 s3, s13, s3
	s_mul_i32 s2, s2, s11
	s_add_i32 s3, s3, s2
	s_mul_i32 s2, s12, s11
	s_lshl_b64 s[2:3], s[2:3], 4
	s_mov_b32 s0, s11
	s_add_u32 s18, s5, s2
	v_mul_f32_e32 v0, 0x4f7ffffe, v0
	s_addc_u32 s19, s9, s3
	s_lshl_b64 s[0:1], s[0:1], 4
	v_cvt_u32_f32_e32 v0, v0
	s_add_u32 s20, s5, s0
	s_addc_u32 s22, s9, s1
	s_add_u32 s23, s4, s0
	s_addc_u32 s30, s8, s1
	s_sub_i32 s2, 0, s29
	v_readfirstlane_b32 s3, v0
	s_mul_i32 s2, s2, s3
	s_add_i32 s0, s11, -1
	s_mul_hi_u32 s2, s3, s2
	s_ashr_i32 s1, s0, 31
	s_abs_i32 s0, s0
	s_add_i32 s3, s3, s2
	s_mul_hi_u32 s2, s0, s3
	s_mul_i32 s3, s2, s29
	s_sub_i32 s0, s0, s3
	s_add_i32 s3, s2, 1
	s_sub_i32 s4, s0, s29
	s_cmp_ge_u32 s0, s29
	s_cselect_b32 s2, s3, s2
	s_cselect_b32 s0, s4, s0
	s_add_i32 s3, s2, 1
	s_cmp_ge_u32 s0, s29
	s_cselect_b32 s0, s3, s2
	s_abs_i32 s2, s25
	v_cvt_f32_u32_e32 v0, s2
	s_sub_i32 s3, 0, s2
	s_xor_b32 s0, s0, s1
	s_sub_i32 s0, s0, s1
	v_rcp_iflag_f32_e32 v0, v0
	s_xor_b32 s1, s0, s25
	s_abs_i32 s0, s0
	s_ashr_i32 s1, s1, 31
	v_mul_f32_e32 v0, 0x4f7ffffe, v0
	v_cvt_u32_f32_e32 v0, v0
	s_mul_i32 s7, s7, s29
	v_add_u32_e32 v20, s7, v19
	s_mul_i32 s31, s25, s29
	v_readfirstlane_b32 s4, v0
	s_mul_i32 s3, s3, s4
	s_mul_hi_u32 s3, s4, s3
	s_add_i32 s4, s4, s3
	s_mul_hi_u32 s3, s0, s4
	s_mul_i32 s4, s3, s2
	s_sub_i32 s0, s0, s4
	s_add_i32 s4, s3, 1
	s_sub_i32 s5, s0, s2
	s_cmp_ge_u32 s0, s2
	s_cselect_b32 s3, s4, s3
	s_cselect_b32 s0, s5, s0
	s_add_i32 s4, s3, 1
	s_cmp_ge_u32 s0, s2
	s_cselect_b32 s0, s4, s3
	s_xor_b32 s0, s0, s1
	s_sub_i32 s7, s0, s1
	s_cmp_gt_i32 s7, -1
	v_mul_u32_u24_e32 v0, s26, v19
	v_lshl_add_u32 v21, v18, 4, 0
	s_mul_i32 s4, s6, s26
	v_cmp_eq_u32_e64 s[0:1], 0, v20
	v_lshl_add_u32 v22, v0, 4, v21
	v_cmp_gt_u16_e64 s[12:13], s29, 1
	v_cmp_eq_u32_e64 s[2:3], 0, v19
	s_cselect_b64 s[16:17], -1, 0
	s_add_i32 s7, s7, 1
	v_add_u32_e32 v23, s4, v18
	s_mul_i32 s25, s24, s26
	v_mul_lo_u32 v24, s15, v20
	s_mul_i32 s33, s31, s15
	v_mul_lo_u32 v25, s21, v20
	s_mul_i32 s21, s31, s21
	s_branch .LBB181_3
.LBB181_2:                              ;   in Loop: Header=BB181_3 Depth=1
	s_or_b64 exec, exec, s[4:5]
	s_add_i32 s4, s28, 1
	v_add_u32_e32 v23, s25, v23
	s_cmp_eq_u32 s28, s27
	s_mov_b32 s28, s4
	s_cbranch_scc1 .LBB181_20
.LBB181_3:                              ; =>This Loop Header: Depth=1
                                        ;     Child Loop BB181_12 Depth 2
                                        ;     Child Loop BB181_9 Depth 2
	s_mul_i32 s4, s28, s24
	s_add_i32 s4, s4, s6
	s_mul_i32 s4, s4, s26
	v_add_u32_e32 v12, s4, v18
	v_cmp_gt_i32_e64 s[4:5], s10, v12
	v_pk_mov_b32 v[0:1], 0, 0
	s_and_b64 s[14:15], s[0:1], s[4:5]
	v_ashrrev_i32_e32 v13, 31, v12
	v_pk_mov_b32 v[2:3], v[0:1], v[0:1] op_sel:[0,1]
	s_and_saveexec_b64 s[8:9], s[14:15]
	s_cbranch_execz .LBB181_5
; %bb.4:                                ;   in Loop: Header=BB181_3 Depth=1
	v_lshlrev_b64 v[0:1], 4, v[12:13]
	v_mov_b32_e32 v2, s19
	v_add_co_u32_e32 v0, vcc, s18, v0
	v_addc_co_u32_e32 v1, vcc, v2, v1, vcc
	global_load_dwordx4 v[0:3], v[0:1], off
.LBB181_5:                              ;   in Loop: Header=BB181_3 Depth=1
	s_or_b64 exec, exec, s[8:9]
	s_andn2_b64 vcc, exec, s[16:17]
	v_mov_b32_e32 v26, v20
	v_mov_b32_e32 v14, v25
	;; [unrolled: 1-line block ×3, first 2 shown]
	s_mov_b32 s34, s7
	s_cbranch_vccz .LBB181_12
.LBB181_6:                              ;   in Loop: Header=BB181_3 Depth=1
	s_andn2_b64 vcc, exec, s[12:13]
	s_mov_b32 s14, s29
	s_waitcnt vmcnt(0)
	ds_write2_b64 v22, v[0:1], v[2:3] offset1:1
	s_waitcnt lgkmcnt(0)
	s_barrier
	s_cbranch_vccnz .LBB181_18
; %bb.7:                                ;   in Loop: Header=BB181_3 Depth=1
	s_lshr_b32 s15, s14, 1
	v_cmp_gt_u32_e32 vcc, s15, v19
	s_and_saveexec_b64 s[8:9], vcc
	s_cbranch_execz .LBB181_9
.LBB181_8:                              ;   in Loop: Header=BB181_3 Depth=1
	v_add_u32_e32 v4, s15, v19
	v_mul_u32_u24_e32 v4, s26, v4
	v_lshl_add_u32 v4, v4, 4, v21
	ds_read2_b64 v[4:7], v4 offset1:1
	s_waitcnt lgkmcnt(0)
	v_add_f64 v[0:1], v[0:1], v[4:5]
	v_add_f64 v[2:3], v[2:3], v[6:7]
	ds_write2_b64 v22, v[0:1], v[2:3] offset1:1
.LBB181_9:                              ;   Parent Loop BB181_3 Depth=1
                                        ; =>  This Inner Loop Header: Depth=2
	s_or_b64 exec, exec, s[8:9]
	s_cmp_lt_u32 s14, 4
	s_waitcnt lgkmcnt(0)
	s_barrier
	s_cbranch_scc1 .LBB181_18
; %bb.10:                               ;   in Loop: Header=BB181_9 Depth=2
	s_mov_b32 s14, s15
	s_lshr_b32 s15, s14, 1
	v_cmp_gt_u32_e32 vcc, s15, v19
	s_and_saveexec_b64 s[8:9], vcc
	s_cbranch_execnz .LBB181_8
	s_branch .LBB181_9
.LBB181_11:                             ;   in Loop: Header=BB181_12 Depth=2
	s_or_b64 exec, exec, s[8:9]
	s_add_i32 s34, s34, -1
	v_add_u32_e32 v16, s33, v16
	v_add_u32_e32 v14, s21, v14
	s_cmp_eq_u32 s34, 0
	v_add_u32_e32 v26, s31, v26
	s_cbranch_scc1 .LBB181_6
.LBB181_12:                             ;   Parent Loop BB181_3 Depth=1
                                        ; =>  This Inner Loop Header: Depth=2
	v_pk_mov_b32 v[6:7], 0, 0
	v_cmp_gt_i32_e32 vcc, s11, v26
	v_pk_mov_b32 v[8:9], v[6:7], v[6:7] op_sel:[0,1]
	v_pk_mov_b32 v[10:11], v[6:7], v[6:7] op_sel:[0,1]
	s_and_saveexec_b64 s[14:15], vcc
	s_cbranch_execnz .LBB181_15
; %bb.13:                               ;   in Loop: Header=BB181_12 Depth=2
	s_or_b64 exec, exec, s[14:15]
	v_pk_mov_b32 v[4:5], v[6:7], v[6:7] op_sel:[0,1]
	s_and_saveexec_b64 s[14:15], vcc
	s_cbranch_execnz .LBB181_16
.LBB181_14:                             ;   in Loop: Header=BB181_12 Depth=2
	s_or_b64 exec, exec, s[14:15]
	s_and_b64 s[14:15], s[4:5], vcc
	s_and_saveexec_b64 s[8:9], s[14:15]
	s_cbranch_execz .LBB181_11
	s_branch .LBB181_17
.LBB181_15:                             ;   in Loop: Header=BB181_12 Depth=2
	v_ashrrev_i32_e32 v15, 31, v14
	v_lshlrev_b64 v[4:5], 4, v[14:15]
	v_mov_b32_e32 v8, s30
	v_add_co_u32_e64 v4, s[8:9], s23, v4
	v_addc_co_u32_e64 v5, s[8:9], v8, v5, s[8:9]
	global_load_dwordx4 v[8:11], v[4:5], off
	s_waitcnt vmcnt(0)
	v_xor_b32_e32 v11, 0x80000000, v11
	s_or_b64 exec, exec, s[14:15]
	v_pk_mov_b32 v[4:5], v[6:7], v[6:7] op_sel:[0,1]
	s_and_saveexec_b64 s[14:15], vcc
	s_cbranch_execz .LBB181_14
.LBB181_16:                             ;   in Loop: Header=BB181_12 Depth=2
	v_ashrrev_i32_e32 v17, 31, v16
	v_lshlrev_b64 v[4:5], 4, v[16:17]
	v_mov_b32_e32 v6, s22
	v_add_co_u32_e64 v4, s[8:9], s20, v4
	v_addc_co_u32_e64 v5, s[8:9], v6, v5, s[8:9]
	global_load_dwordx4 v[4:7], v[4:5], off
	s_waitcnt vmcnt(0)
	v_xor_b32_e32 v7, 0x80000000, v7
	s_or_b64 exec, exec, s[14:15]
	s_and_b64 s[14:15], s[4:5], vcc
	s_and_saveexec_b64 s[8:9], s[14:15]
	s_cbranch_execz .LBB181_11
.LBB181_17:                             ;   in Loop: Header=BB181_12 Depth=2
	v_add_u32_e32 v28, v23, v16
	v_ashrrev_i32_e32 v29, 31, v28
	v_lshlrev_b64 v[28:29], 4, v[28:29]
	v_add_u32_e32 v32, v23, v14
	v_mov_b32_e32 v15, s22
	v_add_co_u32_e32 v28, vcc, s20, v28
	v_ashrrev_i32_e32 v33, 31, v32
	v_addc_co_u32_e32 v29, vcc, v15, v29, vcc
	v_lshlrev_b64 v[32:33], 4, v[32:33]
	v_mov_b32_e32 v15, s30
	v_add_co_u32_e32 v32, vcc, s23, v32
	v_addc_co_u32_e32 v33, vcc, v15, v33, vcc
	global_load_dwordx4 v[28:31], v[28:29], off
	s_waitcnt vmcnt(0)
	v_mul_f64 v[36:37], v[10:11], v[30:31]
	global_load_dwordx4 v[32:35], v[32:33], off
	v_mul_f64 v[30:31], v[8:9], v[30:31]
	v_fma_f64 v[8:9], v[8:9], v[28:29], -v[36:37]
	v_fmac_f64_e32 v[30:31], v[10:11], v[28:29]
	s_waitcnt vmcnt(0)
	v_mul_f64 v[38:39], v[6:7], v[34:35]
	v_mul_f64 v[34:35], v[4:5], v[34:35]
	v_fma_f64 v[4:5], v[4:5], v[32:33], -v[38:39]
	v_fmac_f64_e32 v[34:35], v[6:7], v[32:33]
	v_add_f64 v[4:5], v[8:9], v[4:5]
	v_add_f64 v[6:7], v[30:31], v[34:35]
	v_add_f64 v[0:1], v[0:1], -v[4:5]
	v_add_f64 v[2:3], v[2:3], -v[6:7]
	s_branch .LBB181_11
.LBB181_18:                             ;   in Loop: Header=BB181_3 Depth=1
	s_and_b64 s[8:9], s[2:3], s[4:5]
	s_and_saveexec_b64 s[4:5], s[8:9]
	s_cbranch_execz .LBB181_2
; %bb.19:                               ;   in Loop: Header=BB181_3 Depth=1
	v_lshlrev_b64 v[4:5], 4, v[12:13]
	v_mov_b32_e32 v6, s19
	v_add_co_u32_e32 v4, vcc, s18, v4
	v_addc_co_u32_e32 v5, vcc, v6, v5, vcc
	global_store_dwordx4 v[4:5], v[0:3], off
	s_branch .LBB181_2
.LBB181_20:
	s_endpgm
	.section	.rodata,"a",@progbits
	.p2align	6, 0x0
	.amdhsa_kernel _ZN9rocsolver6v33100L26latrd_lower_updateA_kernelI19rocblas_complex_numIdEPS3_EEviiT0_iilPT_iil
		.amdhsa_group_segment_fixed_size 0
		.amdhsa_private_segment_fixed_size 0
		.amdhsa_kernarg_size 312
		.amdhsa_user_sgpr_count 6
		.amdhsa_user_sgpr_private_segment_buffer 1
		.amdhsa_user_sgpr_dispatch_ptr 0
		.amdhsa_user_sgpr_queue_ptr 0
		.amdhsa_user_sgpr_kernarg_segment_ptr 1
		.amdhsa_user_sgpr_dispatch_id 0
		.amdhsa_user_sgpr_flat_scratch_init 0
		.amdhsa_user_sgpr_kernarg_preload_length 0
		.amdhsa_user_sgpr_kernarg_preload_offset 0
		.amdhsa_user_sgpr_private_segment_size 0
		.amdhsa_uses_dynamic_stack 0
		.amdhsa_system_sgpr_private_segment_wavefront_offset 0
		.amdhsa_system_sgpr_workgroup_id_x 1
		.amdhsa_system_sgpr_workgroup_id_y 1
		.amdhsa_system_sgpr_workgroup_id_z 1
		.amdhsa_system_sgpr_workgroup_info 0
		.amdhsa_system_vgpr_workitem_id 1
		.amdhsa_next_free_vgpr 40
		.amdhsa_next_free_sgpr 35
		.amdhsa_accum_offset 40
		.amdhsa_reserve_vcc 1
		.amdhsa_reserve_flat_scratch 0
		.amdhsa_float_round_mode_32 0
		.amdhsa_float_round_mode_16_64 0
		.amdhsa_float_denorm_mode_32 3
		.amdhsa_float_denorm_mode_16_64 3
		.amdhsa_dx10_clamp 1
		.amdhsa_ieee_mode 1
		.amdhsa_fp16_overflow 0
		.amdhsa_tg_split 0
		.amdhsa_exception_fp_ieee_invalid_op 0
		.amdhsa_exception_fp_denorm_src 0
		.amdhsa_exception_fp_ieee_div_zero 0
		.amdhsa_exception_fp_ieee_overflow 0
		.amdhsa_exception_fp_ieee_underflow 0
		.amdhsa_exception_fp_ieee_inexact 0
		.amdhsa_exception_int_div_zero 0
	.end_amdhsa_kernel
	.section	.text._ZN9rocsolver6v33100L26latrd_lower_updateA_kernelI19rocblas_complex_numIdEPS3_EEviiT0_iilPT_iil,"axG",@progbits,_ZN9rocsolver6v33100L26latrd_lower_updateA_kernelI19rocblas_complex_numIdEPS3_EEviiT0_iilPT_iil,comdat
.Lfunc_end181:
	.size	_ZN9rocsolver6v33100L26latrd_lower_updateA_kernelI19rocblas_complex_numIdEPS3_EEviiT0_iilPT_iil, .Lfunc_end181-_ZN9rocsolver6v33100L26latrd_lower_updateA_kernelI19rocblas_complex_numIdEPS3_EEviiT0_iilPT_iil
                                        ; -- End function
	.section	.AMDGPU.csdata,"",@progbits
; Kernel info:
; codeLenInByte = 1560
; NumSgprs: 39
; NumVgprs: 40
; NumAgprs: 0
; TotalNumVgprs: 40
; ScratchSize: 0
; MemoryBound: 1
; FloatMode: 240
; IeeeMode: 1
; LDSByteSize: 0 bytes/workgroup (compile time only)
; SGPRBlocks: 4
; VGPRBlocks: 4
; NumSGPRsForWavesPerEU: 39
; NumVGPRsForWavesPerEU: 40
; AccumOffset: 40
; Occupancy: 8
; WaveLimiterHint : 0
; COMPUTE_PGM_RSRC2:SCRATCH_EN: 0
; COMPUTE_PGM_RSRC2:USER_SGPR: 6
; COMPUTE_PGM_RSRC2:TRAP_HANDLER: 0
; COMPUTE_PGM_RSRC2:TGID_X_EN: 1
; COMPUTE_PGM_RSRC2:TGID_Y_EN: 1
; COMPUTE_PGM_RSRC2:TGID_Z_EN: 1
; COMPUTE_PGM_RSRC2:TIDIG_COMP_CNT: 1
; COMPUTE_PGM_RSRC3_GFX90A:ACCUM_OFFSET: 9
; COMPUTE_PGM_RSRC3_GFX90A:TG_SPLIT: 0
	.section	.text._ZN9rocsolver6v33100L33latrd_lower_computeW_gemvt_kernelILi256E19rocblas_complex_numIdEPS3_EEviiT1_iilPT0_iilS7_iilS7_l,"axG",@progbits,_ZN9rocsolver6v33100L33latrd_lower_computeW_gemvt_kernelILi256E19rocblas_complex_numIdEPS3_EEviiT1_iilPT0_iilS7_iilS7_l,comdat
	.globl	_ZN9rocsolver6v33100L33latrd_lower_computeW_gemvt_kernelILi256E19rocblas_complex_numIdEPS3_EEviiT1_iilPT0_iilS7_iilS7_l ; -- Begin function _ZN9rocsolver6v33100L33latrd_lower_computeW_gemvt_kernelILi256E19rocblas_complex_numIdEPS3_EEviiT1_iilPT0_iilS7_iilS7_l
	.p2align	8
	.type	_ZN9rocsolver6v33100L33latrd_lower_computeW_gemvt_kernelILi256E19rocblas_complex_numIdEPS3_EEviiT1_iilPT0_iilS7_iilS7_l,@function
_ZN9rocsolver6v33100L33latrd_lower_computeW_gemvt_kernelILi256E19rocblas_complex_numIdEPS3_EEviiT1_iilPT0_iilS7_iilS7_l: ; @_ZN9rocsolver6v33100L33latrd_lower_computeW_gemvt_kernelILi256E19rocblas_complex_numIdEPS3_EEviiT1_iilPT0_iilS7_iilS7_l
; %bb.0:
	s_load_dwordx2 s[26:27], s[4:5], 0x0
	s_load_dwordx4 s[0:3], s[4:5], 0x30
	s_ashr_i32 s28, s7, 31
	v_pk_mov_b32 v[4:5], 0, 0
	v_pk_mov_b32 v[2:3], v[4:5], v[4:5] op_sel:[0,1]
	s_waitcnt lgkmcnt(0)
	s_cmp_lt_i32 s6, s27
	s_cselect_b64 s[18:19], -1, 0
	s_and_b64 s[8:9], s[18:19], exec
	s_cselect_b32 s8, 0, s27
	s_sub_i32 s16, s6, s8
	s_ashr_i32 s17, s16, 31
	s_mov_b64 s[8:9], -1
	s_cmp_eq_u32 s16, s27
	s_cbranch_scc1 .LBB182_11
; %bb.1:
	s_load_dwordx8 s[8:15], s[4:5], 0x8
	s_load_dwordx2 s[30:31], s[4:5], 0x28
	s_mul_i32 s1, s7, s1
	s_waitcnt lgkmcnt(0)
	s_ashr_i32 s21, s10, 31
	s_mov_b32 s20, s10
	s_mul_i32 s6, s7, s13
	s_mul_hi_u32 s10, s7, s12
	s_add_i32 s6, s10, s6
	s_mul_i32 s10, s28, s12
	s_add_i32 s13, s6, s10
	s_mul_i32 s12, s7, s12
	s_lshl_b64 s[22:23], s[12:13], 4
	s_add_u32 s6, s8, s22
	s_addc_u32 s10, s9, s23
	s_lshl_b64 s[24:25], s[20:21], 4
	s_add_u32 s6, s6, s24
	s_addc_u32 s29, s10, s25
	s_mul_hi_u32 s10, s7, s0
	s_add_i32 s1, s10, s1
	s_mul_i32 s10, s28, s0
	s_add_i32 s1, s1, s10
	s_mul_i32 s0, s7, s0
	s_ashr_i32 s13, s30, 31
	s_lshl_b64 s[0:1], s[0:1], 4
	s_mov_b32 s12, s30
	s_add_u32 s10, s14, s0
	s_addc_u32 s14, s15, s1
	s_lshl_b64 s[0:1], s[12:13], 4
	s_add_u32 s10, s10, s0
	s_addc_u32 s14, s14, s1
	s_not_b32 s0, s27
	s_add_i32 s26, s0, s26
	s_ashr_i32 s13, s11, 31
	s_ashr_i32 s21, s27, 31
	s_mov_b32 s20, s27
	s_and_b64 s[0:1], s[18:19], exec
	s_cselect_b32 s0, s14, s29
	s_cselect_b32 s1, s10, s6
	s_lshl_b64 s[14:15], s[20:21], 4
	s_add_u32 s10, s1, s14
	s_addc_u32 s27, s0, s15
	s_and_b64 s[0:1], s[18:19], exec
	s_cselect_b32 s0, s31, s11
	v_cmp_gt_i32_e32 vcc, s26, v0
	s_mul_hi_i32 s1, s0, s16
	s_mul_i32 s0, s0, s16
	v_cndmask_b32_e32 v1, 0, v0, vcc
	s_lshl_b64 s[0:1], s[0:1], 4
	v_lshlrev_b32_e32 v1, 4, v1
	s_add_u32 s0, s0, s10
	s_addc_u32 s1, s1, s27
	v_add_co_u32_e32 v1, vcc, s0, v1
	s_ashr_i32 s0, s26, 31
	s_lshr_b32 s0, s0, 24
	v_mov_b32_e32 v2, s1
	s_add_i32 s0, s26, s0
	v_addc_co_u32_e32 v7, vcc, 0, v2, vcc
	s_and_b32 s10, s0, 0xffffff00
	v_pk_mov_b32 v[2:3], 0, 0
	s_mov_b32 s12, s11
	s_mov_b32 s11, 0
	s_cmpk_lt_i32 s26, 0x100
	v_pk_mov_b32 v[4:5], v[2:3], v[2:3] op_sel:[0,1]
	s_cbranch_scc1 .LBB182_4
; %bb.2:
	s_lshl_b64 s[0:1], s[12:13], 4
	s_add_u32 s0, s0, 16
	s_addc_u32 s1, s1, 0
	s_mul_i32 s13, s0, s21
	s_mul_hi_u32 s21, s0, s20
	s_add_i32 s13, s21, s13
	s_mul_i32 s1, s1, s20
	s_add_i32 s13, s13, s1
	s_mul_i32 s0, s0, s20
	s_add_u32 s0, s22, s0
	s_addc_u32 s1, s23, s13
	s_add_u32 s0, s0, s24
	s_addc_u32 s1, s1, s25
	s_add_u32 s0, s8, s0
	v_lshlrev_b32_e32 v2, 4, v0
	s_addc_u32 s1, s9, s1
	v_mov_b32_e32 v3, s1
	v_add_co_u32_e32 v6, vcc, s0, v2
	v_addc_co_u32_e32 v8, vcc, 0, v3, vcc
	v_pk_mov_b32 v[2:3], 0, 0
	s_mov_b64 s[8:9], 0
	v_pk_mov_b32 v[4:5], v[2:3], v[2:3] op_sel:[0,1]
.LBB182_3:                              ; =>This Inner Loop Header: Depth=1
	v_mov_b32_e32 v9, s9
	v_add_co_u32_e64 v20, s[0:1], s8, v1
	v_add_co_u32_e32 v18, vcc, s8, v6
	v_addc_co_u32_e64 v21, s[0:1], v7, v9, s[0:1]
	v_addc_co_u32_e32 v19, vcc, v8, v9, vcc
	global_load_dwordx4 v[10:13], v[20:21], off offset:16
	global_load_dwordx4 v[14:17], v[18:19], off offset:16
	s_addk_i32 s11, 0x100
	s_add_u32 s8, s8, 0x1000
	s_addc_u32 s9, s9, 0
	s_cmp_ge_i32 s11, s10
	s_waitcnt vmcnt(0)
	v_mul_f64 v[18:19], v[12:13], v[16:17]
	v_mul_f64 v[12:13], v[12:13], v[14:15]
	v_fmac_f64_e32 v[18:19], v[10:11], v[14:15]
	v_fma_f64 v[10:11], v[10:11], v[16:17], -v[12:13]
	v_add_f64 v[4:5], v[4:5], v[18:19]
	v_add_f64 v[2:3], v[2:3], v[10:11]
	s_cbranch_scc0 .LBB182_3
.LBB182_4:
	v_add_u32_e32 v6, s10, v0
	v_cmp_gt_i32_e32 vcc, s26, v6
	s_and_saveexec_b64 s[0:1], vcc
	s_cbranch_execz .LBB182_6
; %bb.5:
	s_mul_hi_i32 s9, s12, s20
	s_mul_i32 s8, s12, s20
	s_lshl_b64 s[8:9], s[8:9], 4
	s_add_u32 s6, s6, s8
	s_addc_u32 s8, s29, s9
	s_add_u32 s6, s6, s14
	s_addc_u32 s12, s8, s15
	s_ashr_i32 s11, s10, 31
	s_lshl_b64 s[8:9], s[10:11], 4
	v_mov_b32_e32 v8, s9
	v_add_co_u32_e32 v14, vcc, s8, v1
	v_addc_co_u32_e32 v15, vcc, v7, v8, vcc
	v_ashrrev_i32_e32 v7, 31, v6
	v_lshlrev_b64 v[6:7], 4, v[6:7]
	v_mov_b32_e32 v1, s12
	v_add_co_u32_e32 v16, vcc, s6, v6
	v_addc_co_u32_e32 v17, vcc, v1, v7, vcc
	global_load_dwordx4 v[6:9], v[16:17], off offset:16
	global_load_dwordx4 v[10:13], v[14:15], off offset:16
	s_waitcnt vmcnt(0)
	v_mul_f64 v[14:15], v[12:13], v[8:9]
	v_mul_f64 v[12:13], v[12:13], v[6:7]
	v_fmac_f64_e32 v[14:15], v[10:11], v[6:7]
	v_fma_f64 v[6:7], v[10:11], v[8:9], -v[12:13]
	v_add_f64 v[4:5], v[4:5], v[14:15]
	v_add_f64 v[2:3], v[2:3], v[6:7]
.LBB182_6:
	s_or_b64 exec, exec, s[0:1]
	v_mbcnt_lo_u32_b32 v1, -1, 0
	v_mbcnt_hi_u32_b32 v1, -1, v1
	v_and_b32_e32 v10, 63, v1
	v_cmp_ne_u32_e32 vcc, 63, v10
	v_addc_co_u32_e32 v6, vcc, 0, v1, vcc
	v_lshlrev_b32_e32 v9, 2, v6
	ds_bpermute_b32 v6, v9, v4
	ds_bpermute_b32 v7, v9, v5
	ds_bpermute_b32 v8, v9, v2
	ds_bpermute_b32 v9, v9, v3
	v_cmp_gt_u32_e32 vcc, 62, v10
	s_waitcnt lgkmcnt(2)
	v_add_f64 v[4:5], v[4:5], v[6:7]
	v_cndmask_b32_e64 v6, 0, 1, vcc
	v_lshlrev_b32_e32 v6, 1, v6
	s_waitcnt lgkmcnt(0)
	v_add_f64 v[2:3], v[2:3], v[8:9]
	v_add_lshl_u32 v9, v6, v1, 2
	ds_bpermute_b32 v6, v9, v4
	ds_bpermute_b32 v7, v9, v5
	ds_bpermute_b32 v8, v9, v2
	ds_bpermute_b32 v9, v9, v3
	v_cmp_gt_u32_e32 vcc, 60, v10
	s_waitcnt lgkmcnt(2)
	v_add_f64 v[4:5], v[4:5], v[6:7]
	v_cndmask_b32_e64 v6, 0, 1, vcc
	v_lshlrev_b32_e32 v6, 2, v6
	s_waitcnt lgkmcnt(0)
	v_add_f64 v[2:3], v[2:3], v[8:9]
	v_add_lshl_u32 v9, v6, v1, 2
	;; [unrolled: 12-line block ×5, first 2 shown]
	ds_bpermute_b32 v6, v1, v4
	ds_bpermute_b32 v7, v1, v5
	;; [unrolled: 1-line block ×4, first 2 shown]
	v_and_b32_e32 v1, 63, v0
	v_cmp_eq_u32_e32 vcc, 0, v1
	s_waitcnt lgkmcnt(2)
	v_add_f64 v[6:7], v[4:5], v[6:7]
	s_waitcnt lgkmcnt(0)
	v_add_f64 v[8:9], v[2:3], v[8:9]
	s_and_saveexec_b64 s[0:1], vcc
	s_cbranch_execz .LBB182_8
; %bb.7:
	v_lshrrev_b32_e32 v1, 2, v0
	ds_write_b128 v1, v[6:9]
.LBB182_8:
	s_or_b64 exec, exec, s[0:1]
	v_pk_mov_b32 v[4:5], 0, 0
	v_cmp_eq_u32_e32 vcc, 0, v0
	s_mov_b64 s[8:9], 0
	v_pk_mov_b32 v[2:3], v[4:5], v[4:5] op_sel:[0,1]
	s_waitcnt lgkmcnt(0)
	s_barrier
	s_and_saveexec_b64 s[0:1], vcc
	s_cbranch_execz .LBB182_10
; %bb.9:
	v_mov_b32_e32 v1, 0
	ds_read_b128 v[2:5], v1 offset:16
	ds_read_b128 v[10:13], v1 offset:32
	;; [unrolled: 1-line block ×3, first 2 shown]
	s_mov_b64 s[8:9], exec
	s_waitcnt lgkmcnt(2)
	v_add_f64 v[2:3], v[6:7], v[2:3]
	v_add_f64 v[4:5], v[8:9], v[4:5]
	s_waitcnt lgkmcnt(1)
	v_add_f64 v[2:3], v[2:3], v[10:11]
	v_add_f64 v[4:5], v[4:5], v[12:13]
	;; [unrolled: 3-line block ×3, first 2 shown]
.LBB182_10:
	s_or_b64 exec, exec, s[0:1]
.LBB182_11:
	s_and_saveexec_b64 s[0:1], s[8:9]
	s_cbranch_execz .LBB182_14
; %bb.12:
	v_cmp_eq_u32_e32 vcc, 0, v0
	s_and_b64 exec, exec, vcc
	s_cbranch_execz .LBB182_14
; %bb.13:
	s_load_dword s0, s[4:5], 0x40
	s_load_dwordx2 s[12:13], s[4:5], 0x58
	s_load_dwordx4 s[8:11], s[4:5], 0x48
	v_mov_b32_e32 v0, 0
	s_waitcnt lgkmcnt(0)
	s_ashr_i32 s1, s0, 31
	s_mul_i32 s4, s7, s13
	s_mul_hi_u32 s5, s7, s12
	s_add_i32 s4, s5, s4
	s_mul_i32 s5, s28, s12
	s_add_i32 s5, s4, s5
	s_mul_i32 s4, s7, s12
	s_lshl_b64 s[4:5], s[4:5], 4
	s_add_u32 s6, s10, s4
	s_addc_u32 s10, s11, s5
	s_mul_i32 s4, s7, s9
	s_mul_hi_u32 s5, s7, s8
	s_add_i32 s4, s5, s4
	s_mul_i32 s5, s28, s8
	s_add_i32 s5, s4, s5
	s_mul_i32 s4, s7, s8
	s_lshl_b64 s[4:5], s[4:5], 4
	s_add_u32 s2, s2, s4
	s_addc_u32 s3, s3, s5
	s_lshl_b64 s[0:1], s[0:1], 4
	s_add_u32 s2, s2, s0
	s_addc_u32 s3, s3, s1
	s_and_b64 s[0:1], s[18:19], exec
	s_cselect_b32 s3, s10, s3
	s_cselect_b32 s2, s6, s2
	s_lshl_b64 s[0:1], s[16:17], 4
	s_add_u32 s0, s2, s0
	s_addc_u32 s1, s3, s1
	global_store_dwordx4 v0, v[2:5], s[0:1]
.LBB182_14:
	s_endpgm
	.section	.rodata,"a",@progbits
	.p2align	6, 0x0
	.amdhsa_kernel _ZN9rocsolver6v33100L33latrd_lower_computeW_gemvt_kernelILi256E19rocblas_complex_numIdEPS3_EEviiT1_iilPT0_iilS7_iilS7_l
		.amdhsa_group_segment_fixed_size 4096
		.amdhsa_private_segment_fixed_size 0
		.amdhsa_kernarg_size 96
		.amdhsa_user_sgpr_count 6
		.amdhsa_user_sgpr_private_segment_buffer 1
		.amdhsa_user_sgpr_dispatch_ptr 0
		.amdhsa_user_sgpr_queue_ptr 0
		.amdhsa_user_sgpr_kernarg_segment_ptr 1
		.amdhsa_user_sgpr_dispatch_id 0
		.amdhsa_user_sgpr_flat_scratch_init 0
		.amdhsa_user_sgpr_kernarg_preload_length 0
		.amdhsa_user_sgpr_kernarg_preload_offset 0
		.amdhsa_user_sgpr_private_segment_size 0
		.amdhsa_uses_dynamic_stack 0
		.amdhsa_system_sgpr_private_segment_wavefront_offset 0
		.amdhsa_system_sgpr_workgroup_id_x 1
		.amdhsa_system_sgpr_workgroup_id_y 0
		.amdhsa_system_sgpr_workgroup_id_z 1
		.amdhsa_system_sgpr_workgroup_info 0
		.amdhsa_system_vgpr_workitem_id 0
		.amdhsa_next_free_vgpr 22
		.amdhsa_next_free_sgpr 32
		.amdhsa_accum_offset 24
		.amdhsa_reserve_vcc 1
		.amdhsa_reserve_flat_scratch 0
		.amdhsa_float_round_mode_32 0
		.amdhsa_float_round_mode_16_64 0
		.amdhsa_float_denorm_mode_32 3
		.amdhsa_float_denorm_mode_16_64 3
		.amdhsa_dx10_clamp 1
		.amdhsa_ieee_mode 1
		.amdhsa_fp16_overflow 0
		.amdhsa_tg_split 0
		.amdhsa_exception_fp_ieee_invalid_op 0
		.amdhsa_exception_fp_denorm_src 0
		.amdhsa_exception_fp_ieee_div_zero 0
		.amdhsa_exception_fp_ieee_overflow 0
		.amdhsa_exception_fp_ieee_underflow 0
		.amdhsa_exception_fp_ieee_inexact 0
		.amdhsa_exception_int_div_zero 0
	.end_amdhsa_kernel
	.section	.text._ZN9rocsolver6v33100L33latrd_lower_computeW_gemvt_kernelILi256E19rocblas_complex_numIdEPS3_EEviiT1_iilPT0_iilS7_iilS7_l,"axG",@progbits,_ZN9rocsolver6v33100L33latrd_lower_computeW_gemvt_kernelILi256E19rocblas_complex_numIdEPS3_EEviiT1_iilPT0_iilS7_iilS7_l,comdat
.Lfunc_end182:
	.size	_ZN9rocsolver6v33100L33latrd_lower_computeW_gemvt_kernelILi256E19rocblas_complex_numIdEPS3_EEviiT1_iilPT0_iilS7_iilS7_l, .Lfunc_end182-_ZN9rocsolver6v33100L33latrd_lower_computeW_gemvt_kernelILi256E19rocblas_complex_numIdEPS3_EEviiT1_iilPT0_iilS7_iilS7_l
                                        ; -- End function
	.section	.AMDGPU.csdata,"",@progbits
; Kernel info:
; codeLenInByte = 1556
; NumSgprs: 36
; NumVgprs: 22
; NumAgprs: 0
; TotalNumVgprs: 22
; ScratchSize: 0
; MemoryBound: 0
; FloatMode: 240
; IeeeMode: 1
; LDSByteSize: 4096 bytes/workgroup (compile time only)
; SGPRBlocks: 4
; VGPRBlocks: 2
; NumSGPRsForWavesPerEU: 36
; NumVGPRsForWavesPerEU: 22
; AccumOffset: 24
; Occupancy: 8
; WaveLimiterHint : 0
; COMPUTE_PGM_RSRC2:SCRATCH_EN: 0
; COMPUTE_PGM_RSRC2:USER_SGPR: 6
; COMPUTE_PGM_RSRC2:TRAP_HANDLER: 0
; COMPUTE_PGM_RSRC2:TGID_X_EN: 1
; COMPUTE_PGM_RSRC2:TGID_Y_EN: 0
; COMPUTE_PGM_RSRC2:TGID_Z_EN: 1
; COMPUTE_PGM_RSRC2:TIDIG_COMP_CNT: 0
; COMPUTE_PGM_RSRC3_GFX90A:ACCUM_OFFSET: 5
; COMPUTE_PGM_RSRC3_GFX90A:TG_SPLIT: 0
	.section	.text._ZN9rocsolver6v33100L26latrd_lower_updateW_kernelI19rocblas_complex_numIdEPS3_EEviiT0_iilPT_iilS7_lS7_l,"axG",@progbits,_ZN9rocsolver6v33100L26latrd_lower_updateW_kernelI19rocblas_complex_numIdEPS3_EEviiT0_iilPT_iilS7_lS7_l,comdat
	.globl	_ZN9rocsolver6v33100L26latrd_lower_updateW_kernelI19rocblas_complex_numIdEPS3_EEviiT0_iilPT_iilS7_lS7_l ; -- Begin function _ZN9rocsolver6v33100L26latrd_lower_updateW_kernelI19rocblas_complex_numIdEPS3_EEviiT0_iilPT_iilS7_lS7_l
	.p2align	8
	.type	_ZN9rocsolver6v33100L26latrd_lower_updateW_kernelI19rocblas_complex_numIdEPS3_EEviiT0_iilPT_iilS7_lS7_l,@function
_ZN9rocsolver6v33100L26latrd_lower_updateW_kernelI19rocblas_complex_numIdEPS3_EEviiT0_iilPT_iilS7_lS7_l: ; @_ZN9rocsolver6v33100L26latrd_lower_updateW_kernelI19rocblas_complex_numIdEPS3_EEviiT0_iilPT_iilS7_lS7_l
; %bb.0:
	s_load_dword s0, s[4:5], 0x64
	s_load_dwordx2 s[10:11], s[4:5], 0x0
	s_load_dwordx2 s[28:29], s[4:5], 0x58
	s_mov_b32 s35, 0
	s_waitcnt lgkmcnt(0)
	s_not_b32 s1, s11
	s_and_b32 s33, s0, 0xffff
	v_cvt_f32_u32_e32 v1, s33
	s_add_i32 s10, s1, s10
	s_sub_i32 s1, 0, s33
	s_add_i32 s2, s10, -1
	v_rcp_iflag_f32_e32 v1, v1
	s_ashr_i32 s3, s2, 31
	s_abs_i32 s2, s2
	v_mul_f32_e32 v1, 0x4f7ffffe, v1
	v_cvt_u32_f32_e32 v1, v1
	v_readfirstlane_b32 s9, v1
	s_mul_i32 s1, s1, s9
	s_mul_hi_u32 s1, s9, s1
	s_add_i32 s9, s9, s1
	s_mul_hi_u32 s1, s2, s9
	s_mul_i32 s9, s1, s33
	s_sub_i32 s2, s2, s9
	s_add_i32 s12, s1, 1
	s_sub_i32 s9, s2, s33
	s_cmp_ge_u32 s2, s33
	s_cselect_b32 s1, s12, s1
	s_cselect_b32 s2, s9, s2
	s_add_i32 s9, s1, 1
	s_cmp_ge_u32 s2, s33
	s_cselect_b32 s1, s9, s1
	s_abs_i32 s2, s28
	v_cvt_f32_u32_e32 v1, s2
	s_sub_i32 s9, 0, s2
	s_xor_b32 s1, s1, s3
	s_sub_i32 s1, s1, s3
	v_rcp_iflag_f32_e32 v1, v1
	s_xor_b32 s3, s1, s28
	s_abs_i32 s1, s1
	s_ashr_i32 s3, s3, 31
	v_mul_f32_e32 v1, 0x4f7ffffe, v1
	v_cvt_u32_f32_e32 v1, v1
	v_readfirstlane_b32 s12, v1
	s_mul_i32 s9, s9, s12
	s_mul_hi_u32 s9, s12, s9
	s_add_i32 s12, s12, s9
	s_mul_hi_u32 s9, s1, s12
	s_mul_i32 s12, s9, s2
	s_sub_i32 s1, s1, s12
	s_add_i32 s13, s9, 1
	s_sub_i32 s12, s1, s2
	s_cmp_ge_u32 s1, s2
	s_cselect_b32 s9, s13, s9
	s_cselect_b32 s1, s12, s1
	s_add_i32 s12, s9, 1
	s_cmp_ge_u32 s1, s2
	s_cselect_b32 s1, s12, s9
	s_xor_b32 s1, s1, s3
	s_sub_i32 s34, s1, s3
	s_cmp_lt_i32 s34, 0
	s_cbranch_scc1 .LBB183_20
; %bb.1:
	s_load_dwordx8 s[12:19], s[4:5], 0x8
	s_load_dwordx2 s[30:31], s[4:5], 0x28
	s_load_dwordx8 s[20:27], s[4:5], 0x30
	s_load_dwordx2 s[2:3], s[4:5], 0x50
	s_ashr_i32 s9, s8, 31
	s_waitcnt lgkmcnt(0)
	s_mul_i32 s4, s8, s17
	s_mul_hi_u32 s5, s8, s16
	s_add_i32 s4, s5, s4
	s_mul_i32 s5, s9, s16
	s_add_i32 s5, s4, s5
	s_mul_i32 s4, s8, s16
	s_lshr_b32 s36, s0, 16
	s_ashr_i32 s1, s14, 31
	s_lshl_b64 s[4:5], s[4:5], 4
	s_mov_b32 s0, s14
	s_add_u32 s4, s12, s4
	s_addc_u32 s5, s13, s5
	s_lshl_b64 s[0:1], s[0:1], 4
	s_add_u32 s12, s4, s0
	s_addc_u32 s13, s5, s1
	s_mul_i32 s4, s8, s21
	s_mul_hi_u32 s5, s8, s20
	s_add_i32 s4, s5, s4
	s_mul_i32 s5, s9, s20
	s_add_i32 s5, s4, s5
	s_mul_i32 s4, s8, s20
	s_ashr_i32 s1, s30, 31
	s_lshl_b64 s[4:5], s[4:5], 4
	s_mov_b32 s0, s30
	s_add_u32 s4, s18, s4
	s_addc_u32 s5, s19, s5
	s_lshl_b64 s[0:1], s[0:1], 4
	s_add_u32 s4, s4, s0
	s_addc_u32 s5, s5, s1
	s_mul_i32 s0, s8, s25
	s_mul_hi_u32 s1, s8, s24
	s_add_i32 s0, s1, s0
	s_mul_i32 s1, s9, s24
	s_add_i32 s1, s0, s1
	s_mul_i32 s0, s8, s24
	s_lshl_b64 s[0:1], s[0:1], 4
	s_add_u32 s20, s22, s0
	s_addc_u32 s21, s23, s1
	s_mul_i32 s0, s8, s3
	s_mul_hi_u32 s1, s8, s2
	s_add_i32 s0, s1, s0
	s_mul_i32 s9, s9, s2
	v_and_b32_e32 v20, 0x3ff, v0
	v_bfe_u32 v21, v0, 10, 10
	s_add_i32 s1, s0, s9
	s_mul_i32 s0, s8, s2
	v_cvt_f32_u32_e32 v0, s36
	s_lshl_b64 s[0:1], s[0:1], 4
	s_add_u32 s8, s26, s0
	s_mul_hi_i32 s3, s31, s11
	s_mul_i32 s2, s31, s11
	s_addc_u32 s9, s27, s1
	s_ashr_i32 s1, s11, 31
	s_lshl_b64 s[2:3], s[2:3], 4
	s_mov_b32 s0, s11
	s_add_u32 s22, s4, s2
	v_rcp_iflag_f32_e32 v0, v0
	s_addc_u32 s23, s5, s3
	s_lshl_b64 s[0:1], s[0:1], 4
	s_add_u32 s14, s22, s0
	s_addc_u32 s25, s23, s1
	s_add_u32 s26, s12, s0
	v_mul_f32_e32 v0, 0x4f7ffffe, v0
	s_addc_u32 s27, s13, s1
	v_cvt_u32_f32_e32 v0, v0
	s_add_u32 s4, s4, s0
	s_addc_u32 s5, s5, s1
	s_add_u32 s12, s8, s0
	s_addc_u32 s13, s9, s1
	s_sub_i32 s2, 0, s36
	v_readfirstlane_b32 s3, v0
	s_mul_i32 s2, s2, s3
	s_add_i32 s0, s11, -1
	s_mul_hi_u32 s2, s3, s2
	s_ashr_i32 s1, s0, 31
	s_abs_i32 s0, s0
	s_add_i32 s3, s3, s2
	s_mul_hi_u32 s2, s0, s3
	s_mul_i32 s3, s2, s36
	s_sub_i32 s0, s0, s3
	s_add_i32 s3, s2, 1
	s_sub_i32 s8, s0, s36
	s_cmp_ge_u32 s0, s36
	s_cselect_b32 s2, s3, s2
	s_cselect_b32 s0, s8, s0
	s_add_i32 s3, s2, 1
	s_cmp_ge_u32 s0, s36
	s_cselect_b32 s0, s3, s2
	s_abs_i32 s2, s29
	v_cvt_f32_u32_e32 v0, s2
	s_mul_i32 s7, s7, s36
	v_add_u32_e32 v22, s7, v21
	s_sub_i32 s3, 0, s2
	v_rcp_iflag_f32_e32 v0, v0
	s_xor_b32 s0, s0, s1
	s_sub_i32 s0, s0, s1
	s_xor_b32 s1, s0, s29
	v_mul_f32_e32 v0, 0x4f7ffffe, v0
	v_cvt_u32_f32_e32 v0, v0
	s_abs_i32 s0, s0
	s_ashr_i32 s1, s1, 31
	v_lshl_add_u32 v23, v20, 4, 0
	v_readfirstlane_b32 s7, v0
	s_mul_i32 s3, s3, s7
	s_mul_hi_u32 s3, s7, s3
	s_add_i32 s7, s7, s3
	s_mul_hi_u32 s3, s0, s7
	s_mul_i32 s7, s3, s2
	s_sub_i32 s0, s0, s7
	s_add_i32 s7, s3, 1
	s_sub_i32 s8, s0, s2
	s_cmp_ge_u32 s0, s2
	s_cselect_b32 s3, s7, s3
	s_cselect_b32 s0, s8, s0
	s_add_i32 s7, s3, 1
	s_cmp_ge_u32 s0, s2
	s_cselect_b32 s0, s7, s3
	s_xor_b32 s0, s0, s1
	s_sub_i32 s37, s0, s1
	s_cmp_gt_i32 s37, -1
	s_cselect_b64 s[18:19], -1, 0
	s_add_u32 s7, s14, 16
	s_addc_u32 s25, s25, 0
	s_add_u32 s26, s26, 16
	v_mul_u32_u24_e32 v0, s33, v21
	s_addc_u32 s27, s27, 0
	s_mul_i32 s24, s29, s36
	v_lshl_add_u32 v24, v0, 4, v23
	s_add_u32 s29, s4, 16
	v_mul_lo_u32 v0, s15, v22
	s_mul_i32 s4, s6, s33
	v_add3_u32 v25, v20, v0, s4
	v_mul_lo_u32 v0, s31, v22
	v_cmp_eq_u32_e64 s[0:1], 0, v22
	v_cmp_gt_u16_e64 s[16:17], s36, 1
	v_cmp_eq_u32_e64 s[2:3], 0, v21
	s_addc_u32 s30, s5, 0
	s_add_i32 s37, s37, 1
	s_mul_i32 s38, s28, s33
	s_mul_i32 s39, s24, s15
	v_add3_u32 v26, v20, v0, s4
	s_mul_i32 s31, s24, s31
	v_mov_b32_e32 v27, 0
	s_branch .LBB183_3
.LBB183_2:                              ;   in Loop: Header=BB183_3 Depth=1
	s_or_b64 exec, exec, s[4:5]
	s_add_i32 s4, s35, 1
	v_add_u32_e32 v25, s38, v25
	v_add_u32_e32 v26, s38, v26
	s_cmp_eq_u32 s35, s34
	s_mov_b32 s35, s4
	s_cbranch_scc1 .LBB183_20
.LBB183_3:                              ; =>This Loop Header: Depth=1
                                        ;     Child Loop BB183_12 Depth 2
                                        ;     Child Loop BB183_9 Depth 2
	s_mul_i32 s4, s35, s28
	s_add_i32 s4, s4, s6
	s_mul_i32 s4, s4, s33
	v_add_u32_e32 v12, s4, v20
	v_cmp_gt_i32_e64 s[4:5], s10, v12
	v_pk_mov_b32 v[0:1], 0, 0
	s_and_b64 s[14:15], s[0:1], s[4:5]
	v_ashrrev_i32_e32 v13, 31, v12
	v_pk_mov_b32 v[2:3], v[0:1], v[0:1] op_sel:[0,1]
	s_and_saveexec_b64 s[8:9], s[14:15]
	s_cbranch_execz .LBB183_5
; %bb.4:                                ;   in Loop: Header=BB183_3 Depth=1
	v_lshlrev_b64 v[0:1], 4, v[12:13]
	v_mov_b32_e32 v2, s25
	v_add_co_u32_e32 v0, vcc, s7, v0
	v_addc_co_u32_e32 v1, vcc, v2, v1, vcc
	global_load_dwordx4 v[0:3], v[0:1], off
.LBB183_5:                              ;   in Loop: Header=BB183_3 Depth=1
	s_or_b64 exec, exec, s[8:9]
	s_andn2_b64 vcc, exec, s[18:19]
	v_mov_b32_e32 v14, v22
	v_mov_b32_e32 v16, v26
	;; [unrolled: 1-line block ×3, first 2 shown]
	s_mov_b32 s40, s37
	s_cbranch_vccz .LBB183_12
.LBB183_6:                              ;   in Loop: Header=BB183_3 Depth=1
	s_andn2_b64 vcc, exec, s[16:17]
	s_mov_b32 s14, s36
	s_waitcnt vmcnt(0)
	ds_write2_b64 v24, v[0:1], v[2:3] offset1:1
	s_waitcnt lgkmcnt(0)
	s_barrier
	s_cbranch_vccnz .LBB183_18
; %bb.7:                                ;   in Loop: Header=BB183_3 Depth=1
	s_lshr_b32 s15, s14, 1
	v_cmp_gt_u32_e32 vcc, s15, v21
	s_and_saveexec_b64 s[8:9], vcc
	s_cbranch_execz .LBB183_9
.LBB183_8:                              ;   in Loop: Header=BB183_3 Depth=1
	v_add_u32_e32 v4, s15, v21
	v_mul_u32_u24_e32 v4, s33, v4
	v_lshl_add_u32 v4, v4, 4, v23
	ds_read2_b64 v[4:7], v4 offset1:1
	s_waitcnt lgkmcnt(0)
	v_add_f64 v[0:1], v[0:1], v[4:5]
	v_add_f64 v[2:3], v[2:3], v[6:7]
	ds_write2_b64 v24, v[0:1], v[2:3] offset1:1
.LBB183_9:                              ;   Parent Loop BB183_3 Depth=1
                                        ; =>  This Inner Loop Header: Depth=2
	s_or_b64 exec, exec, s[8:9]
	s_cmp_lt_u32 s14, 4
	s_waitcnt lgkmcnt(0)
	s_barrier
	s_cbranch_scc1 .LBB183_18
; %bb.10:                               ;   in Loop: Header=BB183_9 Depth=2
	s_mov_b32 s14, s15
	s_lshr_b32 s15, s14, 1
	v_cmp_gt_u32_e32 vcc, s15, v21
	s_and_saveexec_b64 s[8:9], vcc
	s_cbranch_execnz .LBB183_8
	s_branch .LBB183_9
.LBB183_11:                             ;   in Loop: Header=BB183_12 Depth=2
	s_or_b64 exec, exec, s[8:9]
	s_add_i32 s40, s40, -1
	v_add_u32_e32 v18, s39, v18
	v_add_u32_e32 v16, s31, v16
	s_cmp_eq_u32 s40, 0
	v_add_u32_e32 v14, s24, v14
	s_cbranch_scc1 .LBB183_6
.LBB183_12:                             ;   Parent Loop BB183_3 Depth=1
                                        ; =>  This Inner Loop Header: Depth=2
	s_waitcnt vmcnt(0)
	v_pk_mov_b32 v[6:7], 0, 0
	v_cmp_gt_i32_e32 vcc, s11, v14
	v_ashrrev_i32_e32 v15, 31, v14
	v_pk_mov_b32 v[8:9], v[6:7], v[6:7] op_sel:[0,1]
	v_pk_mov_b32 v[10:11], v[6:7], v[6:7] op_sel:[0,1]
	s_and_saveexec_b64 s[14:15], vcc
	s_cbranch_execnz .LBB183_15
; %bb.13:                               ;   in Loop: Header=BB183_12 Depth=2
	s_or_b64 exec, exec, s[14:15]
	v_pk_mov_b32 v[4:5], v[6:7], v[6:7] op_sel:[0,1]
	s_and_saveexec_b64 s[14:15], vcc
	s_cbranch_execnz .LBB183_16
.LBB183_14:                             ;   in Loop: Header=BB183_12 Depth=2
	s_or_b64 exec, exec, s[14:15]
	s_and_b64 s[14:15], s[4:5], vcc
	s_and_saveexec_b64 s[8:9], s[14:15]
	s_cbranch_execz .LBB183_11
	s_branch .LBB183_17
.LBB183_15:                             ;   in Loop: Header=BB183_12 Depth=2
	v_lshlrev_b64 v[4:5], 4, v[14:15]
	v_mov_b32_e32 v8, s21
	v_add_co_u32_e64 v4, s[8:9], s20, v4
	v_addc_co_u32_e64 v5, s[8:9], v8, v5, s[8:9]
	global_load_dwordx4 v[8:11], v[4:5], off
	s_or_b64 exec, exec, s[14:15]
	v_pk_mov_b32 v[4:5], v[6:7], v[6:7] op_sel:[0,1]
	s_and_saveexec_b64 s[14:15], vcc
	s_cbranch_execz .LBB183_14
.LBB183_16:                             ;   in Loop: Header=BB183_12 Depth=2
	v_lshlrev_b64 v[4:5], 4, v[14:15]
	v_mov_b32_e32 v6, s23
	v_add_co_u32_e64 v4, s[8:9], s22, v4
	v_addc_co_u32_e64 v5, s[8:9], v6, v5, s[8:9]
	global_load_dwordx4 v[4:7], v[4:5], off
	s_or_b64 exec, exec, s[14:15]
	s_and_b64 s[14:15], s[4:5], vcc
	s_and_saveexec_b64 s[8:9], s[14:15]
	s_cbranch_execz .LBB183_11
.LBB183_17:                             ;   in Loop: Header=BB183_12 Depth=2
	v_ashrrev_i32_e32 v19, 31, v18
	v_lshlrev_b64 v[28:29], 4, v[18:19]
	v_mov_b32_e32 v15, s27
	v_add_co_u32_e32 v28, vcc, s26, v28
	v_ashrrev_i32_e32 v17, 31, v16
	v_addc_co_u32_e32 v29, vcc, v15, v29, vcc
	v_lshlrev_b64 v[32:33], 4, v[16:17]
	v_mov_b32_e32 v15, s30
	v_add_co_u32_e32 v32, vcc, s29, v32
	v_addc_co_u32_e32 v33, vcc, v15, v33, vcc
	global_load_dwordx4 v[28:31], v[28:29], off
	s_waitcnt vmcnt(0)
	v_mul_f64 v[36:37], v[10:11], v[30:31]
	global_load_dwordx4 v[32:35], v[32:33], off
	v_mul_f64 v[30:31], v[8:9], v[30:31]
	v_fma_f64 v[8:9], v[8:9], v[28:29], -v[36:37]
	v_fmac_f64_e32 v[30:31], v[10:11], v[28:29]
	s_waitcnt vmcnt(0)
	v_mul_f64 v[38:39], v[6:7], v[34:35]
	v_mul_f64 v[34:35], v[4:5], v[34:35]
	v_fma_f64 v[4:5], v[4:5], v[32:33], -v[38:39]
	v_fmac_f64_e32 v[34:35], v[6:7], v[32:33]
	v_add_f64 v[4:5], v[8:9], v[4:5]
	v_add_f64 v[6:7], v[30:31], v[34:35]
	v_add_f64 v[0:1], v[0:1], -v[4:5]
	v_add_f64 v[2:3], v[2:3], -v[6:7]
	s_branch .LBB183_11
.LBB183_18:                             ;   in Loop: Header=BB183_3 Depth=1
	s_and_b64 s[8:9], s[2:3], s[4:5]
	s_and_saveexec_b64 s[4:5], s[8:9]
	s_cbranch_execz .LBB183_2
; %bb.19:                               ;   in Loop: Header=BB183_3 Depth=1
	global_load_dwordx4 v[4:7], v27, s[12:13]
	v_lshlrev_b64 v[10:11], 4, v[12:13]
	v_mov_b32_e32 v14, s25
	s_waitcnt vmcnt(0)
	v_mul_f64 v[12:13], v[2:3], v[6:7]
	v_mul_f64 v[8:9], v[0:1], v[6:7]
	v_fma_f64 v[6:7], v[0:1], v[4:5], -v[12:13]
	v_add_co_u32_e32 v0, vcc, s7, v10
	v_fmac_f64_e32 v[8:9], v[2:3], v[4:5]
	v_addc_co_u32_e32 v1, vcc, v14, v11, vcc
	global_store_dwordx4 v[0:1], v[6:9], off
	s_branch .LBB183_2
.LBB183_20:
	s_endpgm
	.section	.rodata,"a",@progbits
	.p2align	6, 0x0
	.amdhsa_kernel _ZN9rocsolver6v33100L26latrd_lower_updateW_kernelI19rocblas_complex_numIdEPS3_EEviiT0_iilPT_iilS7_lS7_l
		.amdhsa_group_segment_fixed_size 0
		.amdhsa_private_segment_fixed_size 0
		.amdhsa_kernarg_size 344
		.amdhsa_user_sgpr_count 6
		.amdhsa_user_sgpr_private_segment_buffer 1
		.amdhsa_user_sgpr_dispatch_ptr 0
		.amdhsa_user_sgpr_queue_ptr 0
		.amdhsa_user_sgpr_kernarg_segment_ptr 1
		.amdhsa_user_sgpr_dispatch_id 0
		.amdhsa_user_sgpr_flat_scratch_init 0
		.amdhsa_user_sgpr_kernarg_preload_length 0
		.amdhsa_user_sgpr_kernarg_preload_offset 0
		.amdhsa_user_sgpr_private_segment_size 0
		.amdhsa_uses_dynamic_stack 0
		.amdhsa_system_sgpr_private_segment_wavefront_offset 0
		.amdhsa_system_sgpr_workgroup_id_x 1
		.amdhsa_system_sgpr_workgroup_id_y 1
		.amdhsa_system_sgpr_workgroup_id_z 1
		.amdhsa_system_sgpr_workgroup_info 0
		.amdhsa_system_vgpr_workitem_id 1
		.amdhsa_next_free_vgpr 40
		.amdhsa_next_free_sgpr 41
		.amdhsa_accum_offset 40
		.amdhsa_reserve_vcc 1
		.amdhsa_reserve_flat_scratch 0
		.amdhsa_float_round_mode_32 0
		.amdhsa_float_round_mode_16_64 0
		.amdhsa_float_denorm_mode_32 3
		.amdhsa_float_denorm_mode_16_64 3
		.amdhsa_dx10_clamp 1
		.amdhsa_ieee_mode 1
		.amdhsa_fp16_overflow 0
		.amdhsa_tg_split 0
		.amdhsa_exception_fp_ieee_invalid_op 0
		.amdhsa_exception_fp_denorm_src 0
		.amdhsa_exception_fp_ieee_div_zero 0
		.amdhsa_exception_fp_ieee_overflow 0
		.amdhsa_exception_fp_ieee_underflow 0
		.amdhsa_exception_fp_ieee_inexact 0
		.amdhsa_exception_int_div_zero 0
	.end_amdhsa_kernel
	.section	.text._ZN9rocsolver6v33100L26latrd_lower_updateW_kernelI19rocblas_complex_numIdEPS3_EEviiT0_iilPT_iilS7_lS7_l,"axG",@progbits,_ZN9rocsolver6v33100L26latrd_lower_updateW_kernelI19rocblas_complex_numIdEPS3_EEviiT0_iilPT_iilS7_lS7_l,comdat
.Lfunc_end183:
	.size	_ZN9rocsolver6v33100L26latrd_lower_updateW_kernelI19rocblas_complex_numIdEPS3_EEviiT0_iilPT_iilS7_lS7_l, .Lfunc_end183-_ZN9rocsolver6v33100L26latrd_lower_updateW_kernelI19rocblas_complex_numIdEPS3_EEviiT0_iilPT_iilS7_lS7_l
                                        ; -- End function
	.section	.AMDGPU.csdata,"",@progbits
; Kernel info:
; codeLenInByte = 1692
; NumSgprs: 45
; NumVgprs: 40
; NumAgprs: 0
; TotalNumVgprs: 40
; ScratchSize: 0
; MemoryBound: 1
; FloatMode: 240
; IeeeMode: 1
; LDSByteSize: 0 bytes/workgroup (compile time only)
; SGPRBlocks: 5
; VGPRBlocks: 4
; NumSGPRsForWavesPerEU: 45
; NumVGPRsForWavesPerEU: 40
; AccumOffset: 40
; Occupancy: 8
; WaveLimiterHint : 0
; COMPUTE_PGM_RSRC2:SCRATCH_EN: 0
; COMPUTE_PGM_RSRC2:USER_SGPR: 6
; COMPUTE_PGM_RSRC2:TRAP_HANDLER: 0
; COMPUTE_PGM_RSRC2:TGID_X_EN: 1
; COMPUTE_PGM_RSRC2:TGID_Y_EN: 1
; COMPUTE_PGM_RSRC2:TGID_Z_EN: 1
; COMPUTE_PGM_RSRC2:TIDIG_COMP_CNT: 1
; COMPUTE_PGM_RSRC3_GFX90A:ACCUM_OFFSET: 9
; COMPUTE_PGM_RSRC3_GFX90A:TG_SPLIT: 0
	.section	.text._ZN9rocsolver6v33100L20latrd_dot_scale_axpyILi1024E19rocblas_complex_numIdEiPS3_EEvT1_T2_llPT0_llS8_l,"axG",@progbits,_ZN9rocsolver6v33100L20latrd_dot_scale_axpyILi1024E19rocblas_complex_numIdEiPS3_EEvT1_T2_llPT0_llS8_l,comdat
	.globl	_ZN9rocsolver6v33100L20latrd_dot_scale_axpyILi1024E19rocblas_complex_numIdEiPS3_EEvT1_T2_llPT0_llS8_l ; -- Begin function _ZN9rocsolver6v33100L20latrd_dot_scale_axpyILi1024E19rocblas_complex_numIdEiPS3_EEvT1_T2_llPT0_llS8_l
	.p2align	8
	.type	_ZN9rocsolver6v33100L20latrd_dot_scale_axpyILi1024E19rocblas_complex_numIdEiPS3_EEvT1_T2_llPT0_llS8_l,@function
_ZN9rocsolver6v33100L20latrd_dot_scale_axpyILi1024E19rocblas_complex_numIdEiPS3_EEvT1_T2_llPT0_llS8_l: ; @_ZN9rocsolver6v33100L20latrd_dot_scale_axpyILi1024E19rocblas_complex_numIdEiPS3_EEvT1_T2_llPT0_llS8_l
; %bb.0:
	s_load_dwordx16 s[8:23], s[4:5], 0x8
	s_load_dword s6, s[4:5], 0x0
	s_ashr_i32 s24, s7, 31
	v_pk_mov_b32 v[2:3], 0, 0
	v_lshlrev_b32_e32 v6, 4, v0
	s_waitcnt lgkmcnt(0)
	s_mul_i32 s0, s7, s13
	s_mul_hi_u32 s1, s7, s12
	s_add_i32 s0, s1, s0
	s_mul_i32 s1, s24, s12
	s_add_i32 s1, s0, s1
	s_mul_i32 s0, s7, s12
	s_lshl_b64 s[0:1], s[0:1], 4
	s_add_u32 s2, s8, s0
	s_addc_u32 s3, s9, s1
	s_lshl_b64 s[0:1], s[10:11], 4
	s_add_u32 s2, s2, s0
	s_addc_u32 s3, s3, s1
	s_mul_i32 s0, s7, s19
	s_mul_hi_u32 s1, s7, s18
	s_add_i32 s0, s1, s0
	s_mul_i32 s1, s24, s18
	s_add_i32 s1, s0, s1
	s_mul_i32 s0, s7, s18
	s_lshl_b64 s[0:1], s[0:1], 4
	s_add_u32 s4, s14, s0
	s_addc_u32 s5, s15, s1
	s_lshl_b64 s[0:1], s[16:17], 4
	s_add_u32 s4, s4, s0
	s_addc_u32 s5, s5, s1
	v_cmp_gt_i32_e32 vcc, s6, v0
	v_pk_mov_b32 v[4:5], v[2:3], v[2:3] op_sel:[0,1]
	s_and_saveexec_b64 s[8:9], vcc
	s_cbranch_execz .LBB184_6
; %bb.1:
	global_load_dwordx4 v[2:5], v6, s[2:3]
	global_load_dwordx4 v[8:11], v6, s[4:5]
	v_or_b32_e32 v1, 0x400, v0
	v_cmp_gt_u32_e64 s[0:1], s6, v1
	s_waitcnt vmcnt(1)
	ds_write_b128 v6, v[2:5]
	s_waitcnt vmcnt(0)
	ds_write_b128 v6, v[8:11] offset:16384
	v_mul_f64 v[12:13], v[4:5], v[10:11]
	v_mul_f64 v[10:11], v[2:3], v[10:11]
	v_fmac_f64_e32 v[12:13], v[2:3], v[8:9]
	v_fma_f64 v[4:5], v[4:5], v[8:9], -v[10:11]
	v_add_f64 v[2:3], v[12:13], 0
	v_add_f64 v[4:5], v[4:5], 0
	s_and_saveexec_b64 s[10:11], s[0:1]
	s_cbranch_execz .LBB184_5
; %bb.2:
	s_mov_b64 s[12:13], 0
	s_mov_b64 s[14:15], s[4:5]
	s_mov_b64 s[16:17], s[2:3]
.LBB184_3:                              ; =>This Inner Loop Header: Depth=1
	s_add_u32 s14, s14, 0x4000
	s_addc_u32 s15, s15, 0
	v_mov_b32_e32 v7, s15
	v_add_co_u32_e64 v8, s[0:1], s14, v6
	s_add_u32 s16, s16, 0x4000
	v_addc_co_u32_e64 v9, s[0:1], 0, v7, s[0:1]
	s_addc_u32 s17, s17, 0
	v_mov_b32_e32 v7, s17
	v_add_co_u32_e64 v12, s[0:1], s16, v6
	v_addc_co_u32_e64 v13, s[0:1], 0, v7, s[0:1]
	global_load_dwordx4 v[8:11], v[8:9], off
	v_add_u32_e32 v1, 0x400, v1
	global_load_dwordx4 v[12:15], v[12:13], off
	v_cmp_le_i32_e64 s[0:1], s6, v1
	s_or_b64 s[12:13], s[0:1], s[12:13]
	s_waitcnt vmcnt(0)
	v_mul_f64 v[16:17], v[14:15], v[10:11]
	v_mul_f64 v[10:11], v[12:13], v[10:11]
	v_fmac_f64_e32 v[16:17], v[12:13], v[8:9]
	v_fma_f64 v[8:9], v[14:15], v[8:9], -v[10:11]
	v_add_f64 v[2:3], v[2:3], v[16:17]
	v_add_f64 v[4:5], v[4:5], v[8:9]
	s_andn2_b64 exec, exec, s[12:13]
	s_cbranch_execnz .LBB184_3
; %bb.4:
	s_or_b64 exec, exec, s[12:13]
.LBB184_5:
	s_or_b64 exec, exec, s[10:11]
.LBB184_6:
	s_or_b64 exec, exec, s[8:9]
	v_mbcnt_lo_u32_b32 v1, -1, 0
	v_mbcnt_hi_u32_b32 v1, -1, v1
	v_and_b32_e32 v7, 63, v1
	v_cmp_ne_u32_e64 s[0:1], 63, v7
	v_addc_co_u32_e64 v8, s[0:1], 0, v1, s[0:1]
	v_lshlrev_b32_e32 v11, 2, v8
	ds_bpermute_b32 v8, v11, v2
	ds_bpermute_b32 v9, v11, v3
	ds_bpermute_b32 v10, v11, v4
	ds_bpermute_b32 v11, v11, v5
	v_cmp_gt_u32_e64 s[0:1], 62, v7
	s_waitcnt lgkmcnt(2)
	v_add_f64 v[2:3], v[2:3], v[8:9]
	v_cndmask_b32_e64 v8, 0, 1, s[0:1]
	v_lshlrev_b32_e32 v8, 1, v8
	s_waitcnt lgkmcnt(0)
	v_add_f64 v[4:5], v[4:5], v[10:11]
	v_add_lshl_u32 v11, v8, v1, 2
	ds_bpermute_b32 v8, v11, v2
	ds_bpermute_b32 v9, v11, v3
	ds_bpermute_b32 v10, v11, v4
	ds_bpermute_b32 v11, v11, v5
	v_cmp_gt_u32_e64 s[0:1], 60, v7
	s_waitcnt lgkmcnt(2)
	v_add_f64 v[2:3], v[2:3], v[8:9]
	v_cndmask_b32_e64 v8, 0, 1, s[0:1]
	v_lshlrev_b32_e32 v8, 2, v8
	s_waitcnt lgkmcnt(0)
	v_add_f64 v[4:5], v[4:5], v[10:11]
	v_add_lshl_u32 v11, v8, v1, 2
	ds_bpermute_b32 v8, v11, v2
	ds_bpermute_b32 v9, v11, v3
	ds_bpermute_b32 v10, v11, v4
	ds_bpermute_b32 v11, v11, v5
	v_cmp_gt_u32_e64 s[0:1], 56, v7
	s_waitcnt lgkmcnt(2)
	v_add_f64 v[2:3], v[2:3], v[8:9]
	v_cndmask_b32_e64 v8, 0, 1, s[0:1]
	v_lshlrev_b32_e32 v8, 3, v8
	s_waitcnt lgkmcnt(0)
	v_add_f64 v[4:5], v[4:5], v[10:11]
	v_add_lshl_u32 v11, v8, v1, 2
	ds_bpermute_b32 v8, v11, v2
	ds_bpermute_b32 v9, v11, v3
	ds_bpermute_b32 v10, v11, v4
	ds_bpermute_b32 v11, v11, v5
	v_cmp_gt_u32_e64 s[0:1], 48, v7
	s_waitcnt lgkmcnt(2)
	v_add_f64 v[2:3], v[2:3], v[8:9]
	v_cndmask_b32_e64 v8, 0, 1, s[0:1]
	v_lshlrev_b32_e32 v8, 4, v8
	s_waitcnt lgkmcnt(0)
	v_add_f64 v[4:5], v[4:5], v[10:11]
	v_add_lshl_u32 v11, v8, v1, 2
	ds_bpermute_b32 v8, v11, v2
	ds_bpermute_b32 v9, v11, v3
	;; [unrolled: 1-line block ×4, first 2 shown]
	v_cmp_gt_u32_e64 s[0:1], 32, v7
	v_cndmask_b32_e64 v7, 0, 1, s[0:1]
	v_lshlrev_b32_e32 v7, 5, v7
	s_waitcnt lgkmcnt(2)
	v_add_f64 v[2:3], v[2:3], v[8:9]
	s_waitcnt lgkmcnt(0)
	v_add_f64 v[4:5], v[4:5], v[10:11]
	v_add_lshl_u32 v1, v7, v1, 2
	ds_bpermute_b32 v8, v1, v2
	ds_bpermute_b32 v9, v1, v3
	;; [unrolled: 1-line block ×4, first 2 shown]
	v_and_b32_e32 v1, 63, v0
	v_cmp_eq_u32_e64 s[0:1], 0, v1
	s_waitcnt lgkmcnt(2)
	v_add_f64 v[2:3], v[2:3], v[8:9]
	s_waitcnt lgkmcnt(0)
	v_add_f64 v[4:5], v[4:5], v[10:11]
	s_and_saveexec_b64 s[8:9], s[0:1]
	s_cbranch_execz .LBB184_8
; %bb.7:
	v_lshrrev_b32_e32 v1, 2, v0
	ds_write_b128 v1, v[2:5] offset:32768
.LBB184_8:
	s_or_b64 exec, exec, s[8:9]
	v_cmp_eq_u32_e64 s[0:1], 0, v0
	s_waitcnt lgkmcnt(0)
	s_barrier
	s_and_saveexec_b64 s[8:9], s[0:1]
	s_cbranch_execz .LBB184_10
; %bb.9:
	v_mov_b32_e32 v1, 0
	ds_read_b128 v[8:11], v1 offset:32784
	ds_read_b128 v[12:15], v1 offset:32800
	;; [unrolled: 1-line block ×4, first 2 shown]
	s_mul_i32 s0, s7, s23
	s_mul_hi_u32 s1, s7, s22
	s_add_i32 s0, s1, s0
	s_waitcnt lgkmcnt(3)
	v_add_f64 v[2:3], v[2:3], v[8:9]
	v_add_f64 v[4:5], v[4:5], v[10:11]
	s_waitcnt lgkmcnt(2)
	v_add_f64 v[2:3], v[2:3], v[12:13]
	v_add_f64 v[8:9], v[4:5], v[14:15]
	s_waitcnt lgkmcnt(1)
	v_add_f64 v[10:11], v[2:3], v[16:17]
	ds_read_b128 v[2:5], v1 offset:32848
	v_add_f64 v[12:13], v[8:9], v[18:19]
	s_waitcnt lgkmcnt(1)
	v_add_f64 v[14:15], v[10:11], v[20:21]
	ds_read_b128 v[8:11], v1 offset:32864
	v_add_f64 v[16:17], v[12:13], v[22:23]
	s_waitcnt lgkmcnt(1)
	v_add_f64 v[2:3], v[14:15], v[2:3]
	ds_read_b128 v[12:15], v1 offset:32880
	v_add_f64 v[16:17], v[16:17], v[4:5]
	s_waitcnt lgkmcnt(1)
	v_add_f64 v[8:9], v[2:3], v[8:9]
	ds_read_b128 v[2:5], v1 offset:32896
	v_add_f64 v[16:17], v[16:17], v[10:11]
	s_waitcnt lgkmcnt(1)
	v_add_f64 v[12:13], v[8:9], v[12:13]
	ds_read_b128 v[8:11], v1 offset:32912
	v_add_f64 v[16:17], v[16:17], v[14:15]
	s_waitcnt lgkmcnt(1)
	v_add_f64 v[2:3], v[12:13], v[2:3]
	ds_read_b128 v[12:15], v1 offset:32928
	v_add_f64 v[16:17], v[16:17], v[4:5]
	s_waitcnt lgkmcnt(1)
	v_add_f64 v[8:9], v[2:3], v[8:9]
	ds_read_b128 v[2:5], v1 offset:32944
	v_add_f64 v[16:17], v[16:17], v[10:11]
	s_waitcnt lgkmcnt(1)
	v_add_f64 v[12:13], v[8:9], v[12:13]
	ds_read_b128 v[8:11], v1 offset:32960
	s_mul_i32 s1, s24, s22
	v_add_f64 v[16:17], v[16:17], v[14:15]
	s_waitcnt lgkmcnt(1)
	v_add_f64 v[2:3], v[12:13], v[2:3]
	ds_read_b128 v[12:15], v1 offset:32976
	s_add_i32 s1, s0, s1
	s_mul_i32 s0, s7, s22
	s_lshl_b64 s[0:1], s[0:1], 4
	s_add_u32 s0, s20, s0
	v_add_f64 v[4:5], v[16:17], v[4:5]
	s_addc_u32 s1, s21, s1
	s_waitcnt lgkmcnt(1)
	v_add_f64 v[8:9], v[2:3], v[8:9]
	v_add_f64 v[16:17], v[4:5], v[10:11]
	ds_read_b128 v[2:5], v1 offset:32992
	s_waitcnt lgkmcnt(1)
	v_add_f64 v[12:13], v[8:9], v[12:13]
	ds_read_b128 v[8:11], v1 offset:33008
	s_load_dwordx4 s[12:15], s[0:1], 0x0
	v_add_f64 v[14:15], v[16:17], v[14:15]
	s_waitcnt lgkmcnt(0)
	v_add_f64 v[2:3], v[12:13], v[2:3]
	v_add_f64 v[4:5], v[14:15], v[4:5]
	;; [unrolled: 1-line block ×4, first 2 shown]
	v_mul_f64 v[4:5], s[14:15], -0.5
	v_mul_f64 v[12:13], s[12:13], -0.5
	v_mul_f64 v[2:3], v[10:11], v[4:5]
	v_mul_f64 v[4:5], v[8:9], v[4:5]
	v_fma_f64 v[2:3], v[8:9], v[12:13], -v[2:3]
	v_fmac_f64_e32 v[4:5], v[10:11], v[12:13]
	ds_write_b128 v1, v[2:5] offset:32768
.LBB184_10:
	s_or_b64 exec, exec, s[8:9]
	s_waitcnt lgkmcnt(0)
	s_barrier
	s_and_saveexec_b64 s[0:1], vcc
	s_cbranch_execz .LBB184_14
; %bb.11:
	v_mov_b32_e32 v1, 0
	ds_read_b128 v[2:5], v1 offset:32768
	ds_read_b128 v[8:11], v6
	ds_read_b128 v[12:15], v6 offset:16384
	v_or_b32_e32 v0, 0x400, v0
	v_cmp_gt_i32_e32 vcc, s6, v0
	s_waitcnt lgkmcnt(1)
	v_mul_f64 v[16:17], v[10:11], v[4:5]
	v_mul_f64 v[18:19], v[8:9], v[4:5]
	v_fma_f64 v[8:9], v[8:9], v[2:3], -v[16:17]
	v_fmac_f64_e32 v[18:19], v[10:11], v[2:3]
	s_waitcnt lgkmcnt(0)
	v_add_f64 v[8:9], v[12:13], v[8:9]
	v_add_f64 v[10:11], v[14:15], v[18:19]
	global_store_dwordx4 v6, v[8:11], s[4:5]
	s_and_b64 exec, exec, vcc
	s_cbranch_execz .LBB184_14
; %bb.12:
	s_mov_b64 s[0:1], 0
.LBB184_13:                             ; =>This Inner Loop Header: Depth=1
	s_add_u32 s4, s4, 0x4000
	s_addc_u32 s5, s5, 0
	s_add_u32 s2, s2, 0x4000
	s_addc_u32 s3, s3, 0
	v_mov_b32_e32 v7, s3
	v_add_co_u32_e32 v8, vcc, s2, v6
	v_addc_co_u32_e32 v9, vcc, 0, v7, vcc
	v_mov_b32_e32 v1, s5
	global_load_dwordx4 v[8:11], v[8:9], off
	v_add_co_u32_e32 v16, vcc, s4, v6
	v_addc_co_u32_e32 v17, vcc, 0, v1, vcc
	global_load_dwordx4 v[12:15], v[16:17], off
	v_add_u32_e32 v0, 0x400, v0
	v_cmp_le_i32_e32 vcc, s6, v0
	s_or_b64 s[0:1], vcc, s[0:1]
	s_waitcnt vmcnt(1)
	v_mul_f64 v[18:19], v[10:11], v[4:5]
	v_mul_f64 v[20:21], v[8:9], v[4:5]
	v_fma_f64 v[8:9], v[8:9], v[2:3], -v[18:19]
	v_fmac_f64_e32 v[20:21], v[10:11], v[2:3]
	s_waitcnt vmcnt(0)
	v_add_f64 v[8:9], v[12:13], v[8:9]
	v_add_f64 v[10:11], v[14:15], v[20:21]
	global_store_dwordx4 v[16:17], v[8:11], off
	s_andn2_b64 exec, exec, s[0:1]
	s_cbranch_execnz .LBB184_13
.LBB184_14:
	s_endpgm
	.section	.rodata,"a",@progbits
	.p2align	6, 0x0
	.amdhsa_kernel _ZN9rocsolver6v33100L20latrd_dot_scale_axpyILi1024E19rocblas_complex_numIdEiPS3_EEvT1_T2_llPT0_llS8_l
		.amdhsa_group_segment_fixed_size 33024
		.amdhsa_private_segment_fixed_size 0
		.amdhsa_kernarg_size 72
		.amdhsa_user_sgpr_count 6
		.amdhsa_user_sgpr_private_segment_buffer 1
		.amdhsa_user_sgpr_dispatch_ptr 0
		.amdhsa_user_sgpr_queue_ptr 0
		.amdhsa_user_sgpr_kernarg_segment_ptr 1
		.amdhsa_user_sgpr_dispatch_id 0
		.amdhsa_user_sgpr_flat_scratch_init 0
		.amdhsa_user_sgpr_kernarg_preload_length 0
		.amdhsa_user_sgpr_kernarg_preload_offset 0
		.amdhsa_user_sgpr_private_segment_size 0
		.amdhsa_uses_dynamic_stack 0
		.amdhsa_system_sgpr_private_segment_wavefront_offset 0
		.amdhsa_system_sgpr_workgroup_id_x 1
		.amdhsa_system_sgpr_workgroup_id_y 0
		.amdhsa_system_sgpr_workgroup_id_z 1
		.amdhsa_system_sgpr_workgroup_info 0
		.amdhsa_system_vgpr_workitem_id 0
		.amdhsa_next_free_vgpr 24
		.amdhsa_next_free_sgpr 25
		.amdhsa_accum_offset 24
		.amdhsa_reserve_vcc 1
		.amdhsa_reserve_flat_scratch 0
		.amdhsa_float_round_mode_32 0
		.amdhsa_float_round_mode_16_64 0
		.amdhsa_float_denorm_mode_32 3
		.amdhsa_float_denorm_mode_16_64 3
		.amdhsa_dx10_clamp 1
		.amdhsa_ieee_mode 1
		.amdhsa_fp16_overflow 0
		.amdhsa_tg_split 0
		.amdhsa_exception_fp_ieee_invalid_op 0
		.amdhsa_exception_fp_denorm_src 0
		.amdhsa_exception_fp_ieee_div_zero 0
		.amdhsa_exception_fp_ieee_overflow 0
		.amdhsa_exception_fp_ieee_underflow 0
		.amdhsa_exception_fp_ieee_inexact 0
		.amdhsa_exception_int_div_zero 0
	.end_amdhsa_kernel
	.section	.text._ZN9rocsolver6v33100L20latrd_dot_scale_axpyILi1024E19rocblas_complex_numIdEiPS3_EEvT1_T2_llPT0_llS8_l,"axG",@progbits,_ZN9rocsolver6v33100L20latrd_dot_scale_axpyILi1024E19rocblas_complex_numIdEiPS3_EEvT1_T2_llPT0_llS8_l,comdat
.Lfunc_end184:
	.size	_ZN9rocsolver6v33100L20latrd_dot_scale_axpyILi1024E19rocblas_complex_numIdEiPS3_EEvT1_T2_llPT0_llS8_l, .Lfunc_end184-_ZN9rocsolver6v33100L20latrd_dot_scale_axpyILi1024E19rocblas_complex_numIdEiPS3_EEvT1_T2_llPT0_llS8_l
                                        ; -- End function
	.section	.AMDGPU.csdata,"",@progbits
; Kernel info:
; codeLenInByte = 1816
; NumSgprs: 29
; NumVgprs: 24
; NumAgprs: 0
; TotalNumVgprs: 24
; ScratchSize: 0
; MemoryBound: 0
; FloatMode: 240
; IeeeMode: 1
; LDSByteSize: 33024 bytes/workgroup (compile time only)
; SGPRBlocks: 3
; VGPRBlocks: 2
; NumSGPRsForWavesPerEU: 29
; NumVGPRsForWavesPerEU: 24
; AccumOffset: 24
; Occupancy: 4
; WaveLimiterHint : 0
; COMPUTE_PGM_RSRC2:SCRATCH_EN: 0
; COMPUTE_PGM_RSRC2:USER_SGPR: 6
; COMPUTE_PGM_RSRC2:TRAP_HANDLER: 0
; COMPUTE_PGM_RSRC2:TGID_X_EN: 1
; COMPUTE_PGM_RSRC2:TGID_Y_EN: 0
; COMPUTE_PGM_RSRC2:TGID_Z_EN: 1
; COMPUTE_PGM_RSRC2:TIDIG_COMP_CNT: 0
; COMPUTE_PGM_RSRC3_GFX90A:ACCUM_OFFSET: 5
; COMPUTE_PGM_RSRC3_GFX90A:TG_SPLIT: 0
	.section	.text._ZN9rocsolver6v33100L26latrd_upper_updateA_kernelI19rocblas_complex_numIdEPS3_EEviiiT0_iilPT_iil,"axG",@progbits,_ZN9rocsolver6v33100L26latrd_upper_updateA_kernelI19rocblas_complex_numIdEPS3_EEviiiT0_iilPT_iil,comdat
	.globl	_ZN9rocsolver6v33100L26latrd_upper_updateA_kernelI19rocblas_complex_numIdEPS3_EEviiiT0_iilPT_iil ; -- Begin function _ZN9rocsolver6v33100L26latrd_upper_updateA_kernelI19rocblas_complex_numIdEPS3_EEviiiT0_iilPT_iil
	.p2align	8
	.type	_ZN9rocsolver6v33100L26latrd_upper_updateA_kernelI19rocblas_complex_numIdEPS3_EEviiiT0_iilPT_iil,@function
_ZN9rocsolver6v33100L26latrd_upper_updateA_kernelI19rocblas_complex_numIdEPS3_EEviiiT0_iilPT_iil: ; @_ZN9rocsolver6v33100L26latrd_upper_updateA_kernelI19rocblas_complex_numIdEPS3_EEviiiT0_iilPT_iil
; %bb.0:
	s_load_dword s0, s[4:5], 0x4c
	s_load_dwordx4 s[20:23], s[4:5], 0x0
	s_load_dwordx2 s[28:29], s[4:5], 0x40
	s_mov_b32 s33, 0
	s_waitcnt lgkmcnt(0)
	s_abs_i32 s1, s22
	s_and_b32 s30, s0, 0xffff
	v_cvt_f32_u32_e32 v1, s30
	s_sub_i32 s2, 0, s30
	s_ashr_i32 s23, s22, 31
	v_rcp_iflag_f32_e32 v1, v1
	v_mul_f32_e32 v1, 0x4f7ffffe, v1
	v_cvt_u32_f32_e32 v1, v1
	v_readfirstlane_b32 s3, v1
	s_mul_i32 s2, s2, s3
	s_mul_hi_u32 s2, s3, s2
	s_add_i32 s3, s3, s2
	s_mul_hi_u32 s2, s1, s3
	s_mul_i32 s3, s2, s30
	s_sub_i32 s1, s1, s3
	s_add_i32 s9, s2, 1
	s_sub_i32 s3, s1, s30
	s_cmp_ge_u32 s1, s30
	s_cselect_b32 s2, s9, s2
	s_cselect_b32 s1, s3, s1
	s_add_i32 s3, s2, 1
	s_cmp_ge_u32 s1, s30
	s_cselect_b32 s1, s3, s2
	s_abs_i32 s2, s28
	v_cvt_f32_u32_e32 v1, s2
	s_sub_i32 s3, 0, s2
	s_xor_b32 s1, s1, s23
	s_sub_i32 s1, s1, s23
	v_rcp_iflag_f32_e32 v1, v1
	s_xor_b32 s9, s1, s28
	s_abs_i32 s1, s1
	s_ashr_i32 s9, s9, 31
	v_mul_f32_e32 v1, 0x4f7ffffe, v1
	v_cvt_u32_f32_e32 v1, v1
	v_readfirstlane_b32 s10, v1
	s_mul_i32 s3, s3, s10
	s_mul_hi_u32 s3, s10, s3
	s_add_i32 s10, s10, s3
	s_mul_hi_u32 s3, s1, s10
	s_mul_i32 s10, s3, s2
	s_sub_i32 s1, s1, s10
	s_add_i32 s11, s3, 1
	s_sub_i32 s10, s1, s2
	s_cmp_ge_u32 s1, s2
	s_cselect_b32 s3, s11, s3
	s_cselect_b32 s1, s10, s1
	s_add_i32 s10, s3, 1
	s_cmp_ge_u32 s1, s2
	s_cselect_b32 s1, s10, s3
	s_xor_b32 s1, s1, s9
	s_sub_i32 s31, s1, s9
	s_cmp_lt_i32 s31, 0
	s_cbranch_scc1 .LBB185_20
; %bb.1:
	s_load_dwordx8 s[12:19], s[4:5], 0x10
	s_load_dwordx4 s[24:27], s[4:5], 0x30
	s_ashr_i32 s4, s8, 31
	s_lshr_b32 s34, s0, 16
	v_and_b32_e32 v18, 0x3ff, v0
	s_waitcnt lgkmcnt(0)
	s_mul_i32 s2, s8, s17
	s_mul_hi_u32 s3, s8, s16
	s_add_i32 s2, s3, s2
	s_mul_i32 s3, s4, s16
	s_add_i32 s3, s2, s3
	s_mul_i32 s2, s8, s16
	s_ashr_i32 s1, s14, 31
	s_lshl_b64 s[2:3], s[2:3], 4
	s_mov_b32 s0, s14
	s_add_u32 s2, s12, s2
	s_addc_u32 s3, s13, s3
	s_lshl_b64 s[0:1], s[0:1], 4
	s_add_u32 s5, s2, s0
	s_addc_u32 s9, s3, s1
	s_mul_i32 s2, s8, s27
	s_mul_hi_u32 s3, s8, s26
	s_add_i32 s2, s3, s2
	s_mul_i32 s4, s4, s26
	s_add_i32 s3, s2, s4
	s_mul_i32 s2, s8, s26
	s_ashr_i32 s1, s24, 31
	s_lshl_b64 s[2:3], s[2:3], 4
	s_mov_b32 s0, s24
	s_add_u32 s2, s18, s2
	s_addc_u32 s3, s19, s3
	s_lshl_b64 s[0:1], s[0:1], 4
	s_add_u32 s2, s2, s0
	s_addc_u32 s3, s3, s1
	s_not_b32 s18, s22
	s_mul_hi_i32 s1, s15, s22
	s_mul_i32 s0, s15, s22
	s_add_i32 s18, s18, s20
	s_add_i32 s4, s22, 1
	s_lshl_b64 s[0:1], s[0:1], 4
	v_bfe_u32 v19, v0, 10, 10
	s_add_u32 s19, s5, s0
	v_cvt_f32_u32_e32 v0, s34
	s_addc_u32 s24, s9, s1
	s_mul_hi_i32 s1, s15, s4
	s_mul_i32 s0, s15, s4
	s_lshl_b64 s[0:1], s[0:1], 4
	s_add_u32 s26, s5, s0
	s_addc_u32 s27, s9, s1
	s_sub_i32 s0, s21, s20
	v_rcp_iflag_f32_e32 v0, v0
	s_add_i32 s4, s4, s0
	s_mul_hi_i32 s1, s25, s4
	s_mul_i32 s0, s25, s4
	s_lshl_b64 s[0:1], s[0:1], 4
	s_add_u32 s20, s2, s0
	v_mul_f32_e32 v0, 0x4f7ffffe, v0
	s_addc_u32 s21, s3, s1
	s_lshl_b64 s[0:1], s[22:23], 4
	v_cvt_u32_f32_e32 v0, v0
	s_add_u32 s23, s20, s0
	s_addc_u32 s35, s21, s1
	s_add_u32 s36, s26, s0
	s_addc_u32 s37, s27, s1
	s_sub_i32 s2, 0, s34
	v_readfirstlane_b32 s3, v0
	s_mul_i32 s2, s2, s3
	s_add_i32 s0, s18, -1
	s_mul_hi_u32 s2, s3, s2
	s_ashr_i32 s1, s0, 31
	s_abs_i32 s0, s0
	s_add_i32 s3, s3, s2
	s_mul_hi_u32 s2, s0, s3
	s_mul_i32 s3, s2, s34
	s_sub_i32 s0, s0, s3
	s_add_i32 s3, s2, 1
	s_sub_i32 s4, s0, s34
	s_cmp_ge_u32 s0, s34
	s_cselect_b32 s2, s3, s2
	s_cselect_b32 s0, s4, s0
	s_add_i32 s3, s2, 1
	s_cmp_ge_u32 s0, s34
	s_cselect_b32 s0, s3, s2
	s_abs_i32 s2, s29
	v_cvt_f32_u32_e32 v0, s2
	s_sub_i32 s3, 0, s2
	s_xor_b32 s0, s0, s1
	s_sub_i32 s0, s0, s1
	v_rcp_iflag_f32_e32 v0, v0
	s_xor_b32 s1, s0, s29
	s_abs_i32 s0, s0
	s_ashr_i32 s1, s1, 31
	v_mul_f32_e32 v0, 0x4f7ffffe, v0
	v_cvt_u32_f32_e32 v0, v0
	s_mul_i32 s7, s7, s34
	v_add_u32_e32 v20, s7, v19
	s_mul_i32 s38, s29, s34
	v_readfirstlane_b32 s4, v0
	s_mul_i32 s3, s3, s4
	s_mul_hi_u32 s3, s4, s3
	s_add_i32 s4, s4, s3
	s_mul_hi_u32 s3, s0, s4
	s_mul_i32 s4, s3, s2
	s_sub_i32 s0, s0, s4
	s_add_i32 s4, s3, 1
	s_sub_i32 s5, s0, s2
	s_cmp_ge_u32 s0, s2
	s_cselect_b32 s3, s4, s3
	s_cselect_b32 s0, s5, s0
	s_add_i32 s4, s3, 1
	s_cmp_ge_u32 s0, s2
	s_cselect_b32 s0, s4, s3
	s_xor_b32 s0, s0, s1
	s_sub_i32 s7, s0, s1
	s_cmp_gt_i32 s7, -1
	v_mul_u32_u24_e32 v0, s30, v19
	v_lshl_add_u32 v21, v18, 4, 0
	s_mul_i32 s4, s6, s30
	v_cmp_ne_u32_e64 s[0:1], 0, v20
	v_lshl_add_u32 v22, v0, 4, v21
	v_cmp_gt_u16_e64 s[12:13], s34, 1
	v_cmp_ne_u32_e64 s[2:3], 0, v19
	s_cselect_b64 s[16:17], -1, 0
	s_add_i32 s7, s7, 1
	v_add_u32_e32 v23, s4, v18
	s_mul_i32 s29, s28, s30
	v_mul_lo_u32 v24, s15, v20
	s_mul_i32 s39, s38, s15
	v_mul_lo_u32 v25, s25, v20
	s_mul_i32 s25, s38, s25
	s_branch .LBB185_3
.LBB185_2:                              ;   in Loop: Header=BB185_3 Depth=1
	s_or_b64 exec, exec, s[4:5]
	s_add_i32 s4, s33, 1
	v_add_u32_e32 v23, s29, v23
	s_cmp_eq_u32 s33, s31
	s_mov_b32 s33, s4
	s_cbranch_scc1 .LBB185_20
.LBB185_3:                              ; =>This Loop Header: Depth=1
                                        ;     Child Loop BB185_12 Depth 2
                                        ;     Child Loop BB185_9 Depth 2
	s_mul_i32 s4, s33, s28
	s_add_i32 s4, s4, s6
	s_mul_i32 s4, s4, s30
	v_add_u32_e32 v12, s4, v18
	v_cmp_lt_i32_e64 s[4:5], s22, v12
	s_or_b64 s[8:9], s[0:1], s[4:5]
	v_pk_mov_b32 v[0:1], 0, 0
	s_xor_b64 s[10:11], s[8:9], -1
	v_ashrrev_i32_e32 v13, 31, v12
	v_pk_mov_b32 v[2:3], v[0:1], v[0:1] op_sel:[0,1]
	s_and_saveexec_b64 s[8:9], s[10:11]
	s_cbranch_execz .LBB185_5
; %bb.4:                                ;   in Loop: Header=BB185_3 Depth=1
	v_lshlrev_b64 v[0:1], 4, v[12:13]
	v_mov_b32_e32 v2, s24
	v_add_co_u32_e32 v0, vcc, s19, v0
	v_addc_co_u32_e32 v1, vcc, v2, v1, vcc
	global_load_dwordx4 v[0:3], v[0:1], off
.LBB185_5:                              ;   in Loop: Header=BB185_3 Depth=1
	s_or_b64 exec, exec, s[8:9]
	s_andn2_b64 vcc, exec, s[16:17]
	v_mov_b32_e32 v26, v20
	v_mov_b32_e32 v14, v25
	;; [unrolled: 1-line block ×3, first 2 shown]
	s_mov_b32 s40, s7
	s_cbranch_vccz .LBB185_12
.LBB185_6:                              ;   in Loop: Header=BB185_3 Depth=1
	s_andn2_b64 vcc, exec, s[12:13]
	s_mov_b32 s10, s34
	s_waitcnt vmcnt(0)
	ds_write2_b64 v22, v[0:1], v[2:3] offset1:1
	s_waitcnt lgkmcnt(0)
	s_barrier
	s_cbranch_vccnz .LBB185_18
; %bb.7:                                ;   in Loop: Header=BB185_3 Depth=1
	s_lshr_b32 s11, s10, 1
	v_cmp_gt_u32_e32 vcc, s11, v19
	s_and_saveexec_b64 s[8:9], vcc
	s_cbranch_execz .LBB185_9
.LBB185_8:                              ;   in Loop: Header=BB185_3 Depth=1
	v_add_u32_e32 v4, s11, v19
	v_mul_u32_u24_e32 v4, s30, v4
	v_lshl_add_u32 v4, v4, 4, v21
	ds_read2_b64 v[4:7], v4 offset1:1
	s_waitcnt lgkmcnt(0)
	v_add_f64 v[0:1], v[0:1], v[4:5]
	v_add_f64 v[2:3], v[2:3], v[6:7]
	ds_write2_b64 v22, v[0:1], v[2:3] offset1:1
.LBB185_9:                              ;   Parent Loop BB185_3 Depth=1
                                        ; =>  This Inner Loop Header: Depth=2
	s_or_b64 exec, exec, s[8:9]
	s_cmp_lt_u32 s10, 4
	s_waitcnt lgkmcnt(0)
	s_barrier
	s_cbranch_scc1 .LBB185_18
; %bb.10:                               ;   in Loop: Header=BB185_9 Depth=2
	s_mov_b32 s10, s11
	s_lshr_b32 s11, s10, 1
	v_cmp_gt_u32_e32 vcc, s11, v19
	s_and_saveexec_b64 s[8:9], vcc
	s_cbranch_execnz .LBB185_8
	s_branch .LBB185_9
.LBB185_11:                             ;   in Loop: Header=BB185_12 Depth=2
	s_or_b64 exec, exec, s[8:9]
	s_add_i32 s40, s40, -1
	v_add_u32_e32 v16, s39, v16
	v_add_u32_e32 v14, s25, v14
	s_cmp_eq_u32 s40, 0
	v_add_u32_e32 v26, s38, v26
	s_cbranch_scc1 .LBB185_6
.LBB185_12:                             ;   Parent Loop BB185_3 Depth=1
                                        ; =>  This Inner Loop Header: Depth=2
	v_pk_mov_b32 v[6:7], 0, 0
	v_cmp_le_i32_e32 vcc, s18, v26
	v_cmp_gt_i32_e64 s[8:9], s18, v26
	v_pk_mov_b32 v[8:9], v[6:7], v[6:7] op_sel:[0,1]
	v_pk_mov_b32 v[10:11], v[6:7], v[6:7] op_sel:[0,1]
	s_and_saveexec_b64 s[14:15], s[8:9]
	s_cbranch_execz .LBB185_14
; %bb.13:                               ;   in Loop: Header=BB185_12 Depth=2
	v_ashrrev_i32_e32 v15, 31, v14
	v_lshlrev_b64 v[4:5], 4, v[14:15]
	v_mov_b32_e32 v8, s35
	v_add_co_u32_e64 v4, s[10:11], s23, v4
	v_addc_co_u32_e64 v5, s[10:11], v8, v5, s[10:11]
	global_load_dwordx4 v[8:11], v[4:5], off
	s_waitcnt vmcnt(0)
	v_xor_b32_e32 v11, 0x80000000, v11
.LBB185_14:                             ;   in Loop: Header=BB185_12 Depth=2
	s_or_b64 exec, exec, s[14:15]
	v_pk_mov_b32 v[4:5], v[6:7], v[6:7] op_sel:[0,1]
	s_and_saveexec_b64 s[10:11], s[8:9]
	s_cbranch_execz .LBB185_16
; %bb.15:                               ;   in Loop: Header=BB185_12 Depth=2
	v_ashrrev_i32_e32 v17, 31, v16
	v_lshlrev_b64 v[4:5], 4, v[16:17]
	v_mov_b32_e32 v6, s37
	v_add_co_u32_e64 v4, s[8:9], s36, v4
	v_addc_co_u32_e64 v5, s[8:9], v6, v5, s[8:9]
	global_load_dwordx4 v[4:7], v[4:5], off
	s_waitcnt vmcnt(0)
	v_xor_b32_e32 v7, 0x80000000, v7
.LBB185_16:                             ;   in Loop: Header=BB185_12 Depth=2
	s_or_b64 exec, exec, s[10:11]
	s_or_b64 s[8:9], s[4:5], vcc
	s_xor_b64 s[10:11], s[8:9], -1
	s_and_saveexec_b64 s[8:9], s[10:11]
	s_cbranch_execz .LBB185_11
; %bb.17:                               ;   in Loop: Header=BB185_12 Depth=2
	v_add_u32_e32 v28, v23, v16
	v_ashrrev_i32_e32 v29, 31, v28
	v_lshlrev_b64 v[28:29], 4, v[28:29]
	v_add_u32_e32 v32, v23, v14
	v_mov_b32_e32 v15, s27
	v_add_co_u32_e32 v28, vcc, s26, v28
	v_ashrrev_i32_e32 v33, 31, v32
	v_addc_co_u32_e32 v29, vcc, v15, v29, vcc
	v_lshlrev_b64 v[32:33], 4, v[32:33]
	v_mov_b32_e32 v15, s21
	v_add_co_u32_e32 v32, vcc, s20, v32
	v_addc_co_u32_e32 v33, vcc, v15, v33, vcc
	global_load_dwordx4 v[28:31], v[28:29], off
	s_waitcnt vmcnt(0)
	v_mul_f64 v[36:37], v[10:11], v[30:31]
	global_load_dwordx4 v[32:35], v[32:33], off
	v_mul_f64 v[30:31], v[8:9], v[30:31]
	v_fma_f64 v[8:9], v[8:9], v[28:29], -v[36:37]
	v_fmac_f64_e32 v[30:31], v[10:11], v[28:29]
	s_waitcnt vmcnt(0)
	v_mul_f64 v[38:39], v[6:7], v[34:35]
	v_mul_f64 v[34:35], v[4:5], v[34:35]
	v_fma_f64 v[4:5], v[4:5], v[32:33], -v[38:39]
	v_fmac_f64_e32 v[34:35], v[6:7], v[32:33]
	v_add_f64 v[4:5], v[8:9], v[4:5]
	v_add_f64 v[6:7], v[30:31], v[34:35]
	v_add_f64 v[0:1], v[0:1], -v[4:5]
	v_add_f64 v[2:3], v[2:3], -v[6:7]
	s_branch .LBB185_11
.LBB185_18:                             ;   in Loop: Header=BB185_3 Depth=1
	s_or_b64 s[4:5], s[2:3], s[4:5]
	s_xor_b64 s[8:9], s[4:5], -1
	s_and_saveexec_b64 s[4:5], s[8:9]
	s_cbranch_execz .LBB185_2
; %bb.19:                               ;   in Loop: Header=BB185_3 Depth=1
	v_lshlrev_b64 v[4:5], 4, v[12:13]
	v_mov_b32_e32 v6, s24
	v_add_co_u32_e32 v4, vcc, s19, v4
	v_addc_co_u32_e32 v5, vcc, v6, v5, vcc
	global_store_dwordx4 v[4:5], v[0:3], off
	s_branch .LBB185_2
.LBB185_20:
	s_endpgm
	.section	.rodata,"a",@progbits
	.p2align	6, 0x0
	.amdhsa_kernel _ZN9rocsolver6v33100L26latrd_upper_updateA_kernelI19rocblas_complex_numIdEPS3_EEviiiT0_iilPT_iil
		.amdhsa_group_segment_fixed_size 0
		.amdhsa_private_segment_fixed_size 0
		.amdhsa_kernarg_size 320
		.amdhsa_user_sgpr_count 6
		.amdhsa_user_sgpr_private_segment_buffer 1
		.amdhsa_user_sgpr_dispatch_ptr 0
		.amdhsa_user_sgpr_queue_ptr 0
		.amdhsa_user_sgpr_kernarg_segment_ptr 1
		.amdhsa_user_sgpr_dispatch_id 0
		.amdhsa_user_sgpr_flat_scratch_init 0
		.amdhsa_user_sgpr_kernarg_preload_length 0
		.amdhsa_user_sgpr_kernarg_preload_offset 0
		.amdhsa_user_sgpr_private_segment_size 0
		.amdhsa_uses_dynamic_stack 0
		.amdhsa_system_sgpr_private_segment_wavefront_offset 0
		.amdhsa_system_sgpr_workgroup_id_x 1
		.amdhsa_system_sgpr_workgroup_id_y 1
		.amdhsa_system_sgpr_workgroup_id_z 1
		.amdhsa_system_sgpr_workgroup_info 0
		.amdhsa_system_vgpr_workitem_id 1
		.amdhsa_next_free_vgpr 40
		.amdhsa_next_free_sgpr 41
		.amdhsa_accum_offset 40
		.amdhsa_reserve_vcc 1
		.amdhsa_reserve_flat_scratch 0
		.amdhsa_float_round_mode_32 0
		.amdhsa_float_round_mode_16_64 0
		.amdhsa_float_denorm_mode_32 3
		.amdhsa_float_denorm_mode_16_64 3
		.amdhsa_dx10_clamp 1
		.amdhsa_ieee_mode 1
		.amdhsa_fp16_overflow 0
		.amdhsa_tg_split 0
		.amdhsa_exception_fp_ieee_invalid_op 0
		.amdhsa_exception_fp_denorm_src 0
		.amdhsa_exception_fp_ieee_div_zero 0
		.amdhsa_exception_fp_ieee_overflow 0
		.amdhsa_exception_fp_ieee_underflow 0
		.amdhsa_exception_fp_ieee_inexact 0
		.amdhsa_exception_int_div_zero 0
	.end_amdhsa_kernel
	.section	.text._ZN9rocsolver6v33100L26latrd_upper_updateA_kernelI19rocblas_complex_numIdEPS3_EEviiiT0_iilPT_iil,"axG",@progbits,_ZN9rocsolver6v33100L26latrd_upper_updateA_kernelI19rocblas_complex_numIdEPS3_EEviiiT0_iilPT_iil,comdat
.Lfunc_end185:
	.size	_ZN9rocsolver6v33100L26latrd_upper_updateA_kernelI19rocblas_complex_numIdEPS3_EEviiiT0_iilPT_iil, .Lfunc_end185-_ZN9rocsolver6v33100L26latrd_upper_updateA_kernelI19rocblas_complex_numIdEPS3_EEviiiT0_iilPT_iil
                                        ; -- End function
	.section	.AMDGPU.csdata,"",@progbits
; Kernel info:
; codeLenInByte = 1556
; NumSgprs: 45
; NumVgprs: 40
; NumAgprs: 0
; TotalNumVgprs: 40
; ScratchSize: 0
; MemoryBound: 1
; FloatMode: 240
; IeeeMode: 1
; LDSByteSize: 0 bytes/workgroup (compile time only)
; SGPRBlocks: 5
; VGPRBlocks: 4
; NumSGPRsForWavesPerEU: 45
; NumVGPRsForWavesPerEU: 40
; AccumOffset: 40
; Occupancy: 8
; WaveLimiterHint : 0
; COMPUTE_PGM_RSRC2:SCRATCH_EN: 0
; COMPUTE_PGM_RSRC2:USER_SGPR: 6
; COMPUTE_PGM_RSRC2:TRAP_HANDLER: 0
; COMPUTE_PGM_RSRC2:TGID_X_EN: 1
; COMPUTE_PGM_RSRC2:TGID_Y_EN: 1
; COMPUTE_PGM_RSRC2:TGID_Z_EN: 1
; COMPUTE_PGM_RSRC2:TIDIG_COMP_CNT: 1
; COMPUTE_PGM_RSRC3_GFX90A:ACCUM_OFFSET: 9
; COMPUTE_PGM_RSRC3_GFX90A:TG_SPLIT: 0
	.section	.text._ZN9rocsolver6v33100L33latrd_upper_computeW_gemvt_kernelILi256E19rocblas_complex_numIdEPS3_EEviiiT1_iilPT0_iilS7_iilS7_l,"axG",@progbits,_ZN9rocsolver6v33100L33latrd_upper_computeW_gemvt_kernelILi256E19rocblas_complex_numIdEPS3_EEviiiT1_iilPT0_iilS7_iilS7_l,comdat
	.globl	_ZN9rocsolver6v33100L33latrd_upper_computeW_gemvt_kernelILi256E19rocblas_complex_numIdEPS3_EEviiiT1_iilPT0_iilS7_iilS7_l ; -- Begin function _ZN9rocsolver6v33100L33latrd_upper_computeW_gemvt_kernelILi256E19rocblas_complex_numIdEPS3_EEviiiT1_iilPT0_iilS7_iilS7_l
	.p2align	8
	.type	_ZN9rocsolver6v33100L33latrd_upper_computeW_gemvt_kernelILi256E19rocblas_complex_numIdEPS3_EEviiiT1_iilPT0_iilS7_iilS7_l,@function
_ZN9rocsolver6v33100L33latrd_upper_computeW_gemvt_kernelILi256E19rocblas_complex_numIdEPS3_EEviiiT1_iilPT0_iilS7_iilS7_l: ; @_ZN9rocsolver6v33100L33latrd_upper_computeW_gemvt_kernelILi256E19rocblas_complex_numIdEPS3_EEviiiT1_iilPT0_iilS7_iilS7_l
; %bb.0:
	s_load_dwordx4 s[16:19], s[4:5], 0x0
	s_load_dwordx4 s[0:3], s[4:5], 0x38
	s_waitcnt lgkmcnt(0)
	s_ashr_i32 s19, s7, 31
	v_pk_mov_b32 v[4:5], 0, 0
	v_pk_mov_b32 v[2:3], v[4:5], v[4:5] op_sel:[0,1]
	s_cmp_lt_i32 s6, s16
	s_cselect_b64 s[22:23], -1, 0
	s_and_b64 s[8:9], s[22:23], exec
	s_cselect_b32 s8, 0, s16
	s_sub_i32 s20, s6, s8
	s_ashr_i32 s21, s20, 31
	s_mov_b64 s[8:9], -1
	s_cmp_eq_u32 s20, s18
	s_cbranch_scc1 .LBB186_11
; %bb.1:
	s_load_dwordx8 s[8:15], s[4:5], 0x10
	s_load_dwordx2 s[28:29], s[4:5], 0x30
	s_mul_i32 s1, s7, s1
	v_cmp_gt_i32_e32 vcc, s18, v0
	v_cndmask_b32_e32 v1, 0, v0, vcc
	s_waitcnt lgkmcnt(0)
	s_ashr_i32 s27, s10, 31
	s_mov_b32 s26, s10
	s_mul_i32 s6, s7, s13
	s_mul_hi_u32 s10, s7, s12
	s_add_i32 s6, s10, s6
	s_mul_i32 s10, s19, s12
	s_add_i32 s13, s6, s10
	s_mul_i32 s12, s7, s12
	s_lshl_b64 s[24:25], s[12:13], 4
	s_add_u32 s6, s8, s24
	s_addc_u32 s10, s9, s25
	s_lshl_b64 s[26:27], s[26:27], 4
	s_add_u32 s6, s6, s26
	s_addc_u32 s13, s10, s27
	s_mul_hi_u32 s10, s7, s0
	s_add_i32 s1, s10, s1
	s_mul_i32 s10, s19, s0
	s_add_i32 s1, s1, s10
	s_mul_i32 s0, s7, s0
	s_ashr_i32 s31, s28, 31
	s_lshl_b64 s[0:1], s[0:1], 4
	s_mov_b32 s30, s28
	s_add_u32 s10, s14, s0
	s_addc_u32 s12, s15, s1
	s_lshl_b64 s[0:1], s[30:31], 4
	s_add_u32 s10, s10, s0
	s_addc_u32 s12, s12, s1
	s_sub_i32 s0, s17, s16
	s_add_i32 s0, s0, s18
	s_add_i32 s0, s0, 1
	s_mul_hi_i32 s1, s29, s0
	s_mul_i32 s0, s29, s0
	s_lshl_b64 s[0:1], s[0:1], 4
	s_add_u32 s10, s10, s0
	s_addc_u32 s12, s12, s1
	s_and_b64 s[14:15], s[22:23], exec
	s_cselect_b32 s14, s13, s12
	s_cselect_b32 s15, s6, s10
	;; [unrolled: 1-line block ×3, first 2 shown]
	s_ashr_i32 s12, s18, 31
	s_lshr_b32 s12, s12, 24
	s_add_i32 s12, s18, s12
	s_and_b32 s12, s12, 0xffffff00
	v_pk_mov_b32 v[2:3], 0, 0
	s_mul_hi_i32 s1, s11, s18
	s_mul_i32 s0, s11, s18
	s_mul_hi_i32 s11, s10, s20
	s_mul_i32 s10, s10, s20
	s_cmpk_lt_i32 s18, 0x100
	v_lshlrev_b32_e32 v1, 4, v1
	v_pk_mov_b32 v[4:5], v[2:3], v[2:3] op_sel:[0,1]
	s_cbranch_scc1 .LBB186_4
; %bb.2:
	s_lshl_b64 s[28:29], s[10:11], 4
	s_add_u32 s17, s15, s28
	s_addc_u32 s28, s14, s29
	v_mov_b32_e32 v2, s28
	s_lshl_b64 s[28:29], s[0:1], 4
	v_add_co_u32_e32 v3, vcc, s17, v1
	s_add_u32 s17, s24, s28
	s_addc_u32 s24, s25, s29
	s_add_u32 s17, s17, s26
	v_addc_co_u32_e32 v2, vcc, 0, v2, vcc
	s_addc_u32 s24, s24, s27
	v_add_co_u32_e32 v6, vcc, 8, v3
	s_add_u32 s8, s8, s17
	v_addc_co_u32_e32 v7, vcc, 0, v2, vcc
	v_lshlrev_b32_e32 v2, 4, v0
	s_addc_u32 s9, s9, s24
	v_mov_b32_e32 v3, s9
	v_add_co_u32_e32 v2, vcc, s8, v2
	v_addc_co_u32_e32 v3, vcc, 0, v3, vcc
	v_add_co_u32_e32 v8, vcc, 8, v2
	v_addc_co_u32_e32 v9, vcc, 0, v3, vcc
	v_pk_mov_b32 v[2:3], 0, 0
	s_mov_b32 s16, 0
	v_pk_mov_b32 v[4:5], v[2:3], v[2:3] op_sel:[0,1]
.LBB186_3:                              ; =>This Inner Loop Header: Depth=1
	global_load_dwordx4 v[10:13], v[6:7], off offset:-8
	global_load_dwordx4 v[14:17], v[8:9], off offset:-8
	v_add_co_u32_e32 v6, vcc, 0x1000, v6
	v_addc_co_u32_e32 v7, vcc, 0, v7, vcc
	s_addk_i32 s16, 0x100
	v_add_co_u32_e32 v8, vcc, 0x1000, v8
	s_cmp_ge_i32 s16, s12
	v_addc_co_u32_e32 v9, vcc, 0, v9, vcc
	s_waitcnt vmcnt(0)
	v_mul_f64 v[18:19], v[12:13], v[16:17]
	v_mul_f64 v[12:13], v[12:13], v[14:15]
	v_fmac_f64_e32 v[18:19], v[10:11], v[14:15]
	v_fma_f64 v[10:11], v[10:11], v[16:17], -v[12:13]
	v_add_f64 v[4:5], v[4:5], v[18:19]
	v_add_f64 v[2:3], v[2:3], v[10:11]
	s_cbranch_scc0 .LBB186_3
.LBB186_4:
	v_add_u32_e32 v6, s12, v0
	v_cmp_gt_i32_e32 vcc, s18, v6
	s_and_saveexec_b64 s[8:9], vcc
	s_cbranch_execz .LBB186_6
; %bb.5:
	s_lshl_b64 s[0:1], s[0:1], 4
	s_add_u32 s6, s6, s0
	s_addc_u32 s16, s13, s1
	s_ashr_i32 s13, s12, 31
	s_lshl_b64 s[0:1], s[10:11], 4
	s_lshl_b64 s[10:11], s[12:13], 4
	v_ashrrev_i32_e32 v7, 31, v6
	s_add_u32 s0, s10, s0
	v_lshlrev_b64 v[6:7], 4, v[6:7]
	s_addc_u32 s1, s11, s1
	v_mov_b32_e32 v8, s16
	v_add_co_u32_e32 v14, vcc, s6, v6
	s_add_u32 s0, s0, s15
	v_addc_co_u32_e32 v15, vcc, v8, v7, vcc
	s_addc_u32 s1, s1, s14
	global_load_dwordx4 v[6:9], v[14:15], off
	global_load_dwordx4 v[10:13], v1, s[0:1]
	s_waitcnt vmcnt(0)
	v_mul_f64 v[14:15], v[12:13], v[8:9]
	v_mul_f64 v[12:13], v[12:13], v[6:7]
	v_fmac_f64_e32 v[14:15], v[10:11], v[6:7]
	v_fma_f64 v[6:7], v[10:11], v[8:9], -v[12:13]
	v_add_f64 v[4:5], v[4:5], v[14:15]
	v_add_f64 v[2:3], v[2:3], v[6:7]
.LBB186_6:
	s_or_b64 exec, exec, s[8:9]
	v_mbcnt_lo_u32_b32 v1, -1, 0
	v_mbcnt_hi_u32_b32 v1, -1, v1
	v_and_b32_e32 v10, 63, v1
	v_cmp_ne_u32_e32 vcc, 63, v10
	v_addc_co_u32_e32 v6, vcc, 0, v1, vcc
	v_lshlrev_b32_e32 v9, 2, v6
	ds_bpermute_b32 v6, v9, v4
	ds_bpermute_b32 v7, v9, v5
	ds_bpermute_b32 v8, v9, v2
	ds_bpermute_b32 v9, v9, v3
	v_cmp_gt_u32_e32 vcc, 62, v10
	s_waitcnt lgkmcnt(2)
	v_add_f64 v[4:5], v[4:5], v[6:7]
	v_cndmask_b32_e64 v6, 0, 1, vcc
	v_lshlrev_b32_e32 v6, 1, v6
	s_waitcnt lgkmcnt(0)
	v_add_f64 v[2:3], v[2:3], v[8:9]
	v_add_lshl_u32 v9, v6, v1, 2
	ds_bpermute_b32 v6, v9, v4
	ds_bpermute_b32 v7, v9, v5
	ds_bpermute_b32 v8, v9, v2
	ds_bpermute_b32 v9, v9, v3
	v_cmp_gt_u32_e32 vcc, 60, v10
	s_waitcnt lgkmcnt(2)
	v_add_f64 v[4:5], v[4:5], v[6:7]
	v_cndmask_b32_e64 v6, 0, 1, vcc
	v_lshlrev_b32_e32 v6, 2, v6
	s_waitcnt lgkmcnt(0)
	v_add_f64 v[2:3], v[2:3], v[8:9]
	v_add_lshl_u32 v9, v6, v1, 2
	;; [unrolled: 12-line block ×5, first 2 shown]
	ds_bpermute_b32 v6, v1, v4
	ds_bpermute_b32 v7, v1, v5
	;; [unrolled: 1-line block ×4, first 2 shown]
	v_and_b32_e32 v1, 63, v0
	v_cmp_eq_u32_e32 vcc, 0, v1
	s_waitcnt lgkmcnt(2)
	v_add_f64 v[6:7], v[4:5], v[6:7]
	s_waitcnt lgkmcnt(0)
	v_add_f64 v[8:9], v[2:3], v[8:9]
	s_and_saveexec_b64 s[0:1], vcc
	s_cbranch_execz .LBB186_8
; %bb.7:
	v_lshrrev_b32_e32 v1, 2, v0
	ds_write_b128 v1, v[6:9]
.LBB186_8:
	s_or_b64 exec, exec, s[0:1]
	v_pk_mov_b32 v[4:5], 0, 0
	v_cmp_eq_u32_e32 vcc, 0, v0
	s_mov_b64 s[8:9], 0
	v_pk_mov_b32 v[2:3], v[4:5], v[4:5] op_sel:[0,1]
	s_waitcnt lgkmcnt(0)
	s_barrier
	s_and_saveexec_b64 s[0:1], vcc
	s_cbranch_execz .LBB186_10
; %bb.9:
	v_mov_b32_e32 v1, 0
	ds_read_b128 v[2:5], v1 offset:16
	ds_read_b128 v[10:13], v1 offset:32
	;; [unrolled: 1-line block ×3, first 2 shown]
	s_mov_b64 s[8:9], exec
	s_waitcnt lgkmcnt(2)
	v_add_f64 v[2:3], v[6:7], v[2:3]
	v_add_f64 v[4:5], v[8:9], v[4:5]
	s_waitcnt lgkmcnt(1)
	v_add_f64 v[2:3], v[2:3], v[10:11]
	v_add_f64 v[4:5], v[4:5], v[12:13]
	;; [unrolled: 3-line block ×3, first 2 shown]
.LBB186_10:
	s_or_b64 exec, exec, s[0:1]
.LBB186_11:
	s_and_saveexec_b64 s[0:1], s[8:9]
	s_cbranch_execz .LBB186_14
; %bb.12:
	v_cmp_eq_u32_e32 vcc, 0, v0
	s_and_b64 exec, exec, vcc
	s_cbranch_execz .LBB186_14
; %bb.13:
	s_load_dword s0, s[4:5], 0x48
	s_load_dwordx4 s[8:11], s[4:5], 0x50
	s_load_dwordx2 s[12:13], s[4:5], 0x60
	v_mov_b32_e32 v0, 0
	s_waitcnt lgkmcnt(0)
	s_ashr_i32 s1, s0, 31
	s_mul_i32 s4, s7, s9
	s_mul_hi_u32 s5, s7, s8
	s_add_i32 s4, s5, s4
	s_mul_i32 s5, s19, s8
	s_add_i32 s5, s4, s5
	s_mul_i32 s4, s7, s8
	s_lshl_b64 s[4:5], s[4:5], 4
	s_add_u32 s2, s2, s4
	s_addc_u32 s3, s3, s5
	s_lshl_b64 s[0:1], s[0:1], 4
	s_add_u32 s2, s2, s0
	s_addc_u32 s3, s3, s1
	s_mul_i32 s0, s7, s13
	s_mul_hi_u32 s1, s7, s12
	s_add_i32 s0, s1, s0
	s_mul_i32 s1, s19, s12
	s_add_i32 s1, s0, s1
	s_mul_i32 s0, s7, s12
	s_lshl_b64 s[0:1], s[0:1], 4
	s_add_u32 s4, s10, s0
	s_addc_u32 s5, s11, s1
	s_and_b64 s[0:1], s[22:23], exec
	s_cselect_b32 s3, s3, s5
	s_cselect_b32 s2, s2, s4
	s_lshl_b64 s[0:1], s[20:21], 4
	s_add_u32 s0, s2, s0
	s_addc_u32 s1, s3, s1
	global_store_dwordx4 v0, v[2:5], s[0:1]
.LBB186_14:
	s_endpgm
	.section	.rodata,"a",@progbits
	.p2align	6, 0x0
	.amdhsa_kernel _ZN9rocsolver6v33100L33latrd_upper_computeW_gemvt_kernelILi256E19rocblas_complex_numIdEPS3_EEviiiT1_iilPT0_iilS7_iilS7_l
		.amdhsa_group_segment_fixed_size 4096
		.amdhsa_private_segment_fixed_size 0
		.amdhsa_kernarg_size 104
		.amdhsa_user_sgpr_count 6
		.amdhsa_user_sgpr_private_segment_buffer 1
		.amdhsa_user_sgpr_dispatch_ptr 0
		.amdhsa_user_sgpr_queue_ptr 0
		.amdhsa_user_sgpr_kernarg_segment_ptr 1
		.amdhsa_user_sgpr_dispatch_id 0
		.amdhsa_user_sgpr_flat_scratch_init 0
		.amdhsa_user_sgpr_kernarg_preload_length 0
		.amdhsa_user_sgpr_kernarg_preload_offset 0
		.amdhsa_user_sgpr_private_segment_size 0
		.amdhsa_uses_dynamic_stack 0
		.amdhsa_system_sgpr_private_segment_wavefront_offset 0
		.amdhsa_system_sgpr_workgroup_id_x 1
		.amdhsa_system_sgpr_workgroup_id_y 0
		.amdhsa_system_sgpr_workgroup_id_z 1
		.amdhsa_system_sgpr_workgroup_info 0
		.amdhsa_system_vgpr_workitem_id 0
		.amdhsa_next_free_vgpr 20
		.amdhsa_next_free_sgpr 32
		.amdhsa_accum_offset 20
		.amdhsa_reserve_vcc 1
		.amdhsa_reserve_flat_scratch 0
		.amdhsa_float_round_mode_32 0
		.amdhsa_float_round_mode_16_64 0
		.amdhsa_float_denorm_mode_32 3
		.amdhsa_float_denorm_mode_16_64 3
		.amdhsa_dx10_clamp 1
		.amdhsa_ieee_mode 1
		.amdhsa_fp16_overflow 0
		.amdhsa_tg_split 0
		.amdhsa_exception_fp_ieee_invalid_op 0
		.amdhsa_exception_fp_denorm_src 0
		.amdhsa_exception_fp_ieee_div_zero 0
		.amdhsa_exception_fp_ieee_overflow 0
		.amdhsa_exception_fp_ieee_underflow 0
		.amdhsa_exception_fp_ieee_inexact 0
		.amdhsa_exception_int_div_zero 0
	.end_amdhsa_kernel
	.section	.text._ZN9rocsolver6v33100L33latrd_upper_computeW_gemvt_kernelILi256E19rocblas_complex_numIdEPS3_EEviiiT1_iilPT0_iilS7_iilS7_l,"axG",@progbits,_ZN9rocsolver6v33100L33latrd_upper_computeW_gemvt_kernelILi256E19rocblas_complex_numIdEPS3_EEviiiT1_iilPT0_iilS7_iilS7_l,comdat
.Lfunc_end186:
	.size	_ZN9rocsolver6v33100L33latrd_upper_computeW_gemvt_kernelILi256E19rocblas_complex_numIdEPS3_EEviiiT1_iilPT0_iilS7_iilS7_l, .Lfunc_end186-_ZN9rocsolver6v33100L33latrd_upper_computeW_gemvt_kernelILi256E19rocblas_complex_numIdEPS3_EEviiiT1_iilPT0_iilS7_iilS7_l
                                        ; -- End function
	.section	.AMDGPU.csdata,"",@progbits
; Kernel info:
; codeLenInByte = 1512
; NumSgprs: 36
; NumVgprs: 20
; NumAgprs: 0
; TotalNumVgprs: 20
; ScratchSize: 0
; MemoryBound: 0
; FloatMode: 240
; IeeeMode: 1
; LDSByteSize: 4096 bytes/workgroup (compile time only)
; SGPRBlocks: 4
; VGPRBlocks: 2
; NumSGPRsForWavesPerEU: 36
; NumVGPRsForWavesPerEU: 20
; AccumOffset: 20
; Occupancy: 8
; WaveLimiterHint : 0
; COMPUTE_PGM_RSRC2:SCRATCH_EN: 0
; COMPUTE_PGM_RSRC2:USER_SGPR: 6
; COMPUTE_PGM_RSRC2:TRAP_HANDLER: 0
; COMPUTE_PGM_RSRC2:TGID_X_EN: 1
; COMPUTE_PGM_RSRC2:TGID_Y_EN: 0
; COMPUTE_PGM_RSRC2:TGID_Z_EN: 1
; COMPUTE_PGM_RSRC2:TIDIG_COMP_CNT: 0
; COMPUTE_PGM_RSRC3_GFX90A:ACCUM_OFFSET: 4
; COMPUTE_PGM_RSRC3_GFX90A:TG_SPLIT: 0
	.section	.text._ZN9rocsolver6v33100L26latrd_upper_updateW_kernelI19rocblas_complex_numIdEPS3_EEviiiT0_iilPT_iilS7_lS7_l,"axG",@progbits,_ZN9rocsolver6v33100L26latrd_upper_updateW_kernelI19rocblas_complex_numIdEPS3_EEviiiT0_iilPT_iilS7_lS7_l,comdat
	.globl	_ZN9rocsolver6v33100L26latrd_upper_updateW_kernelI19rocblas_complex_numIdEPS3_EEviiiT0_iilPT_iilS7_lS7_l ; -- Begin function _ZN9rocsolver6v33100L26latrd_upper_updateW_kernelI19rocblas_complex_numIdEPS3_EEviiiT0_iilPT_iilS7_lS7_l
	.p2align	8
	.type	_ZN9rocsolver6v33100L26latrd_upper_updateW_kernelI19rocblas_complex_numIdEPS3_EEviiiT0_iilPT_iilS7_lS7_l,@function
_ZN9rocsolver6v33100L26latrd_upper_updateW_kernelI19rocblas_complex_numIdEPS3_EEviiiT0_iilPT_iilS7_lS7_l: ; @_ZN9rocsolver6v33100L26latrd_upper_updateW_kernelI19rocblas_complex_numIdEPS3_EEviiiT0_iilPT_iilS7_lS7_l
; %bb.0:
	s_load_dword s0, s[4:5], 0x6c
	s_load_dwordx4 s[28:31], s[4:5], 0x0
	s_load_dwordx2 s[10:11], s[4:5], 0x60
	s_mov_b32 s37, 0
	s_waitcnt lgkmcnt(0)
	s_and_b32 s33, s0, 0xffff
	v_cvt_f32_u32_e32 v1, s33
	s_sub_i32 s3, 0, s33
	s_add_i32 s1, s30, -1
	s_ashr_i32 s2, s1, 31
	v_rcp_iflag_f32_e32 v1, v1
	s_abs_i32 s1, s1
	v_mul_f32_e32 v1, 0x4f7ffffe, v1
	v_cvt_u32_f32_e32 v1, v1
	v_readfirstlane_b32 s9, v1
	s_mul_i32 s3, s3, s9
	s_mul_hi_u32 s3, s9, s3
	s_add_i32 s9, s9, s3
	s_mul_hi_u32 s3, s1, s9
	s_mul_i32 s9, s3, s33
	s_sub_i32 s1, s1, s9
	s_add_i32 s12, s3, 1
	s_sub_i32 s9, s1, s33
	s_cmp_ge_u32 s1, s33
	s_cselect_b32 s3, s12, s3
	s_cselect_b32 s1, s9, s1
	s_add_i32 s9, s3, 1
	s_cmp_ge_u32 s1, s33
	s_cselect_b32 s1, s9, s3
	s_abs_i32 s3, s10
	v_cvt_f32_u32_e32 v1, s3
	s_sub_i32 s9, 0, s3
	s_xor_b32 s1, s1, s2
	s_sub_i32 s1, s1, s2
	v_rcp_iflag_f32_e32 v1, v1
	s_xor_b32 s2, s1, s10
	s_abs_i32 s1, s1
	s_ashr_i32 s2, s2, 31
	v_mul_f32_e32 v1, 0x4f7ffffe, v1
	v_cvt_u32_f32_e32 v1, v1
	v_readfirstlane_b32 s12, v1
	s_mul_i32 s9, s9, s12
	s_mul_hi_u32 s9, s12, s9
	s_add_i32 s12, s12, s9
	s_mul_hi_u32 s9, s1, s12
	s_mul_i32 s12, s9, s3
	s_sub_i32 s1, s1, s12
	s_add_i32 s13, s9, 1
	s_sub_i32 s12, s1, s3
	s_cmp_ge_u32 s1, s3
	s_cselect_b32 s9, s13, s9
	s_cselect_b32 s1, s12, s1
	s_add_i32 s12, s9, 1
	s_cmp_ge_u32 s1, s3
	s_cselect_b32 s1, s12, s9
	s_xor_b32 s1, s1, s2
	s_sub_i32 s36, s1, s2
	s_cmp_lt_i32 s36, 0
	s_cbranch_scc1 .LBB187_20
; %bb.1:
	s_load_dwordx8 s[12:19], s[4:5], 0x10
	s_load_dwordx2 s[34:35], s[4:5], 0x30
	s_load_dwordx8 s[20:27], s[4:5], 0x38
	s_load_dwordx2 s[2:3], s[4:5], 0x58
	s_ashr_i32 s9, s8, 31
	s_waitcnt lgkmcnt(0)
	s_mul_i32 s4, s8, s17
	s_mul_hi_u32 s5, s8, s16
	s_add_i32 s4, s5, s4
	s_mul_i32 s5, s9, s16
	s_add_i32 s5, s4, s5
	s_mul_i32 s4, s8, s16
	s_lshr_b32 s38, s0, 16
	s_ashr_i32 s1, s14, 31
	s_lshl_b64 s[4:5], s[4:5], 4
	s_mov_b32 s0, s14
	s_add_u32 s4, s12, s4
	s_addc_u32 s5, s13, s5
	s_lshl_b64 s[0:1], s[0:1], 4
	s_add_u32 s12, s4, s0
	s_addc_u32 s13, s5, s1
	s_mul_i32 s4, s8, s21
	s_mul_hi_u32 s5, s8, s20
	s_add_i32 s4, s5, s4
	s_mul_i32 s5, s9, s20
	s_add_i32 s5, s4, s5
	s_mul_i32 s4, s8, s20
	s_ashr_i32 s1, s34, 31
	s_lshl_b64 s[4:5], s[4:5], 4
	s_mov_b32 s0, s34
	s_add_u32 s4, s18, s4
	s_addc_u32 s5, s19, s5
	s_lshl_b64 s[0:1], s[0:1], 4
	s_add_u32 s4, s4, s0
	s_addc_u32 s5, s5, s1
	s_mul_i32 s0, s8, s25
	s_mul_hi_u32 s1, s8, s24
	s_add_i32 s0, s1, s0
	s_mul_i32 s1, s9, s24
	s_add_i32 s1, s0, s1
	s_mul_i32 s0, s8, s24
	s_lshl_b64 s[0:1], s[0:1], 4
	s_add_u32 s20, s22, s0
	s_addc_u32 s21, s23, s1
	s_mul_i32 s0, s8, s3
	s_mul_hi_u32 s1, s8, s2
	s_add_i32 s0, s1, s0
	s_mul_i32 s9, s9, s2
	s_add_i32 s1, s0, s9
	s_mul_i32 s0, s8, s2
	s_lshl_b64 s[0:1], s[0:1], 4
	s_add_u32 s2, s26, s0
	s_addc_u32 s3, s27, s1
	s_sub_i32 s0, s30, s28
	s_add_i32 s8, s0, s29
	s_not_b32 s22, s30
	s_mul_hi_i32 s1, s35, s8
	s_mul_i32 s0, s35, s8
	s_add_i32 s22, s22, s28
	s_lshl_b64 s[0:1], s[0:1], 4
	s_add_u32 s23, s4, s0
	v_and_b32_e32 v20, 0x3ff, v0
	v_bfe_u32 v21, v0, 10, 10
	s_addc_u32 s24, s5, s1
	s_add_i32 s0, s30, 1
	v_cvt_f32_u32_e32 v0, s38
	s_mul_hi_i32 s1, s15, s0
	s_mul_i32 s0, s15, s0
	s_lshl_b64 s[0:1], s[0:1], 4
	s_add_u32 s25, s12, s0
	s_addc_u32 s26, s13, s1
	s_add_i32 s8, s8, 1
	v_rcp_iflag_f32_e32 v0, v0
	s_mul_hi_i32 s1, s35, s8
	s_mul_i32 s0, s35, s8
	s_lshl_b64 s[0:1], s[0:1], 4
	s_add_u32 s27, s4, s0
	s_addc_u32 s28, s5, s1
	s_ashr_i32 s31, s30, 31
	v_mul_f32_e32 v0, 0x4f7ffffe, v0
	s_lshl_b64 s[0:1], s[30:31], 4
	v_cvt_u32_f32_e32 v0, v0
	s_add_u32 s4, s23, s0
	s_addc_u32 s5, s24, s1
	s_add_u32 s12, s2, s0
	s_addc_u32 s13, s3, s1
	s_sub_i32 s2, 0, s38
	v_readfirstlane_b32 s3, v0
	s_mul_i32 s2, s2, s3
	s_add_i32 s0, s22, -1
	s_mul_hi_u32 s2, s3, s2
	s_ashr_i32 s1, s0, 31
	s_abs_i32 s0, s0
	s_add_i32 s3, s3, s2
	s_mul_hi_u32 s2, s0, s3
	s_mul_i32 s3, s2, s38
	s_sub_i32 s0, s0, s3
	s_add_i32 s3, s2, 1
	s_sub_i32 s8, s0, s38
	s_cmp_ge_u32 s0, s38
	s_cselect_b32 s2, s3, s2
	s_cselect_b32 s0, s8, s0
	s_add_i32 s3, s2, 1
	s_cmp_ge_u32 s0, s38
	s_cselect_b32 s0, s3, s2
	s_abs_i32 s2, s11
	v_cvt_f32_u32_e32 v0, s2
	s_mul_i32 s7, s7, s38
	v_add_u32_e32 v22, s7, v21
	s_sub_i32 s3, 0, s2
	v_rcp_iflag_f32_e32 v0, v0
	s_xor_b32 s0, s0, s1
	s_sub_i32 s0, s0, s1
	s_xor_b32 s1, s0, s11
	v_mul_f32_e32 v0, 0x4f7ffffe, v0
	v_cvt_u32_f32_e32 v0, v0
	s_abs_i32 s0, s0
	s_ashr_i32 s1, s1, 31
	v_lshl_add_u32 v23, v20, 4, 0
	v_readfirstlane_b32 s7, v0
	s_mul_i32 s3, s3, s7
	s_mul_hi_u32 s3, s7, s3
	s_add_i32 s7, s7, s3
	s_mul_hi_u32 s3, s0, s7
	s_mul_i32 s7, s3, s2
	s_sub_i32 s0, s0, s7
	s_add_i32 s7, s3, 1
	s_sub_i32 s8, s0, s2
	s_cmp_ge_u32 s0, s2
	s_cselect_b32 s3, s7, s3
	s_cselect_b32 s0, s8, s0
	s_add_i32 s7, s3, 1
	s_cmp_ge_u32 s0, s2
	s_cselect_b32 s0, s7, s3
	s_xor_b32 s0, s0, s1
	s_sub_i32 s31, s0, s1
	s_cmp_gt_i32 s31, -1
	v_mul_u32_u24_e32 v0, s33, v21
	v_lshl_add_u32 v24, v0, 4, v23
	s_cselect_b64 s[18:19], -1, 0
	s_add_u32 s7, s4, 16
	v_mul_lo_u32 v0, s15, v22
	s_mul_i32 s4, s6, s33
	s_mul_i32 s29, s11, s38
	v_add3_u32 v25, v20, v0, s4
	v_mul_lo_u32 v0, s35, v22
	v_cmp_eq_u32_e64 s[0:1], 0, v22
	v_cmp_gt_u16_e64 s[16:17], s38, 1
	v_cmp_eq_u32_e64 s[2:3], 0, v21
	s_addc_u32 s11, s5, 0
	s_add_i32 s31, s31, 1
	s_mul_i32 s34, s10, s33
	s_mul_i32 s39, s29, s15
	v_add3_u32 v26, v20, v0, s4
	s_mul_i32 s35, s29, s35
	v_mov_b32_e32 v27, 0
	s_branch .LBB187_3
.LBB187_2:                              ;   in Loop: Header=BB187_3 Depth=1
	s_or_b64 exec, exec, s[4:5]
	s_add_i32 s4, s37, 1
	v_add_u32_e32 v25, s34, v25
	v_add_u32_e32 v26, s34, v26
	s_cmp_eq_u32 s37, s36
	s_mov_b32 s37, s4
	s_cbranch_scc1 .LBB187_20
.LBB187_3:                              ; =>This Loop Header: Depth=1
                                        ;     Child Loop BB187_12 Depth 2
                                        ;     Child Loop BB187_9 Depth 2
	s_mul_i32 s4, s37, s10
	s_add_i32 s4, s4, s6
	s_mul_i32 s4, s4, s33
	v_add_u32_e32 v12, s4, v20
	v_cmp_gt_i32_e64 s[4:5], s30, v12
	v_pk_mov_b32 v[0:1], 0, 0
	s_and_b64 s[14:15], s[0:1], s[4:5]
	v_ashrrev_i32_e32 v13, 31, v12
	v_pk_mov_b32 v[2:3], v[0:1], v[0:1] op_sel:[0,1]
	s_and_saveexec_b64 s[8:9], s[14:15]
	s_cbranch_execz .LBB187_5
; %bb.4:                                ;   in Loop: Header=BB187_3 Depth=1
	v_lshlrev_b64 v[0:1], 4, v[12:13]
	v_mov_b32_e32 v2, s24
	v_add_co_u32_e32 v0, vcc, s23, v0
	v_addc_co_u32_e32 v1, vcc, v2, v1, vcc
	global_load_dwordx4 v[0:3], v[0:1], off
.LBB187_5:                              ;   in Loop: Header=BB187_3 Depth=1
	s_or_b64 exec, exec, s[8:9]
	s_andn2_b64 vcc, exec, s[18:19]
	v_mov_b32_e32 v14, v22
	v_mov_b32_e32 v16, v26
	;; [unrolled: 1-line block ×3, first 2 shown]
	s_mov_b32 s40, s31
	s_cbranch_vccz .LBB187_12
.LBB187_6:                              ;   in Loop: Header=BB187_3 Depth=1
	s_andn2_b64 vcc, exec, s[16:17]
	s_mov_b32 s14, s38
	s_waitcnt vmcnt(0)
	ds_write2_b64 v24, v[0:1], v[2:3] offset1:1
	s_waitcnt lgkmcnt(0)
	s_barrier
	s_cbranch_vccnz .LBB187_18
; %bb.7:                                ;   in Loop: Header=BB187_3 Depth=1
	s_lshr_b32 s15, s14, 1
	v_cmp_gt_u32_e32 vcc, s15, v21
	s_and_saveexec_b64 s[8:9], vcc
	s_cbranch_execz .LBB187_9
.LBB187_8:                              ;   in Loop: Header=BB187_3 Depth=1
	v_add_u32_e32 v4, s15, v21
	v_mul_u32_u24_e32 v4, s33, v4
	v_lshl_add_u32 v4, v4, 4, v23
	ds_read2_b64 v[4:7], v4 offset1:1
	s_waitcnt lgkmcnt(0)
	v_add_f64 v[0:1], v[0:1], v[4:5]
	v_add_f64 v[2:3], v[2:3], v[6:7]
	ds_write2_b64 v24, v[0:1], v[2:3] offset1:1
.LBB187_9:                              ;   Parent Loop BB187_3 Depth=1
                                        ; =>  This Inner Loop Header: Depth=2
	s_or_b64 exec, exec, s[8:9]
	s_cmp_lt_u32 s14, 4
	s_waitcnt lgkmcnt(0)
	s_barrier
	s_cbranch_scc1 .LBB187_18
; %bb.10:                               ;   in Loop: Header=BB187_9 Depth=2
	s_mov_b32 s14, s15
	s_lshr_b32 s15, s14, 1
	v_cmp_gt_u32_e32 vcc, s15, v21
	s_and_saveexec_b64 s[8:9], vcc
	s_cbranch_execnz .LBB187_8
	s_branch .LBB187_9
.LBB187_11:                             ;   in Loop: Header=BB187_12 Depth=2
	s_or_b64 exec, exec, s[8:9]
	s_add_i32 s40, s40, -1
	v_add_u32_e32 v18, s39, v18
	v_add_u32_e32 v16, s35, v16
	s_cmp_eq_u32 s40, 0
	v_add_u32_e32 v14, s29, v14
	s_cbranch_scc1 .LBB187_6
.LBB187_12:                             ;   Parent Loop BB187_3 Depth=1
                                        ; =>  This Inner Loop Header: Depth=2
	s_waitcnt vmcnt(0)
	v_pk_mov_b32 v[6:7], 0, 0
	v_cmp_gt_i32_e32 vcc, s22, v14
	v_ashrrev_i32_e32 v15, 31, v14
	v_pk_mov_b32 v[8:9], v[6:7], v[6:7] op_sel:[0,1]
	v_pk_mov_b32 v[10:11], v[6:7], v[6:7] op_sel:[0,1]
	s_and_saveexec_b64 s[14:15], vcc
	s_cbranch_execnz .LBB187_15
; %bb.13:                               ;   in Loop: Header=BB187_12 Depth=2
	s_or_b64 exec, exec, s[14:15]
	v_pk_mov_b32 v[4:5], v[6:7], v[6:7] op_sel:[0,1]
	s_and_saveexec_b64 s[14:15], vcc
	s_cbranch_execnz .LBB187_16
.LBB187_14:                             ;   in Loop: Header=BB187_12 Depth=2
	s_or_b64 exec, exec, s[14:15]
	s_and_b64 s[14:15], s[4:5], vcc
	s_and_saveexec_b64 s[8:9], s[14:15]
	s_cbranch_execz .LBB187_11
	s_branch .LBB187_17
.LBB187_15:                             ;   in Loop: Header=BB187_12 Depth=2
	v_lshlrev_b64 v[4:5], 4, v[14:15]
	v_mov_b32_e32 v8, s21
	v_add_co_u32_e64 v4, s[8:9], s20, v4
	v_addc_co_u32_e64 v5, s[8:9], v8, v5, s[8:9]
	global_load_dwordx4 v[8:11], v[4:5], off
	s_or_b64 exec, exec, s[14:15]
	v_pk_mov_b32 v[4:5], v[6:7], v[6:7] op_sel:[0,1]
	s_and_saveexec_b64 s[14:15], vcc
	s_cbranch_execz .LBB187_14
.LBB187_16:                             ;   in Loop: Header=BB187_12 Depth=2
	v_lshlrev_b64 v[4:5], 4, v[14:15]
	v_mov_b32_e32 v6, s11
	v_add_co_u32_e64 v4, s[8:9], s7, v4
	v_addc_co_u32_e64 v5, s[8:9], v6, v5, s[8:9]
	global_load_dwordx4 v[4:7], v[4:5], off
	s_or_b64 exec, exec, s[14:15]
	s_and_b64 s[14:15], s[4:5], vcc
	s_and_saveexec_b64 s[8:9], s[14:15]
	s_cbranch_execz .LBB187_11
.LBB187_17:                             ;   in Loop: Header=BB187_12 Depth=2
	v_ashrrev_i32_e32 v19, 31, v18
	v_lshlrev_b64 v[28:29], 4, v[18:19]
	v_mov_b32_e32 v15, s26
	v_add_co_u32_e32 v28, vcc, s25, v28
	v_ashrrev_i32_e32 v17, 31, v16
	v_addc_co_u32_e32 v29, vcc, v15, v29, vcc
	v_lshlrev_b64 v[32:33], 4, v[16:17]
	v_mov_b32_e32 v15, s28
	v_add_co_u32_e32 v32, vcc, s27, v32
	v_addc_co_u32_e32 v33, vcc, v15, v33, vcc
	global_load_dwordx4 v[28:31], v[28:29], off
	s_waitcnt vmcnt(0)
	v_mul_f64 v[36:37], v[10:11], v[30:31]
	global_load_dwordx4 v[32:35], v[32:33], off
	v_mul_f64 v[30:31], v[8:9], v[30:31]
	v_fma_f64 v[8:9], v[8:9], v[28:29], -v[36:37]
	v_fmac_f64_e32 v[30:31], v[10:11], v[28:29]
	s_waitcnt vmcnt(0)
	v_mul_f64 v[38:39], v[6:7], v[34:35]
	v_mul_f64 v[34:35], v[4:5], v[34:35]
	v_fma_f64 v[4:5], v[4:5], v[32:33], -v[38:39]
	v_fmac_f64_e32 v[34:35], v[6:7], v[32:33]
	v_add_f64 v[4:5], v[8:9], v[4:5]
	v_add_f64 v[6:7], v[30:31], v[34:35]
	v_add_f64 v[0:1], v[0:1], -v[4:5]
	v_add_f64 v[2:3], v[2:3], -v[6:7]
	s_branch .LBB187_11
.LBB187_18:                             ;   in Loop: Header=BB187_3 Depth=1
	s_and_b64 s[8:9], s[2:3], s[4:5]
	s_and_saveexec_b64 s[4:5], s[8:9]
	s_cbranch_execz .LBB187_2
; %bb.19:                               ;   in Loop: Header=BB187_3 Depth=1
	global_load_dwordx4 v[4:7], v27, s[12:13] offset:-16
	v_lshlrev_b64 v[10:11], 4, v[12:13]
	v_mov_b32_e32 v14, s24
	s_waitcnt vmcnt(0)
	v_mul_f64 v[12:13], v[2:3], v[6:7]
	v_mul_f64 v[8:9], v[0:1], v[6:7]
	v_fma_f64 v[6:7], v[0:1], v[4:5], -v[12:13]
	v_add_co_u32_e32 v0, vcc, s23, v10
	v_fmac_f64_e32 v[8:9], v[2:3], v[4:5]
	v_addc_co_u32_e32 v1, vcc, v14, v11, vcc
	global_store_dwordx4 v[0:1], v[6:9], off
	s_branch .LBB187_2
.LBB187_20:
	s_endpgm
	.section	.rodata,"a",@progbits
	.p2align	6, 0x0
	.amdhsa_kernel _ZN9rocsolver6v33100L26latrd_upper_updateW_kernelI19rocblas_complex_numIdEPS3_EEviiiT0_iilPT_iilS7_lS7_l
		.amdhsa_group_segment_fixed_size 0
		.amdhsa_private_segment_fixed_size 0
		.amdhsa_kernarg_size 352
		.amdhsa_user_sgpr_count 6
		.amdhsa_user_sgpr_private_segment_buffer 1
		.amdhsa_user_sgpr_dispatch_ptr 0
		.amdhsa_user_sgpr_queue_ptr 0
		.amdhsa_user_sgpr_kernarg_segment_ptr 1
		.amdhsa_user_sgpr_dispatch_id 0
		.amdhsa_user_sgpr_flat_scratch_init 0
		.amdhsa_user_sgpr_kernarg_preload_length 0
		.amdhsa_user_sgpr_kernarg_preload_offset 0
		.amdhsa_user_sgpr_private_segment_size 0
		.amdhsa_uses_dynamic_stack 0
		.amdhsa_system_sgpr_private_segment_wavefront_offset 0
		.amdhsa_system_sgpr_workgroup_id_x 1
		.amdhsa_system_sgpr_workgroup_id_y 1
		.amdhsa_system_sgpr_workgroup_id_z 1
		.amdhsa_system_sgpr_workgroup_info 0
		.amdhsa_system_vgpr_workitem_id 1
		.amdhsa_next_free_vgpr 40
		.amdhsa_next_free_sgpr 41
		.amdhsa_accum_offset 40
		.amdhsa_reserve_vcc 1
		.amdhsa_reserve_flat_scratch 0
		.amdhsa_float_round_mode_32 0
		.amdhsa_float_round_mode_16_64 0
		.amdhsa_float_denorm_mode_32 3
		.amdhsa_float_denorm_mode_16_64 3
		.amdhsa_dx10_clamp 1
		.amdhsa_ieee_mode 1
		.amdhsa_fp16_overflow 0
		.amdhsa_tg_split 0
		.amdhsa_exception_fp_ieee_invalid_op 0
		.amdhsa_exception_fp_denorm_src 0
		.amdhsa_exception_fp_ieee_div_zero 0
		.amdhsa_exception_fp_ieee_overflow 0
		.amdhsa_exception_fp_ieee_underflow 0
		.amdhsa_exception_fp_ieee_inexact 0
		.amdhsa_exception_int_div_zero 0
	.end_amdhsa_kernel
	.section	.text._ZN9rocsolver6v33100L26latrd_upper_updateW_kernelI19rocblas_complex_numIdEPS3_EEviiiT0_iilPT_iilS7_lS7_l,"axG",@progbits,_ZN9rocsolver6v33100L26latrd_upper_updateW_kernelI19rocblas_complex_numIdEPS3_EEviiiT0_iilPT_iilS7_lS7_l,comdat
.Lfunc_end187:
	.size	_ZN9rocsolver6v33100L26latrd_upper_updateW_kernelI19rocblas_complex_numIdEPS3_EEviiiT0_iilPT_iilS7_lS7_l, .Lfunc_end187-_ZN9rocsolver6v33100L26latrd_upper_updateW_kernelI19rocblas_complex_numIdEPS3_EEviiiT0_iilPT_iilS7_lS7_l
                                        ; -- End function
	.section	.AMDGPU.csdata,"",@progbits
; Kernel info:
; codeLenInByte = 1712
; NumSgprs: 45
; NumVgprs: 40
; NumAgprs: 0
; TotalNumVgprs: 40
; ScratchSize: 0
; MemoryBound: 1
; FloatMode: 240
; IeeeMode: 1
; LDSByteSize: 0 bytes/workgroup (compile time only)
; SGPRBlocks: 5
; VGPRBlocks: 4
; NumSGPRsForWavesPerEU: 45
; NumVGPRsForWavesPerEU: 40
; AccumOffset: 40
; Occupancy: 8
; WaveLimiterHint : 0
; COMPUTE_PGM_RSRC2:SCRATCH_EN: 0
; COMPUTE_PGM_RSRC2:USER_SGPR: 6
; COMPUTE_PGM_RSRC2:TRAP_HANDLER: 0
; COMPUTE_PGM_RSRC2:TGID_X_EN: 1
; COMPUTE_PGM_RSRC2:TGID_Y_EN: 1
; COMPUTE_PGM_RSRC2:TGID_Z_EN: 1
; COMPUTE_PGM_RSRC2:TIDIG_COMP_CNT: 1
; COMPUTE_PGM_RSRC3_GFX90A:ACCUM_OFFSET: 9
; COMPUTE_PGM_RSRC3_GFX90A:TG_SPLIT: 0
	.section	.text._ZN9rocsolver6v33100L11set_tridiagI19rocblas_complex_numIdEdPS3_TnNSt9enable_ifIX18rocblas_is_complexIT_EEiE4typeELi0EEEv13rocblas_fill_iT1_iilPT0_lSC_l,"axG",@progbits,_ZN9rocsolver6v33100L11set_tridiagI19rocblas_complex_numIdEdPS3_TnNSt9enable_ifIX18rocblas_is_complexIT_EEiE4typeELi0EEEv13rocblas_fill_iT1_iilPT0_lSC_l,comdat
	.globl	_ZN9rocsolver6v33100L11set_tridiagI19rocblas_complex_numIdEdPS3_TnNSt9enable_ifIX18rocblas_is_complexIT_EEiE4typeELi0EEEv13rocblas_fill_iT1_iilPT0_lSC_l ; -- Begin function _ZN9rocsolver6v33100L11set_tridiagI19rocblas_complex_numIdEdPS3_TnNSt9enable_ifIX18rocblas_is_complexIT_EEiE4typeELi0EEEv13rocblas_fill_iT1_iilPT0_lSC_l
	.p2align	8
	.type	_ZN9rocsolver6v33100L11set_tridiagI19rocblas_complex_numIdEdPS3_TnNSt9enable_ifIX18rocblas_is_complexIT_EEiE4typeELi0EEEv13rocblas_fill_iT1_iilPT0_lSC_l,@function
_ZN9rocsolver6v33100L11set_tridiagI19rocblas_complex_numIdEdPS3_TnNSt9enable_ifIX18rocblas_is_complexIT_EEiE4typeELi0EEEv13rocblas_fill_iT1_iilPT0_lSC_l: ; @_ZN9rocsolver6v33100L11set_tridiagI19rocblas_complex_numIdEdPS3_TnNSt9enable_ifIX18rocblas_is_complexIT_EEiE4typeELi0EEEv13rocblas_fill_iT1_iilPT0_lSC_l
; %bb.0:
	s_load_dword s0, s[4:5], 0x4c
	s_load_dwordx2 s[16:17], s[4:5], 0x0
	s_waitcnt lgkmcnt(0)
	s_and_b32 s0, s0, 0xffff
	s_mul_i32 s6, s6, s0
	v_add_u32_e32 v0, s6, v0
	v_cmp_gt_i32_e32 vcc, s17, v0
	s_and_saveexec_b64 s[0:1], vcc
	s_cbranch_execz .LBB188_7
; %bb.1:
	s_load_dwordx4 s[0:3], s[4:5], 0x8
	s_load_dwordx8 s[8:15], s[4:5], 0x18
	s_ashr_i32 s18, s7, 31
	v_mov_b32_e32 v8, 0
	v_mov_b32_e32 v9, v8
	s_waitcnt lgkmcnt(0)
	s_ashr_i32 s21, s2, 31
	s_mov_b32 s20, s2
	s_mul_i32 s2, s7, s9
	s_mul_hi_u32 s6, s7, s8
	s_add_i32 s2, s6, s2
	s_mul_i32 s6, s18, s8
	s_add_i32 s9, s2, s6
	s_mul_i32 s8, s7, s8
	s_lshl_b64 s[8:9], s[8:9], 4
	s_add_u32 s2, s0, s8
	s_addc_u32 s6, s1, s9
	s_lshl_b64 s[0:1], s[20:21], 4
	s_add_u32 s2, s2, s0
	s_addc_u32 s6, s6, s1
	v_mad_u64_u32 v[2:3], s[0:1], v0, s3, v[0:1]
	v_ashrrev_i32_e32 v3, 31, v2
	v_lshlrev_b64 v[4:5], 4, v[2:3]
	v_mov_b32_e32 v1, s6
	v_add_co_u32_e32 v10, vcc, s2, v4
	v_addc_co_u32_e32 v11, vcc, v1, v5, vcc
	global_load_dwordx2 v[6:7], v[10:11], off
	s_mul_i32 s1, s7, s13
	s_mul_hi_u32 s8, s7, s12
	s_mul_i32 s9, s18, s12
	s_add_i32 s1, s8, s1
	s_mul_i32 s0, s7, s12
	s_add_i32 s1, s1, s9
	s_lshl_b64 s[0:1], s[0:1], 3
	v_ashrrev_i32_e32 v1, 31, v0
	s_add_u32 s0, s10, s0
	v_lshlrev_b64 v[4:5], 3, v[0:1]
	s_addc_u32 s1, s11, s1
	v_mov_b32_e32 v1, s1
	v_add_co_u32_e32 v12, vcc, s0, v4
	s_add_i32 s8, s17, -1
	v_addc_co_u32_e32 v13, vcc, v1, v5, vcc
	v_cmp_gt_i32_e32 vcc, s8, v0
	s_waitcnt vmcnt(0)
	global_store_dwordx2 v[12:13], v[6:7], off
	global_store_dwordx4 v[10:11], v[6:9], off
	s_and_b64 exec, exec, vcc
	s_cbranch_execz .LBB188_7
; %bb.2:
	s_load_dwordx2 s[0:1], s[4:5], 0x38
	s_waitcnt lgkmcnt(0)
	s_mul_i32 s1, s7, s1
	s_mul_hi_u32 s4, s7, s0
	s_mul_i32 s5, s18, s0
	s_add_i32 s1, s4, s1
	s_mul_i32 s0, s7, s0
	s_add_i32 s1, s1, s5
	s_lshl_b64 s[0:1], s[0:1], 3
	s_add_u32 s0, s14, s0
	s_addc_u32 s1, s15, s1
	v_mov_b32_e32 v1, s1
	v_add_co_u32_e32 v0, vcc, s0, v4
	v_addc_co_u32_e32 v1, vcc, v1, v5, vcc
	global_load_dwordx2 v[0:1], v[0:1], off
	s_cmpk_lg_i32 s16, 0x7a
	s_cbranch_scc0 .LBB188_4
; %bb.3:
	v_add_u32_e32 v4, s3, v2
	s_cbranch_execz .LBB188_5
	s_branch .LBB188_6
.LBB188_4:
                                        ; implicit-def: $vgpr4
.LBB188_5:
	v_add_u32_e32 v4, 1, v2
.LBB188_6:
	v_ashrrev_i32_e32 v5, 31, v4
	v_lshlrev_b64 v[2:3], 4, v[4:5]
	v_mov_b32_e32 v5, s6
	v_add_co_u32_e32 v4, vcc, s2, v2
	v_mov_b32_e32 v2, 0
	v_addc_co_u32_e32 v5, vcc, v5, v3, vcc
	v_mov_b32_e32 v3, v2
	s_waitcnt vmcnt(0)
	global_store_dwordx4 v[4:5], v[0:3], off
.LBB188_7:
	s_endpgm
	.section	.rodata,"a",@progbits
	.p2align	6, 0x0
	.amdhsa_kernel _ZN9rocsolver6v33100L11set_tridiagI19rocblas_complex_numIdEdPS3_TnNSt9enable_ifIX18rocblas_is_complexIT_EEiE4typeELi0EEEv13rocblas_fill_iT1_iilPT0_lSC_l
		.amdhsa_group_segment_fixed_size 0
		.amdhsa_private_segment_fixed_size 0
		.amdhsa_kernarg_size 320
		.amdhsa_user_sgpr_count 6
		.amdhsa_user_sgpr_private_segment_buffer 1
		.amdhsa_user_sgpr_dispatch_ptr 0
		.amdhsa_user_sgpr_queue_ptr 0
		.amdhsa_user_sgpr_kernarg_segment_ptr 1
		.amdhsa_user_sgpr_dispatch_id 0
		.amdhsa_user_sgpr_flat_scratch_init 0
		.amdhsa_user_sgpr_kernarg_preload_length 0
		.amdhsa_user_sgpr_kernarg_preload_offset 0
		.amdhsa_user_sgpr_private_segment_size 0
		.amdhsa_uses_dynamic_stack 0
		.amdhsa_system_sgpr_private_segment_wavefront_offset 0
		.amdhsa_system_sgpr_workgroup_id_x 1
		.amdhsa_system_sgpr_workgroup_id_y 1
		.amdhsa_system_sgpr_workgroup_id_z 0
		.amdhsa_system_sgpr_workgroup_info 0
		.amdhsa_system_vgpr_workitem_id 0
		.amdhsa_next_free_vgpr 14
		.amdhsa_next_free_sgpr 22
		.amdhsa_accum_offset 16
		.amdhsa_reserve_vcc 1
		.amdhsa_reserve_flat_scratch 0
		.amdhsa_float_round_mode_32 0
		.amdhsa_float_round_mode_16_64 0
		.amdhsa_float_denorm_mode_32 3
		.amdhsa_float_denorm_mode_16_64 3
		.amdhsa_dx10_clamp 1
		.amdhsa_ieee_mode 1
		.amdhsa_fp16_overflow 0
		.amdhsa_tg_split 0
		.amdhsa_exception_fp_ieee_invalid_op 0
		.amdhsa_exception_fp_denorm_src 0
		.amdhsa_exception_fp_ieee_div_zero 0
		.amdhsa_exception_fp_ieee_overflow 0
		.amdhsa_exception_fp_ieee_underflow 0
		.amdhsa_exception_fp_ieee_inexact 0
		.amdhsa_exception_int_div_zero 0
	.end_amdhsa_kernel
	.section	.text._ZN9rocsolver6v33100L11set_tridiagI19rocblas_complex_numIdEdPS3_TnNSt9enable_ifIX18rocblas_is_complexIT_EEiE4typeELi0EEEv13rocblas_fill_iT1_iilPT0_lSC_l,"axG",@progbits,_ZN9rocsolver6v33100L11set_tridiagI19rocblas_complex_numIdEdPS3_TnNSt9enable_ifIX18rocblas_is_complexIT_EEiE4typeELi0EEEv13rocblas_fill_iT1_iilPT0_lSC_l,comdat
.Lfunc_end188:
	.size	_ZN9rocsolver6v33100L11set_tridiagI19rocblas_complex_numIdEdPS3_TnNSt9enable_ifIX18rocblas_is_complexIT_EEiE4typeELi0EEEv13rocblas_fill_iT1_iilPT0_lSC_l, .Lfunc_end188-_ZN9rocsolver6v33100L11set_tridiagI19rocblas_complex_numIdEdPS3_TnNSt9enable_ifIX18rocblas_is_complexIT_EEiE4typeELi0EEEv13rocblas_fill_iT1_iilPT0_lSC_l
                                        ; -- End function
	.section	.AMDGPU.csdata,"",@progbits
; Kernel info:
; codeLenInByte = 412
; NumSgprs: 26
; NumVgprs: 14
; NumAgprs: 0
; TotalNumVgprs: 14
; ScratchSize: 0
; MemoryBound: 0
; FloatMode: 240
; IeeeMode: 1
; LDSByteSize: 0 bytes/workgroup (compile time only)
; SGPRBlocks: 3
; VGPRBlocks: 1
; NumSGPRsForWavesPerEU: 26
; NumVGPRsForWavesPerEU: 14
; AccumOffset: 16
; Occupancy: 8
; WaveLimiterHint : 0
; COMPUTE_PGM_RSRC2:SCRATCH_EN: 0
; COMPUTE_PGM_RSRC2:USER_SGPR: 6
; COMPUTE_PGM_RSRC2:TRAP_HANDLER: 0
; COMPUTE_PGM_RSRC2:TGID_X_EN: 1
; COMPUTE_PGM_RSRC2:TGID_Y_EN: 1
; COMPUTE_PGM_RSRC2:TGID_Z_EN: 0
; COMPUTE_PGM_RSRC2:TIDIG_COMP_CNT: 0
; COMPUTE_PGM_RSRC3_GFX90A:ACCUM_OFFSET: 3
; COMPUTE_PGM_RSRC3_GFX90A:TG_SPLIT: 0
	.section	.text._ZN9rocsolver6v33100L10init_identI19rocblas_complex_numIdEPS3_EEviiT0_iil,"axG",@progbits,_ZN9rocsolver6v33100L10init_identI19rocblas_complex_numIdEPS3_EEviiT0_iil,comdat
	.globl	_ZN9rocsolver6v33100L10init_identI19rocblas_complex_numIdEPS3_EEviiT0_iil ; -- Begin function _ZN9rocsolver6v33100L10init_identI19rocblas_complex_numIdEPS3_EEviiT0_iil
	.p2align	8
	.type	_ZN9rocsolver6v33100L10init_identI19rocblas_complex_numIdEPS3_EEviiT0_iil,@function
_ZN9rocsolver6v33100L10init_identI19rocblas_complex_numIdEPS3_EEviiT0_iil: ; @_ZN9rocsolver6v33100L10init_identI19rocblas_complex_numIdEPS3_EEviiT0_iil
; %bb.0:
	s_load_dword s2, s[4:5], 0x2c
	s_load_dwordx2 s[0:1], s[4:5], 0x0
	v_and_b32_e32 v1, 0x3ff, v0
	v_bfe_u32 v0, v0, 10, 10
	s_waitcnt lgkmcnt(0)
	s_lshr_b32 s3, s2, 16
	s_and_b32 s2, s2, 0xffff
	s_mul_i32 s6, s6, s2
	s_mul_i32 s7, s7, s3
	v_add_u32_e32 v4, s6, v1
	v_add_u32_e32 v0, s7, v0
	v_cmp_gt_u32_e32 vcc, s0, v4
	v_cmp_gt_u32_e64 s[0:1], s1, v0
	s_and_b64 s[0:1], vcc, s[0:1]
	s_and_saveexec_b64 s[2:3], s[0:1]
	s_cbranch_execz .LBB189_6
; %bb.1:
	s_load_dwordx2 s[0:1], s[4:5], 0x10
	v_cmp_ne_u32_e32 vcc, v4, v0
                                        ; implicit-def: $sgpr2_sgpr3
                                        ; implicit-def: $vgpr2
	s_and_saveexec_b64 s[6:7], vcc
	s_xor_b64 s[6:7], exec, s[6:7]
	s_cbranch_execz .LBB189_3
; %bb.2:
	s_waitcnt lgkmcnt(0)
	v_mad_u64_u32 v[2:3], s[2:3], v0, s1, v[4:5]
	s_mov_b64 s[2:3], 0
                                        ; implicit-def: $vgpr4
.LBB189_3:
	s_or_saveexec_b64 s[6:7], s[6:7]
	v_pk_mov_b32 v[0:1], s[2:3], s[2:3] op_sel:[0,1]
	s_xor_b64 exec, exec, s[6:7]
	s_cbranch_execz .LBB189_5
; %bb.4:
	v_mov_b32_e32 v0, 0
	s_waitcnt lgkmcnt(0)
	v_mad_u64_u32 v[2:3], s[2:3], v4, s1, v[4:5]
	v_mov_b32_e32 v1, 0x3ff00000
.LBB189_5:
	s_or_b64 exec, exec, s[6:7]
	s_load_dwordx2 s[2:3], s[4:5], 0x18
	s_load_dwordx2 s[6:7], s[4:5], 0x8
	s_waitcnt lgkmcnt(0)
	s_ashr_i32 s1, s0, 31
	v_mov_b32_e32 v3, 0
	v_lshlrev_b64 v[4:5], 4, v[2:3]
	s_mul_i32 s3, s8, s3
	s_mul_hi_u32 s4, s8, s2
	s_mul_i32 s2, s8, s2
	s_add_i32 s3, s4, s3
	s_lshl_b64 s[2:3], s[2:3], 4
	s_add_u32 s2, s6, s2
	s_addc_u32 s3, s7, s3
	s_lshl_b64 s[0:1], s[0:1], 4
	s_add_u32 s0, s2, s0
	s_addc_u32 s1, s3, s1
	v_mov_b32_e32 v2, s1
	v_add_co_u32_e32 v4, vcc, s0, v4
	v_addc_co_u32_e32 v5, vcc, v2, v5, vcc
	v_mov_b32_e32 v2, v3
	global_store_dwordx4 v[4:5], v[0:3], off
.LBB189_6:
	s_endpgm
	.section	.rodata,"a",@progbits
	.p2align	6, 0x0
	.amdhsa_kernel _ZN9rocsolver6v33100L10init_identI19rocblas_complex_numIdEPS3_EEviiT0_iil
		.amdhsa_group_segment_fixed_size 0
		.amdhsa_private_segment_fixed_size 0
		.amdhsa_kernarg_size 288
		.amdhsa_user_sgpr_count 6
		.amdhsa_user_sgpr_private_segment_buffer 1
		.amdhsa_user_sgpr_dispatch_ptr 0
		.amdhsa_user_sgpr_queue_ptr 0
		.amdhsa_user_sgpr_kernarg_segment_ptr 1
		.amdhsa_user_sgpr_dispatch_id 0
		.amdhsa_user_sgpr_flat_scratch_init 0
		.amdhsa_user_sgpr_kernarg_preload_length 0
		.amdhsa_user_sgpr_kernarg_preload_offset 0
		.amdhsa_user_sgpr_private_segment_size 0
		.amdhsa_uses_dynamic_stack 0
		.amdhsa_system_sgpr_private_segment_wavefront_offset 0
		.amdhsa_system_sgpr_workgroup_id_x 1
		.amdhsa_system_sgpr_workgroup_id_y 1
		.amdhsa_system_sgpr_workgroup_id_z 1
		.amdhsa_system_sgpr_workgroup_info 0
		.amdhsa_system_vgpr_workitem_id 1
		.amdhsa_next_free_vgpr 6
		.amdhsa_next_free_sgpr 9
		.amdhsa_accum_offset 8
		.amdhsa_reserve_vcc 1
		.amdhsa_reserve_flat_scratch 0
		.amdhsa_float_round_mode_32 0
		.amdhsa_float_round_mode_16_64 0
		.amdhsa_float_denorm_mode_32 3
		.amdhsa_float_denorm_mode_16_64 3
		.amdhsa_dx10_clamp 1
		.amdhsa_ieee_mode 1
		.amdhsa_fp16_overflow 0
		.amdhsa_tg_split 0
		.amdhsa_exception_fp_ieee_invalid_op 0
		.amdhsa_exception_fp_denorm_src 0
		.amdhsa_exception_fp_ieee_div_zero 0
		.amdhsa_exception_fp_ieee_overflow 0
		.amdhsa_exception_fp_ieee_underflow 0
		.amdhsa_exception_fp_ieee_inexact 0
		.amdhsa_exception_int_div_zero 0
	.end_amdhsa_kernel
	.section	.text._ZN9rocsolver6v33100L10init_identI19rocblas_complex_numIdEPS3_EEviiT0_iil,"axG",@progbits,_ZN9rocsolver6v33100L10init_identI19rocblas_complex_numIdEPS3_EEviiT0_iil,comdat
.Lfunc_end189:
	.size	_ZN9rocsolver6v33100L10init_identI19rocblas_complex_numIdEPS3_EEviiT0_iil, .Lfunc_end189-_ZN9rocsolver6v33100L10init_identI19rocblas_complex_numIdEPS3_EEviiT0_iil
                                        ; -- End function
	.section	.AMDGPU.csdata,"",@progbits
; Kernel info:
; codeLenInByte = 280
; NumSgprs: 13
; NumVgprs: 6
; NumAgprs: 0
; TotalNumVgprs: 6
; ScratchSize: 0
; MemoryBound: 0
; FloatMode: 240
; IeeeMode: 1
; LDSByteSize: 0 bytes/workgroup (compile time only)
; SGPRBlocks: 1
; VGPRBlocks: 0
; NumSGPRsForWavesPerEU: 13
; NumVGPRsForWavesPerEU: 6
; AccumOffset: 8
; Occupancy: 8
; WaveLimiterHint : 0
; COMPUTE_PGM_RSRC2:SCRATCH_EN: 0
; COMPUTE_PGM_RSRC2:USER_SGPR: 6
; COMPUTE_PGM_RSRC2:TRAP_HANDLER: 0
; COMPUTE_PGM_RSRC2:TGID_X_EN: 1
; COMPUTE_PGM_RSRC2:TGID_Y_EN: 1
; COMPUTE_PGM_RSRC2:TGID_Z_EN: 1
; COMPUTE_PGM_RSRC2:TIDIG_COMP_CNT: 1
; COMPUTE_PGM_RSRC3_GFX90A:ACCUM_OFFSET: 1
; COMPUTE_PGM_RSRC3_GFX90A:TG_SPLIT: 0
	.section	.text._ZN9rocsolver6v33100L11lasr_kernelI19rocblas_complex_numIdEdPS3_iEEv13rocblas_side_14rocblas_pivot_15rocblas_direct_T2_S8_PT0_lSA_lT1_lS8_lS8_,"axG",@progbits,_ZN9rocsolver6v33100L11lasr_kernelI19rocblas_complex_numIdEdPS3_iEEv13rocblas_side_14rocblas_pivot_15rocblas_direct_T2_S8_PT0_lSA_lT1_lS8_lS8_,comdat
	.globl	_ZN9rocsolver6v33100L11lasr_kernelI19rocblas_complex_numIdEdPS3_iEEv13rocblas_side_14rocblas_pivot_15rocblas_direct_T2_S8_PT0_lSA_lT1_lS8_lS8_ ; -- Begin function _ZN9rocsolver6v33100L11lasr_kernelI19rocblas_complex_numIdEdPS3_iEEv13rocblas_side_14rocblas_pivot_15rocblas_direct_T2_S8_PT0_lSA_lT1_lS8_lS8_
	.p2align	8
	.type	_ZN9rocsolver6v33100L11lasr_kernelI19rocblas_complex_numIdEdPS3_iEEv13rocblas_side_14rocblas_pivot_15rocblas_direct_T2_S8_PT0_lSA_lT1_lS8_lS8_,@function
_ZN9rocsolver6v33100L11lasr_kernelI19rocblas_complex_numIdEdPS3_iEEv13rocblas_side_14rocblas_pivot_15rocblas_direct_T2_S8_PT0_lSA_lT1_lS8_lS8_: ; @_ZN9rocsolver6v33100L11lasr_kernelI19rocblas_complex_numIdEdPS3_iEEv13rocblas_side_14rocblas_pivot_15rocblas_direct_T2_S8_PT0_lSA_lT1_lS8_lS8_
; %bb.0:
	s_load_dword s33, s[4:5], 0x58
	s_waitcnt lgkmcnt(0)
	s_cmp_ge_u32 s7, s33
	s_cbranch_scc1 .LBB190_98
; %bb.1:
	s_load_dwordx4 s[0:3], s[4:5], 0x38
	s_load_dword s20, s[4:5], 0x48
	s_load_dwordx2 s[22:23], s[4:5], 0x50
	s_load_dword s26, s[4:5], 0x60
	s_load_dwordx2 s[24:25], s[4:5], 0x68
	s_load_dwordx4 s[16:19], s[4:5], 0x0
	s_load_dword s86, s[4:5], 0x10
	s_load_dwordx8 s[8:15], s[4:5], 0x18
	s_waitcnt lgkmcnt(0)
	s_ashr_i32 s21, s20, 31
	s_and_b32 s5, s25, 0xffff
	s_mul_i32 s6, s6, s5
	s_lshl_b64 s[2:3], s[2:3], 4
	v_add_u32_e32 v4, s6, v0
	s_add_u32 s6, s0, s2
	s_addc_u32 s25, s1, s3
	s_cmpk_lg_i32 s16, 0x8d
	s_cselect_b64 s[38:39], -1, 0
	s_cmpk_lg_i32 s16, 0x8e
	s_cselect_b64 s[44:45], -1, 0
	;; [unrolled: 2-line block ×6, first 2 shown]
	s_or_b64 s[28:29], s[38:39], s[42:43]
	s_or_b64 s[16:17], s[28:29], s[52:53]
	s_xor_b64 s[16:17], s[16:17], -1
	s_ashr_i32 s27, s19, 31
	s_add_i32 s62, s19, -2
	s_cmpk_lg_i32 s18, 0xac
	s_cselect_b64 s[54:55], -1, 0
	s_or_b64 s[28:29], s[28:29], s[54:55]
	s_xor_b64 s[28:29], s[28:29], -1
	s_cmp_gt_i32 s19, 1
	s_cselect_b64 s[30:31], -1, 0
	s_or_b64 s[36:37], s[38:39], s[50:51]
	s_or_b64 s[40:41], s[38:39], s[48:49]
	;; [unrolled: 1-line block ×9, first 2 shown]
	s_xor_b64 s[34:35], s[34:35], -1
	s_xor_b64 s[36:37], s[36:37], -1
	;; [unrolled: 1-line block ×5, first 2 shown]
	s_add_i32 s18, s86, -1
	s_xor_b64 s[46:47], s[46:47], -1
                                        ; implicit-def: $vgpr41 : SGPR spill to VGPR lane
	s_add_i32 s68, s86, -2
	v_writelane_b32 v41, s46, 0
	s_cmp_gt_i32 s86, 1
	v_writelane_b32 v41, s47, 1
	s_cselect_b64 s[46:47], -1, 0
	s_or_b64 s[50:51], s[44:45], s[50:51]
	s_or_b64 s[56:57], s[50:51], s[52:53]
	s_xor_b64 s[56:57], s[56:57], -1
	v_writelane_b32 v41, s56, 2
	s_or_b64 s[50:51], s[50:51], s[54:55]
	v_writelane_b32 v41, s57, 3
	s_xor_b64 s[50:51], s[50:51], -1
	s_or_b64 s[44:45], s[44:45], s[48:49]
	v_writelane_b32 v41, s50, 4
	s_or_b64 s[48:49], s[44:45], s[52:53]
	v_writelane_b32 v41, s51, 5
	s_xor_b64 s[48:49], s[48:49], -1
	v_writelane_b32 v41, s48, 6
	v_cmp_le_i32_e32 vcc, s19, v4
	v_writelane_b32 v41, s49, 7
	s_or_b64 s[48:49], s[54:55], vcc
	s_or_b64 s[44:45], s[44:45], s[48:49]
	s_xor_b64 s[44:45], s[44:45], -1
	s_mul_i32 s4, s26, s5
	v_writelane_b32 v41, s44, 8
	v_writelane_b32 v41, s45, 9
	s_mul_hi_i32 s45, s20, s4
	s_mul_i32 s44, s20, s4
	s_mov_b32 s63, 0
	s_add_i32 s56, s19, -1
	s_lshl_b64 s[14:15], s[14:15], 3
	s_lshl_b64 s[10:11], s[10:11], 3
	;; [unrolled: 1-line block ×3, first 2 shown]
	s_ashr_i32 s5, s4, 31
	s_lshl_b64 s[60:61], s[44:45], 4
	s_lshl_b64 s[44:45], s[62:63], 3
	s_add_u32 s87, s8, s44
	s_addc_u32 s88, s9, s45
	s_add_u32 s89, s12, s44
	s_mul_i32 s26, s21, s68
	s_mul_hi_u32 s48, s20, s68
	s_addc_u32 s90, s13, s45
	s_mov_b32 s57, s63
	s_add_i32 s49, s48, s26
	s_mul_i32 s48, s20, s68
	s_mov_b32 s69, s63
	s_lshl_b64 s[44:45], s[62:63], 4
	s_lshl_b64 s[48:49], s[48:49], 4
	s_add_i32 s91, s19, 1
	s_lshl_b64 s[50:51], s[56:57], 4
	s_lshl_b64 s[62:63], s[4:5], 4
	;; [unrolled: 1-line block ×3, first 2 shown]
	s_add_u32 s5, s48, s2
	s_addc_u32 s26, s49, s3
	s_add_u32 s52, s0, s5
	s_mul_i32 s5, s21, s18
	s_mul_hi_u32 s21, s20, s18
	s_mul_i32 s66, s20, s18
	s_addc_u32 s26, s1, s26
	s_add_i32 s49, s21, s5
	s_mov_b32 s48, s66
	s_lshl_b64 s[48:49], s[48:49], 4
	s_add_u32 s5, s48, s2
	s_addc_u32 s21, s49, s3
	s_add_u32 s53, s0, s5
	s_addc_u32 s54, s1, s21
	s_lshl_b64 s[48:49], s[68:69], 3
	s_add_u32 s5, s8, s48
	s_addc_u32 s21, s9, s49
	s_add_u32 s57, s12, s48
	s_addc_u32 s92, s13, s49
	;; [unrolled: 2-line block ×4, first 2 shown]
	v_mad_i64_i32 v[0:1], s[0:1], s20, v4, 0
	v_lshlrev_b64 v[0:1], 4, v[0:1]
	v_mov_b32_e32 v2, s25
	v_add_co_u32_e32 v0, vcc, s6, v0
	v_addc_co_u32_e32 v1, vcc, v2, v1, vcc
	v_add_co_u32_e32 v18, vcc, 24, v0
	v_addc_co_u32_e32 v19, vcc, 0, v1, vcc
	v_mov_b32_e32 v2, s45
	v_add_co_u32_e32 v20, vcc, s44, v0
	v_addc_co_u32_e32 v21, vcc, v1, v2, vcc
	v_add_co_u32_e32 v22, vcc, 16, v0
	v_addc_co_u32_e32 v23, vcc, 0, v1, vcc
	;; [unrolled: 2-line block ×3, first 2 shown]
	v_mov_b32_e32 v0, s51
	v_add_co_u32_e32 v26, vcc, s50, v24
	v_addc_co_u32_e32 v27, vcc, v25, v0, vcc
	v_add_co_u32_e32 v28, vcc, 8, v20
	v_ashrrev_i32_e32 v5, 31, v4
	v_addc_co_u32_e32 v29, vcc, 0, v21, vcc
	v_lshlrev_b64 v[0:1], 4, v[4:5]
	v_mov_b32_e32 v2, s25
	v_add_co_u32_e32 v3, vcc, s6, v0
	v_addc_co_u32_e32 v2, vcc, v2, v1, vcc
	v_add_co_u32_e32 v30, vcc, 8, v3
	v_addc_co_u32_e32 v31, vcc, 0, v2, vcc
	v_mov_b32_e32 v2, s26
	v_add_co_u32_e32 v32, vcc, s52, v0
	v_addc_co_u32_e32 v33, vcc, v2, v1, vcc
	v_mov_b32_e32 v2, s54
	v_add_co_u32_e32 v3, vcc, s53, v0
	v_addc_co_u32_e32 v2, vcc, v2, v1, vcc
	v_add_co_u32_e32 v34, vcc, 8, v3
	v_addc_co_u32_e32 v35, vcc, 0, v2, vcc
	v_mov_b32_e32 v2, s3
	v_add_co_u32_e32 v0, vcc, s2, v0
	v_addc_co_u32_e32 v1, vcc, v2, v1, vcc
	v_add_co_u32_e32 v36, vcc, 8, v0
	v_addc_co_u32_e32 v37, vcc, 0, v1, vcc
	s_add_i32 s93, s86, 1
	v_add_co_u32_e32 v38, vcc, 8, v32
	s_sub_u32 s94, 0, s64
	v_addc_co_u32_e32 v39, vcc, 0, v33, vcc
	s_mov_b32 s26, s19
	s_mul_hi_i32 s67, s20, s18
	v_mov_b32_e32 v40, 0
	s_subb_u32 s95, 0, s65
	v_cmp_gt_i32_e64 s[0:1], s86, v4
	v_cmp_gt_i32_e64 s[2:3], s19, v4
	s_branch .LBB190_4
.LBB190_2:                              ;   in Loop: Header=BB190_4 Depth=1
	s_or_b64 exec, exec, s[68:69]
.LBB190_3:                              ;   in Loop: Header=BB190_4 Depth=1
	s_add_i32 s7, s7, s24
	s_cmp_ge_u32 s7, s33
	s_cbranch_scc1 .LBB190_98
.LBB190_4:                              ; =>This Loop Header: Depth=1
                                        ;     Child Loop BB190_8 Depth 2
                                        ;       Child Loop BB190_9 Depth 3
                                        ;     Child Loop BB190_16 Depth 2
                                        ;       Child Loop BB190_17 Depth 3
	;; [unrolled: 2-line block ×12, first 2 shown]
	s_mul_i32 s44, s11, s7
	s_mul_hi_u32 s45, s10, s7
	s_add_i32 s84, s45, s44
	s_mul_i32 s44, s15, s7
	s_mul_hi_u32 s45, s14, s7
	s_add_i32 s50, s45, s44
	s_mul_i32 s44, s59, s7
	s_mul_hi_u32 s54, s58, s7
	s_mul_i32 s85, s10, s7
	s_add_i32 s54, s54, s44
	s_add_u32 s68, s8, s85
	s_mul_i32 s51, s14, s7
	s_addc_u32 s69, s9, s84
	s_add_u32 s70, s12, s51
	s_mul_i32 s44, s7, s23
	s_mul_hi_u32 s45, s7, s22
	s_addc_u32 s71, s13, s50
	s_add_i32 s45, s45, s44
	s_mul_i32 s44, s7, s22
	s_lshl_b64 s[44:45], s[44:45], 4
	s_add_u32 s52, s6, s44
	s_mul_i32 s55, s58, s7
	s_addc_u32 s53, s25, s45
	s_andn2_b64 vcc, exec, s[16:17]
	s_mov_b64 s[72:73], -1
	s_cbranch_vccnz .LBB190_11
; %bb.5:                                ;   in Loop: Header=BB190_4 Depth=1
	s_and_saveexec_b64 s[72:73], s[0:1]
	s_cbranch_execz .LBB190_10
; %bb.6:                                ;   in Loop: Header=BB190_4 Depth=1
	s_lshl_b64 s[44:45], s[26:27], 4
	v_mov_b32_e32 v0, s54
	v_add_co_u32_e32 v6, vcc, s55, v18
	s_add_u32 s48, s52, s44
	v_addc_co_u32_e32 v7, vcc, v19, v0, vcc
	s_addc_u32 s49, s53, s45
	s_mov_b64 s[74:75], 0
	v_mov_b32_e32 v5, s53
	v_mov_b32_e32 v12, v4
	s_branch .LBB190_8
.LBB190_7:                              ;   in Loop: Header=BB190_8 Depth=2
	v_mov_b32_e32 v10, s49
	v_add_co_u32_e32 v8, vcc, s48, v8
	v_addc_co_u32_e32 v9, vcc, v10, v9, vcc
	v_add_u32_e32 v12, s4, v12
	v_cmp_le_i32_e32 vcc, s86, v12
	s_waitcnt vmcnt(0)
	global_store_dwordx4 v[8:9], v[0:3], off offset:-16
	s_or_b64 s[74:75], vcc, s[74:75]
	v_mov_b32_e32 v0, s61
	v_add_co_u32_e32 v6, vcc, s60, v6
	v_addc_co_u32_e32 v7, vcc, v7, v0, vcc
	s_andn2_b64 exec, exec, s[74:75]
	s_cbranch_execz .LBB190_10
.LBB190_8:                              ;   Parent Loop BB190_4 Depth=1
                                        ; =>  This Loop Header: Depth=2
                                        ;       Child Loop BB190_9 Depth 3
	v_mad_i64_i32 v[0:1], s[44:45], v12, s20, 0
	v_lshlrev_b64 v[8:9], 4, v[0:1]
	v_add_co_u32_e32 v0, vcc, s52, v8
	v_addc_co_u32_e32 v1, vcc, v5, v9, vcc
	global_load_dwordx4 v[0:3], v[0:1], off
	s_andn2_b64 vcc, exec, s[30:31]
	v_pk_mov_b32 v[10:11], v[6:7], v[6:7] op_sel:[0,1]
	s_mov_b64 s[76:77], s[68:69]
	s_mov_b64 s[78:79], s[70:71]
	s_mov_b32 s44, s56
	s_cbranch_vccnz .LBB190_7
.LBB190_9:                              ;   Parent Loop BB190_4 Depth=1
                                        ;     Parent Loop BB190_8 Depth=2
                                        ; =>    This Inner Loop Header: Depth=3
	global_load_dwordx2 v[46:47], v40, s[78:79]
	global_load_dwordx4 v[14:17], v[10:11], off offset:-8
	global_load_dwordx2 v[48:49], v40, s[76:77]
	s_add_i32 s44, s44, -1
	s_add_u32 s78, s78, 8
	s_addc_u32 s79, s79, 0
	s_add_u32 s76, s76, 8
	s_addc_u32 s77, s77, 0
	s_cmp_eq_u32 s44, 0
	s_waitcnt vmcnt(2)
	v_mul_f64 v[50:51], v[0:1], v[46:47]
	s_waitcnt vmcnt(1)
	v_mul_f64 v[42:43], v[46:47], v[14:15]
	v_mul_f64 v[44:45], v[46:47], v[16:17]
	s_waitcnt vmcnt(0)
	v_fmac_f64_e32 v[42:43], v[0:1], v[48:49]
	v_fmac_f64_e32 v[44:45], v[2:3], v[48:49]
	v_mul_f64 v[46:47], v[2:3], v[46:47]
	global_store_dwordx4 v[10:11], v[42:45], off offset:-24
	v_add_co_u32_e32 v10, vcc, 16, v10
	v_fma_f64 v[0:1], v[48:49], v[14:15], -v[50:51]
	v_fma_f64 v[2:3], v[48:49], v[16:17], -v[46:47]
	v_addc_co_u32_e32 v11, vcc, 0, v11, vcc
	s_cbranch_scc0 .LBB190_9
	s_branch .LBB190_7
.LBB190_10:                             ;   in Loop: Header=BB190_4 Depth=1
	s_or_b64 exec, exec, s[72:73]
	s_mov_b64 s[72:73], 0
.LBB190_11:                             ;   in Loop: Header=BB190_4 Depth=1
	s_andn2_b64 vcc, exec, s[72:73]
	s_cbranch_vccnz .LBB190_3
; %bb.12:                               ;   in Loop: Header=BB190_4 Depth=1
	s_add_u32 s72, s87, s85
	s_addc_u32 s73, s88, s84
	s_add_u32 s74, s89, s51
	s_addc_u32 s75, s90, s50
	s_andn2_b64 vcc, exec, s[28:29]
	s_mov_b64 s[76:77], -1
	s_cbranch_vccnz .LBB190_19
; %bb.13:                               ;   in Loop: Header=BB190_4 Depth=1
	s_and_saveexec_b64 s[76:77], s[0:1]
	s_cbranch_execz .LBB190_18
; %bb.14:                               ;   in Loop: Header=BB190_4 Depth=1
	s_lshl_b64 s[44:45], s[26:27], 4
	v_mov_b32_e32 v0, s54
	v_add_co_u32_e32 v6, vcc, s55, v20
	s_add_u32 s48, s52, s44
	v_addc_co_u32_e32 v7, vcc, v21, v0, vcc
	s_addc_u32 s49, s53, s45
	s_mov_b64 s[78:79], 0
	v_mov_b32_e32 v5, v4
	s_branch .LBB190_16
.LBB190_15:                             ;   in Loop: Header=BB190_16 Depth=2
	v_mov_b32_e32 v10, s53
	v_add_co_u32_e32 v8, vcc, s52, v8
	v_addc_co_u32_e32 v9, vcc, v10, v9, vcc
	v_add_u32_e32 v5, s4, v5
	v_cmp_le_i32_e32 vcc, s86, v5
	s_waitcnt vmcnt(0)
	global_store_dwordx4 v[8:9], v[0:3], off
	s_or_b64 s[78:79], vcc, s[78:79]
	v_mov_b32_e32 v0, s61
	v_add_co_u32_e32 v6, vcc, s60, v6
	v_addc_co_u32_e32 v7, vcc, v7, v0, vcc
	s_andn2_b64 exec, exec, s[78:79]
	s_cbranch_execz .LBB190_18
.LBB190_16:                             ;   Parent Loop BB190_4 Depth=1
                                        ; =>  This Loop Header: Depth=2
                                        ;       Child Loop BB190_17 Depth 3
	v_mad_i64_i32 v[0:1], s[44:45], v5, s20, 0
	v_lshlrev_b64 v[8:9], 4, v[0:1]
	v_mov_b32_e32 v1, s49
	v_add_co_u32_e32 v0, vcc, s48, v8
	v_addc_co_u32_e32 v1, vcc, v1, v9, vcc
	global_load_dwordx4 v[0:3], v[0:1], off offset:-16
	s_andn2_b64 vcc, exec, s[30:31]
	v_pk_mov_b32 v[10:11], v[6:7], v[6:7] op_sel:[0,1]
	s_mov_b64 s[80:81], s[74:75]
	s_mov_b64 s[82:83], s[72:73]
	s_mov_b32 s44, s56
	s_cbranch_vccnz .LBB190_15
.LBB190_17:                             ;   Parent Loop BB190_4 Depth=1
                                        ;     Parent Loop BB190_16 Depth=2
                                        ; =>    This Inner Loop Header: Depth=3
	global_load_dwordx4 v[12:15], v[10:11], off
	global_load_dwordx2 v[16:17], v40, s[80:81]
	global_load_dwordx2 v[42:43], v40, s[82:83]
	s_add_i32 s44, s44, -1
	s_add_u32 s82, s82, -8
	s_waitcnt vmcnt(3)
	v_pk_mov_b32 v[44:45], v[2:3], v[2:3] op_sel:[0,1]
	v_pk_mov_b32 v[46:47], v[0:1], v[0:1] op_sel:[0,1]
	s_addc_u32 s83, s83, -1
	s_add_u32 s80, s80, -8
	s_addc_u32 s81, s81, -1
	s_cmp_eq_u32 s44, 0
	s_waitcnt vmcnt(1)
	v_mul_f64 v[48:49], v[16:17], v[12:13]
	v_mul_f64 v[50:51], v[16:17], v[14:15]
	s_waitcnt vmcnt(0)
	v_mul_f64 v[0:1], v[42:43], v[12:13]
	v_mul_f64 v[2:3], v[42:43], v[14:15]
	v_fma_f64 v[12:13], v[46:47], v[42:43], -v[48:49]
	v_fma_f64 v[14:15], v[44:45], v[42:43], -v[50:51]
	global_store_dwordx4 v[10:11], v[12:15], off offset:16
	v_add_co_u32_e32 v10, vcc, -16, v10
	v_fmac_f64_e32 v[0:1], v[46:47], v[16:17]
	v_fmac_f64_e32 v[2:3], v[44:45], v[16:17]
	v_addc_co_u32_e32 v11, vcc, -1, v11, vcc
	s_cbranch_scc0 .LBB190_17
	s_branch .LBB190_15
.LBB190_18:                             ;   in Loop: Header=BB190_4 Depth=1
	s_or_b64 exec, exec, s[76:77]
	s_mov_b64 s[76:77], 0
.LBB190_19:                             ;   in Loop: Header=BB190_4 Depth=1
	s_andn2_b64 vcc, exec, s[76:77]
	s_cbranch_vccnz .LBB190_3
; %bb.20:                               ;   in Loop: Header=BB190_4 Depth=1
	s_andn2_b64 vcc, exec, s[34:35]
	s_mov_b64 s[76:77], -1
	s_cbranch_vccnz .LBB190_27
; %bb.21:                               ;   in Loop: Header=BB190_4 Depth=1
	s_and_saveexec_b64 s[76:77], s[0:1]
	s_cbranch_execz .LBB190_26
; %bb.22:                               ;   in Loop: Header=BB190_4 Depth=1
	v_mov_b32_e32 v0, s54
	v_add_co_u32_e32 v6, vcc, s55, v22
	v_addc_co_u32_e32 v7, vcc, v23, v0, vcc
	s_mov_b64 s[78:79], 0
	v_mov_b32_e32 v5, v4
	s_branch .LBB190_24
.LBB190_23:                             ;   in Loop: Header=BB190_24 Depth=2
	v_add_u32_e32 v5, s4, v5
	v_cmp_le_i32_e32 vcc, s86, v5
	s_waitcnt vmcnt(0)
	global_store_dwordx4 v[8:9], v[0:3], off
	s_or_b64 s[78:79], vcc, s[78:79]
	v_mov_b32_e32 v0, s61
	v_add_co_u32_e32 v6, vcc, s60, v6
	v_addc_co_u32_e32 v7, vcc, v7, v0, vcc
	s_andn2_b64 exec, exec, s[78:79]
	s_cbranch_execz .LBB190_26
.LBB190_24:                             ;   Parent Loop BB190_4 Depth=1
                                        ; =>  This Loop Header: Depth=2
                                        ;       Child Loop BB190_25 Depth 3
	v_mad_i64_i32 v[0:1], s[44:45], v5, s20, 0
	v_lshlrev_b64 v[0:1], 4, v[0:1]
	v_mov_b32_e32 v2, s53
	v_add_co_u32_e32 v8, vcc, s52, v0
	v_addc_co_u32_e32 v9, vcc, v2, v1, vcc
	global_load_dwordx4 v[0:3], v[8:9], off
	s_andn2_b64 vcc, exec, s[30:31]
	v_pk_mov_b32 v[10:11], v[6:7], v[6:7] op_sel:[0,1]
	s_mov_b32 s48, s56
	s_mov_b64 s[80:81], s[68:69]
	s_mov_b64 s[82:83], s[70:71]
	s_cbranch_vccnz .LBB190_23
.LBB190_25:                             ;   Parent Loop BB190_4 Depth=1
                                        ;     Parent Loop BB190_24 Depth=2
                                        ; =>    This Inner Loop Header: Depth=3
	global_load_dwordx2 v[16:17], v40, s[82:83]
	global_load_dwordx4 v[12:15], v[10:11], off
	global_load_dwordx2 v[42:43], v40, s[80:81]
	s_waitcnt vmcnt(3)
	v_pk_mov_b32 v[44:45], v[2:3], v[2:3] op_sel:[0,1]
	v_pk_mov_b32 v[46:47], v[0:1], v[0:1] op_sel:[0,1]
	s_add_u32 s82, s82, 8
	s_addc_u32 s83, s83, 0
	s_add_u32 s80, s80, 8
	s_addc_u32 s81, s81, 0
	s_add_i32 s48, s48, -1
	s_cmp_eq_u32 s48, 0
	s_waitcnt vmcnt(2)
	v_mul_f64 v[48:49], v[46:47], v[16:17]
	v_mul_f64 v[50:51], v[44:45], v[16:17]
	s_waitcnt vmcnt(1)
	v_mul_f64 v[0:1], v[16:17], v[12:13]
	v_mul_f64 v[2:3], v[16:17], v[14:15]
	s_waitcnt vmcnt(0)
	v_fma_f64 v[12:13], v[42:43], v[12:13], -v[48:49]
	v_fma_f64 v[14:15], v[42:43], v[14:15], -v[50:51]
	global_store_dwordx4 v[10:11], v[12:15], off
	v_add_co_u32_e32 v10, vcc, 16, v10
	v_fmac_f64_e32 v[0:1], v[46:47], v[42:43]
	v_fmac_f64_e32 v[2:3], v[44:45], v[42:43]
	v_addc_co_u32_e32 v11, vcc, 0, v11, vcc
	s_cbranch_scc0 .LBB190_25
	s_branch .LBB190_23
.LBB190_26:                             ;   in Loop: Header=BB190_4 Depth=1
	s_or_b64 exec, exec, s[76:77]
	s_mov_b64 s[76:77], 0
.LBB190_27:                             ;   in Loop: Header=BB190_4 Depth=1
	s_andn2_b64 vcc, exec, s[76:77]
	s_cbranch_vccnz .LBB190_3
; %bb.28:                               ;   in Loop: Header=BB190_4 Depth=1
	s_andn2_b64 vcc, exec, s[36:37]
	s_mov_b64 s[76:77], -1
	s_cbranch_vccnz .LBB190_35
; %bb.29:                               ;   in Loop: Header=BB190_4 Depth=1
	s_and_saveexec_b64 s[76:77], s[0:1]
	s_cbranch_execz .LBB190_34
; %bb.30:                               ;   in Loop: Header=BB190_4 Depth=1
	v_mov_b32_e32 v0, s54
	v_add_co_u32_e32 v6, vcc, s55, v26
	v_addc_co_u32_e32 v7, vcc, v27, v0, vcc
	s_mov_b64 s[78:79], 0
	v_mov_b32_e32 v5, v4
	s_branch .LBB190_32
.LBB190_31:                             ;   in Loop: Header=BB190_32 Depth=2
	v_add_u32_e32 v5, s4, v5
	v_cmp_le_i32_e32 vcc, s86, v5
	s_waitcnt vmcnt(0)
	global_store_dwordx4 v[8:9], v[0:3], off
	s_or_b64 s[78:79], vcc, s[78:79]
	v_mov_b32_e32 v0, s61
	v_add_co_u32_e32 v6, vcc, s60, v6
	v_addc_co_u32_e32 v7, vcc, v7, v0, vcc
	s_andn2_b64 exec, exec, s[78:79]
	s_cbranch_execz .LBB190_34
.LBB190_32:                             ;   Parent Loop BB190_4 Depth=1
                                        ; =>  This Loop Header: Depth=2
                                        ;       Child Loop BB190_33 Depth 3
	v_mad_i64_i32 v[0:1], s[44:45], v5, s20, 0
	v_lshlrev_b64 v[0:1], 4, v[0:1]
	v_mov_b32_e32 v2, s53
	v_add_co_u32_e32 v8, vcc, s52, v0
	v_addc_co_u32_e32 v9, vcc, v2, v1, vcc
	global_load_dwordx4 v[0:3], v[8:9], off
	s_andn2_b64 vcc, exec, s[30:31]
	v_pk_mov_b32 v[10:11], v[6:7], v[6:7] op_sel:[0,1]
	s_mov_b64 s[80:81], s[74:75]
	s_mov_b64 s[82:83], s[72:73]
	s_mov_b32 s44, s91
	s_cbranch_vccnz .LBB190_31
.LBB190_33:                             ;   Parent Loop BB190_4 Depth=1
                                        ;     Parent Loop BB190_32 Depth=2
                                        ; =>    This Inner Loop Header: Depth=3
	global_load_dwordx2 v[16:17], v40, s[80:81]
	global_load_dwordx4 v[12:15], v[10:11], off offset:-8
	global_load_dwordx2 v[42:43], v40, s[82:83]
	s_add_i32 s44, s44, -1
	s_waitcnt vmcnt(3)
	v_pk_mov_b32 v[44:45], v[2:3], v[2:3] op_sel:[0,1]
	v_pk_mov_b32 v[46:47], v[0:1], v[0:1] op_sel:[0,1]
	s_add_u32 s82, s82, -8
	s_addc_u32 s83, s83, -1
	s_add_u32 s80, s80, -8
	s_addc_u32 s81, s81, -1
	s_cmp_lt_u32 s44, 3
	s_waitcnt vmcnt(2)
	v_mul_f64 v[48:49], v[46:47], v[16:17]
	v_mul_f64 v[50:51], v[44:45], v[16:17]
	s_waitcnt vmcnt(1)
	v_mul_f64 v[0:1], v[16:17], v[12:13]
	v_mul_f64 v[2:3], v[16:17], v[14:15]
	s_waitcnt vmcnt(0)
	v_fma_f64 v[12:13], v[42:43], v[12:13], -v[48:49]
	v_fma_f64 v[14:15], v[42:43], v[14:15], -v[50:51]
	global_store_dwordx4 v[10:11], v[12:15], off offset:-8
	v_add_co_u32_e32 v10, vcc, -16, v10
	v_fmac_f64_e32 v[0:1], v[46:47], v[42:43]
	v_fmac_f64_e32 v[2:3], v[44:45], v[42:43]
	v_addc_co_u32_e32 v11, vcc, -1, v11, vcc
	s_cbranch_scc0 .LBB190_33
	s_branch .LBB190_31
.LBB190_34:                             ;   in Loop: Header=BB190_4 Depth=1
	s_or_b64 exec, exec, s[76:77]
	s_mov_b64 s[76:77], 0
.LBB190_35:                             ;   in Loop: Header=BB190_4 Depth=1
	s_andn2_b64 vcc, exec, s[76:77]
	s_cbranch_vccnz .LBB190_3
; %bb.36:                               ;   in Loop: Header=BB190_4 Depth=1
	s_andn2_b64 vcc, exec, s[38:39]
	s_mov_b64 s[76:77], -1
	s_cbranch_vccnz .LBB190_43
; %bb.37:                               ;   in Loop: Header=BB190_4 Depth=1
	s_and_saveexec_b64 s[76:77], s[0:1]
	s_cbranch_execz .LBB190_42
; %bb.38:                               ;   in Loop: Header=BB190_4 Depth=1
	s_lshl_b64 s[44:45], s[26:27], 4
	v_mov_b32_e32 v0, s54
	v_add_co_u32_e32 v6, vcc, s55, v24
	s_add_u32 s48, s52, s44
	v_addc_co_u32_e32 v7, vcc, v25, v0, vcc
	s_addc_u32 s49, s53, s45
	s_mov_b64 s[78:79], 0
	v_mov_b32_e32 v5, v4
	s_branch .LBB190_40
.LBB190_39:                             ;   in Loop: Header=BB190_40 Depth=2
	v_add_u32_e32 v5, s4, v5
	v_cmp_le_i32_e32 vcc, s86, v5
	s_waitcnt vmcnt(0)
	global_store_dwordx4 v[8:9], v[0:3], off offset:-16
	s_or_b64 s[78:79], vcc, s[78:79]
	v_mov_b32_e32 v0, s61
	v_add_co_u32_e32 v6, vcc, s60, v6
	v_addc_co_u32_e32 v7, vcc, v7, v0, vcc
	s_andn2_b64 exec, exec, s[78:79]
	s_cbranch_execz .LBB190_42
.LBB190_40:                             ;   Parent Loop BB190_4 Depth=1
                                        ; =>  This Loop Header: Depth=2
                                        ;       Child Loop BB190_41 Depth 3
	v_mad_i64_i32 v[0:1], s[44:45], v5, s20, 0
	v_lshlrev_b64 v[0:1], 4, v[0:1]
	v_mov_b32_e32 v2, s49
	v_add_co_u32_e32 v8, vcc, s48, v0
	v_addc_co_u32_e32 v9, vcc, v2, v1, vcc
	global_load_dwordx4 v[0:3], v[8:9], off offset:-16
	s_andn2_b64 vcc, exec, s[30:31]
	v_pk_mov_b32 v[10:11], v[6:7], v[6:7] op_sel:[0,1]
	s_mov_b64 s[80:81], s[70:71]
	s_mov_b64 s[82:83], s[68:69]
	s_mov_b32 s44, s56
	s_cbranch_vccnz .LBB190_39
.LBB190_41:                             ;   Parent Loop BB190_4 Depth=1
                                        ;     Parent Loop BB190_40 Depth=2
                                        ; =>    This Inner Loop Header: Depth=3
	global_load_dwordx4 v[12:15], v[10:11], off offset:-8
	global_load_dwordx2 v[16:17], v40, s[82:83]
	global_load_dwordx2 v[46:47], v40, s[80:81]
	s_add_i32 s44, s44, -1
	s_add_u32 s82, s82, 8
	s_addc_u32 s83, s83, 0
	s_add_u32 s80, s80, 8
	s_addc_u32 s81, s81, 0
	s_cmp_eq_u32 s44, 0
	s_waitcnt vmcnt(1)
	v_mul_f64 v[42:43], v[16:17], v[12:13]
	v_mul_f64 v[44:45], v[16:17], v[14:15]
	s_waitcnt vmcnt(0)
	v_fmac_f64_e32 v[42:43], v[0:1], v[46:47]
	v_fmac_f64_e32 v[44:45], v[2:3], v[46:47]
	v_mul_f64 v[12:13], v[46:47], v[12:13]
	v_mul_f64 v[14:15], v[46:47], v[14:15]
	global_store_dwordx4 v[10:11], v[42:45], off offset:-8
	v_add_co_u32_e32 v10, vcc, 16, v10
	v_fma_f64 v[0:1], v[0:1], v[16:17], -v[12:13]
	v_fma_f64 v[2:3], v[2:3], v[16:17], -v[14:15]
	v_addc_co_u32_e32 v11, vcc, 0, v11, vcc
	s_cbranch_scc0 .LBB190_41
	s_branch .LBB190_39
.LBB190_42:                             ;   in Loop: Header=BB190_4 Depth=1
	s_or_b64 exec, exec, s[76:77]
	s_mov_b64 s[76:77], 0
.LBB190_43:                             ;   in Loop: Header=BB190_4 Depth=1
	s_andn2_b64 vcc, exec, s[76:77]
	s_cbranch_vccnz .LBB190_3
; %bb.44:                               ;   in Loop: Header=BB190_4 Depth=1
	s_andn2_b64 vcc, exec, s[40:41]
	s_mov_b64 s[76:77], -1
	s_cbranch_vccnz .LBB190_51
; %bb.45:                               ;   in Loop: Header=BB190_4 Depth=1
	s_and_saveexec_b64 s[76:77], s[0:1]
	s_cbranch_execz .LBB190_50
; %bb.46:                               ;   in Loop: Header=BB190_4 Depth=1
	s_lshl_b64 s[44:45], s[26:27], 4
	v_mov_b32_e32 v0, s54
	v_add_co_u32_e32 v6, vcc, s55, v28
	s_add_u32 s48, s52, s44
	v_addc_co_u32_e32 v7, vcc, v29, v0, vcc
	s_addc_u32 s49, s53, s45
	s_mov_b64 s[78:79], 0
	v_mov_b32_e32 v5, v4
	s_branch .LBB190_48
.LBB190_47:                             ;   in Loop: Header=BB190_48 Depth=2
	v_add_u32_e32 v5, s4, v5
	v_cmp_le_i32_e32 vcc, s86, v5
	s_waitcnt vmcnt(0)
	global_store_dwordx4 v[8:9], v[0:3], off offset:-16
	s_or_b64 s[78:79], vcc, s[78:79]
	v_mov_b32_e32 v0, s61
	v_add_co_u32_e32 v6, vcc, s60, v6
	v_addc_co_u32_e32 v7, vcc, v7, v0, vcc
	s_andn2_b64 exec, exec, s[78:79]
	s_cbranch_execz .LBB190_50
.LBB190_48:                             ;   Parent Loop BB190_4 Depth=1
                                        ; =>  This Loop Header: Depth=2
                                        ;       Child Loop BB190_49 Depth 3
	v_mad_i64_i32 v[0:1], s[44:45], v5, s20, 0
	v_lshlrev_b64 v[0:1], 4, v[0:1]
	v_mov_b32_e32 v2, s49
	v_add_co_u32_e32 v8, vcc, s48, v0
	v_addc_co_u32_e32 v9, vcc, v2, v1, vcc
	global_load_dwordx4 v[0:3], v[8:9], off offset:-16
	s_andn2_b64 vcc, exec, s[30:31]
	v_pk_mov_b32 v[10:11], v[6:7], v[6:7] op_sel:[0,1]
	s_mov_b64 s[80:81], s[74:75]
	s_mov_b64 s[82:83], s[72:73]
	s_mov_b32 s44, s56
	s_cbranch_vccnz .LBB190_47
.LBB190_49:                             ;   Parent Loop BB190_4 Depth=1
                                        ;     Parent Loop BB190_48 Depth=2
                                        ; =>    This Inner Loop Header: Depth=3
	global_load_dwordx4 v[12:15], v[10:11], off offset:-8
	global_load_dwordx2 v[16:17], v40, s[82:83]
	global_load_dwordx2 v[46:47], v40, s[80:81]
	s_add_i32 s44, s44, -1
	s_add_u32 s82, s82, -8
	s_addc_u32 s83, s83, -1
	s_add_u32 s80, s80, -8
	s_addc_u32 s81, s81, -1
	s_cmp_eq_u32 s44, 0
	s_waitcnt vmcnt(1)
	v_mul_f64 v[42:43], v[16:17], v[12:13]
	v_mul_f64 v[44:45], v[16:17], v[14:15]
	s_waitcnt vmcnt(0)
	v_fmac_f64_e32 v[42:43], v[0:1], v[46:47]
	v_fmac_f64_e32 v[44:45], v[2:3], v[46:47]
	v_mul_f64 v[12:13], v[46:47], v[12:13]
	v_mul_f64 v[14:15], v[46:47], v[14:15]
	global_store_dwordx4 v[10:11], v[42:45], off offset:-8
	v_add_co_u32_e32 v10, vcc, -16, v10
	v_fma_f64 v[0:1], v[0:1], v[16:17], -v[12:13]
	v_fma_f64 v[2:3], v[2:3], v[16:17], -v[14:15]
	v_addc_co_u32_e32 v11, vcc, -1, v11, vcc
	s_cbranch_scc0 .LBB190_49
	s_branch .LBB190_47
.LBB190_50:                             ;   in Loop: Header=BB190_4 Depth=1
	s_or_b64 exec, exec, s[76:77]
	s_mov_b64 s[76:77], 0
.LBB190_51:                             ;   in Loop: Header=BB190_4 Depth=1
	s_andn2_b64 vcc, exec, s[76:77]
	s_cbranch_vccnz .LBB190_3
; %bb.52:                               ;   in Loop: Header=BB190_4 Depth=1
	v_mov_b32_e32 v0, s54
	v_add_co_u32_e32 v6, vcc, s55, v30
	v_addc_co_u32_e32 v7, vcc, v31, v0, vcc
	s_andn2_b64 vcc, exec, s[42:43]
	s_mov_b64 s[72:73], -1
	s_cbranch_vccnz .LBB190_59
; %bb.53:                               ;   in Loop: Header=BB190_4 Depth=1
	s_and_saveexec_b64 s[72:73], s[2:3]
	s_cbranch_execz .LBB190_58
; %bb.54:                               ;   in Loop: Header=BB190_4 Depth=1
	s_lshl_b64 s[44:45], s[66:67], 4
	s_add_u32 s48, s52, s44
	s_addc_u32 s49, s53, s45
	s_mov_b64 s[74:75], 0
	v_pk_mov_b32 v[8:9], v[6:7], v[6:7] op_sel:[0,1]
	v_mov_b32_e32 v10, v4
	s_branch .LBB190_56
.LBB190_55:                             ;   in Loop: Header=BB190_56 Depth=2
	v_mov_b32_e32 v5, s49
	v_add_co_u32_e32 v12, vcc, s48, v12
	v_addc_co_u32_e32 v13, vcc, v5, v13, vcc
	v_add_u32_e32 v10, s4, v10
	v_cmp_le_i32_e32 vcc, s19, v10
	s_waitcnt vmcnt(0)
	global_store_dwordx4 v[12:13], v[0:3], off
	s_or_b64 s[74:75], vcc, s[74:75]
	v_mov_b32_e32 v0, s63
	v_add_co_u32_e32 v8, vcc, s62, v8
	v_addc_co_u32_e32 v9, vcc, v9, v0, vcc
	s_andn2_b64 exec, exec, s[74:75]
	s_cbranch_execz .LBB190_58
.LBB190_56:                             ;   Parent Loop BB190_4 Depth=1
                                        ; =>  This Loop Header: Depth=2
                                        ;       Child Loop BB190_57 Depth 3
	v_ashrrev_i32_e32 v11, 31, v10
	v_lshlrev_b64 v[12:13], 4, v[10:11]
	v_mov_b32_e32 v1, s53
	v_add_co_u32_e32 v0, vcc, s52, v12
	v_addc_co_u32_e32 v1, vcc, v1, v13, vcc
	global_load_dwordx4 v[0:3], v[0:1], off
	s_andn2_b64 vcc, exec, s[46:47]
	s_mov_b64 s[76:77], s[70:71]
	s_mov_b64 s[78:79], s[68:69]
	v_pk_mov_b32 v[14:15], v[8:9], v[8:9] op_sel:[0,1]
	s_mov_b32 s44, s18
	s_cbranch_vccnz .LBB190_55
.LBB190_57:                             ;   Parent Loop BB190_4 Depth=1
                                        ;     Parent Loop BB190_56 Depth=2
                                        ; =>    This Inner Loop Header: Depth=3
	v_mov_b32_e32 v5, s65
	v_add_co_u32_e32 v50, vcc, s64, v14
	global_load_dwordx2 v[16:17], v40, s[76:77]
	v_addc_co_u32_e32 v51, vcc, v15, v5, vcc
	global_load_dwordx4 v[42:45], v[50:51], off offset:-8
	global_load_dwordx2 v[52:53], v40, s[78:79]
	s_add_i32 s44, s44, -1
	s_add_u32 s78, s78, 8
	s_addc_u32 s79, s79, 0
	s_add_u32 s76, s76, 8
	s_addc_u32 s77, s77, 0
	s_cmp_eq_u32 s44, 0
	s_waitcnt vmcnt(2)
	v_mul_f64 v[54:55], v[0:1], v[16:17]
	v_mul_f64 v[56:57], v[2:3], v[16:17]
	s_waitcnt vmcnt(1)
	v_mul_f64 v[46:47], v[16:17], v[42:43]
	v_mul_f64 v[48:49], v[16:17], v[44:45]
	s_waitcnt vmcnt(0)
	v_fmac_f64_e32 v[46:47], v[0:1], v[52:53]
	v_fmac_f64_e32 v[48:49], v[2:3], v[52:53]
	v_fma_f64 v[0:1], v[52:53], v[42:43], -v[54:55]
	v_fma_f64 v[2:3], v[52:53], v[44:45], -v[56:57]
	global_store_dwordx4 v[14:15], v[46:49], off offset:-8
	v_pk_mov_b32 v[14:15], v[50:51], v[50:51] op_sel:[0,1]
	s_cbranch_scc0 .LBB190_57
	s_branch .LBB190_55
.LBB190_58:                             ;   in Loop: Header=BB190_4 Depth=1
	s_or_b64 exec, exec, s[72:73]
	s_mov_b64 s[72:73], 0
.LBB190_59:                             ;   in Loop: Header=BB190_4 Depth=1
	s_andn2_b64 vcc, exec, s[72:73]
	s_cbranch_vccnz .LBB190_3
; %bb.60:                               ;   in Loop: Header=BB190_4 Depth=1
	s_add_u32 s72, s5, s85
	s_addc_u32 s73, s21, s84
	v_mov_b32_e32 v0, s54
	v_add_co_u32_e32 v8, vcc, s55, v34
	v_readlane_b32 s44, v41, 0
	s_add_u32 s74, s57, s51
	v_addc_co_u32_e32 v9, vcc, v35, v0, vcc
	v_readlane_b32 s45, v41, 1
	s_addc_u32 s75, s92, s50
	s_andn2_b64 vcc, exec, s[44:45]
	s_mov_b64 s[76:77], -1
	s_cbranch_vccnz .LBB190_68
; %bb.61:                               ;   in Loop: Header=BB190_4 Depth=1
	s_and_saveexec_b64 s[76:77], s[2:3]
	s_cbranch_execz .LBB190_67
; %bb.62:                               ;   in Loop: Header=BB190_4 Depth=1
	s_lshl_b64 s[44:45], s[66:67], 4
	v_mov_b32_e32 v0, s54
	v_add_co_u32_e32 v10, vcc, s55, v32
	s_add_u32 s50, s52, s44
	v_addc_co_u32_e32 v5, vcc, v33, v0, vcc
	s_addc_u32 s51, s53, s45
	s_mov_b64 s[78:79], 0
	v_pk_mov_b32 v[12:13], v[8:9], v[8:9] op_sel:[0,1]
	v_mov_b32_e32 v14, v4
	s_branch .LBB190_64
.LBB190_63:                             ;   in Loop: Header=BB190_64 Depth=2
	v_mov_b32_e32 v11, s53
	v_add_co_u32_e32 v16, vcc, s52, v16
	v_addc_co_u32_e32 v17, vcc, v11, v17, vcc
	s_waitcnt vmcnt(0)
	global_store_dwordx4 v[16:17], v[0:3], off
	v_add_co_u32_e32 v10, vcc, s62, v10
	v_mov_b32_e32 v0, s63
	v_add_u32_e32 v14, s4, v14
	v_addc_co_u32_e32 v5, vcc, v5, v0, vcc
	v_cmp_le_i32_e32 vcc, s19, v14
	s_or_b64 s[78:79], vcc, s[78:79]
	v_add_co_u32_e32 v12, vcc, s62, v12
	v_addc_co_u32_e32 v13, vcc, v13, v0, vcc
	s_andn2_b64 exec, exec, s[78:79]
	s_cbranch_execz .LBB190_67
.LBB190_64:                             ;   Parent Loop BB190_4 Depth=1
                                        ; =>  This Loop Header: Depth=2
                                        ;       Child Loop BB190_66 Depth 3
	v_ashrrev_i32_e32 v15, 31, v14
	v_lshlrev_b64 v[16:17], 4, v[14:15]
	v_mov_b32_e32 v1, s51
	v_add_co_u32_e32 v0, vcc, s50, v16
	v_addc_co_u32_e32 v1, vcc, v1, v17, vcc
	global_load_dwordx4 v[0:3], v[0:1], off
	s_andn2_b64 vcc, exec, s[46:47]
	s_cbranch_vccnz .LBB190_63
; %bb.65:                               ;   in Loop: Header=BB190_64 Depth=2
	s_mov_b64 s[80:81], 0
	s_mov_b64 s[82:83], s[74:75]
	;; [unrolled: 1-line block ×3, first 2 shown]
	s_mov_b32 s48, s18
.LBB190_66:                             ;   Parent Loop BB190_4 Depth=1
                                        ;     Parent Loop BB190_64 Depth=2
                                        ; =>    This Inner Loop Header: Depth=3
	v_mov_b32_e32 v11, s81
	v_add_co_u32_e32 v42, vcc, s80, v10
	v_addc_co_u32_e32 v43, vcc, v5, v11, vcc
	global_load_dwordx2 v[46:47], v40, s[84:85]
	global_load_dwordx2 v[48:49], v40, s[82:83]
	s_add_i32 s48, s48, -1
	global_load_dwordx4 v[42:45], v[42:43], off
	v_add_co_u32_e32 v54, vcc, s80, v12
	s_sub_u32 s80, s80, s64
	s_subb_u32 s81, s81, s65
	s_add_u32 s84, s84, -8
	s_addc_u32 s85, s85, -1
	s_add_u32 s82, s82, -8
	s_waitcnt vmcnt(3)
	v_pk_mov_b32 v[50:51], v[2:3], v[2:3] op_sel:[0,1]
	v_pk_mov_b32 v[52:53], v[0:1], v[0:1] op_sel:[0,1]
	s_addc_u32 s83, s83, -1
	v_addc_co_u32_e32 v55, vcc, v13, v11, vcc
	s_cmp_eq_u32 s48, 0
	s_waitcnt vmcnt(0)
	v_mul_f64 v[56:57], v[48:49], v[42:43]
	v_mul_f64 v[58:59], v[48:49], v[44:45]
	;; [unrolled: 1-line block ×4, first 2 shown]
	v_fma_f64 v[42:43], v[52:53], v[46:47], -v[56:57]
	v_fma_f64 v[44:45], v[50:51], v[46:47], -v[58:59]
	v_fmac_f64_e32 v[0:1], v[52:53], v[48:49]
	v_fmac_f64_e32 v[2:3], v[50:51], v[48:49]
	global_store_dwordx4 v[54:55], v[42:45], off offset:-8
	s_cbranch_scc0 .LBB190_66
	s_branch .LBB190_63
.LBB190_67:                             ;   in Loop: Header=BB190_4 Depth=1
	s_or_b64 exec, exec, s[76:77]
	s_mov_b64 s[76:77], 0
.LBB190_68:                             ;   in Loop: Header=BB190_4 Depth=1
	s_andn2_b64 vcc, exec, s[76:77]
	s_cbranch_vccnz .LBB190_3
; %bb.69:                               ;   in Loop: Header=BB190_4 Depth=1
	v_readlane_b32 s44, v41, 2
	v_readlane_b32 s45, v41, 3
	s_andn2_b64 vcc, exec, s[44:45]
	s_mov_b64 s[76:77], -1
	s_cbranch_vccnz .LBB190_76
; %bb.70:                               ;   in Loop: Header=BB190_4 Depth=1
	s_and_saveexec_b64 s[76:77], s[2:3]
	s_cbranch_execz .LBB190_75
; %bb.71:                               ;   in Loop: Header=BB190_4 Depth=1
	v_mov_b32_e32 v0, s54
	v_add_co_u32_e32 v10, vcc, s55, v36
	v_addc_co_u32_e32 v11, vcc, v37, v0, vcc
	s_mov_b64 s[78:79], 0
	v_mov_b32_e32 v12, v4
	s_branch .LBB190_73
.LBB190_72:                             ;   in Loop: Header=BB190_73 Depth=2
	v_add_u32_e32 v12, s4, v12
	v_cmp_le_i32_e32 vcc, s19, v12
	s_waitcnt vmcnt(0)
	global_store_dwordx4 v[14:15], v[0:3], off
	s_or_b64 s[78:79], vcc, s[78:79]
	v_mov_b32_e32 v0, s63
	v_add_co_u32_e32 v10, vcc, s62, v10
	v_addc_co_u32_e32 v11, vcc, v11, v0, vcc
	s_andn2_b64 exec, exec, s[78:79]
	s_cbranch_execz .LBB190_75
.LBB190_73:                             ;   Parent Loop BB190_4 Depth=1
                                        ; =>  This Loop Header: Depth=2
                                        ;       Child Loop BB190_74 Depth 3
	v_ashrrev_i32_e32 v13, 31, v12
	v_lshlrev_b64 v[0:1], 4, v[12:13]
	v_mov_b32_e32 v2, s53
	v_add_co_u32_e32 v14, vcc, s52, v0
	v_addc_co_u32_e32 v15, vcc, v2, v1, vcc
	global_load_dwordx4 v[0:3], v[14:15], off
	s_andn2_b64 vcc, exec, s[46:47]
	v_pk_mov_b32 v[16:17], v[10:11], v[10:11] op_sel:[0,1]
	s_mov_b32 s48, s18
	s_mov_b64 s[80:81], s[68:69]
	s_mov_b64 s[82:83], s[70:71]
	s_cbranch_vccnz .LBB190_72
.LBB190_74:                             ;   Parent Loop BB190_4 Depth=1
                                        ;     Parent Loop BB190_73 Depth=2
                                        ; =>    This Inner Loop Header: Depth=3
	global_load_dwordx2 v[46:47], v40, s[82:83]
	global_load_dwordx4 v[42:45], v[16:17], off offset:-8
	global_load_dwordx2 v[48:49], v40, s[80:81]
	s_waitcnt vmcnt(3)
	v_pk_mov_b32 v[50:51], v[2:3], v[2:3] op_sel:[0,1]
	v_pk_mov_b32 v[52:53], v[0:1], v[0:1] op_sel:[0,1]
	s_add_u32 s82, s82, 8
	s_addc_u32 s83, s83, 0
	s_add_u32 s80, s80, 8
	v_mov_b32_e32 v5, s65
	s_addc_u32 s81, s81, 0
	s_add_i32 s48, s48, -1
	s_cmp_eq_u32 s48, 0
	s_waitcnt vmcnt(2)
	v_mul_f64 v[54:55], v[52:53], v[46:47]
	v_mul_f64 v[56:57], v[50:51], v[46:47]
	s_waitcnt vmcnt(1)
	v_mul_f64 v[0:1], v[46:47], v[42:43]
	v_mul_f64 v[2:3], v[46:47], v[44:45]
	s_waitcnt vmcnt(0)
	v_fma_f64 v[42:43], v[48:49], v[42:43], -v[54:55]
	v_fma_f64 v[44:45], v[48:49], v[44:45], -v[56:57]
	global_store_dwordx4 v[16:17], v[42:45], off offset:-8
	v_add_co_u32_e32 v16, vcc, s64, v16
	v_fmac_f64_e32 v[0:1], v[52:53], v[48:49]
	v_fmac_f64_e32 v[2:3], v[50:51], v[48:49]
	v_addc_co_u32_e32 v17, vcc, v17, v5, vcc
	s_cbranch_scc0 .LBB190_74
	s_branch .LBB190_72
.LBB190_75:                             ;   in Loop: Header=BB190_4 Depth=1
	s_or_b64 exec, exec, s[76:77]
	s_mov_b64 s[76:77], 0
.LBB190_76:                             ;   in Loop: Header=BB190_4 Depth=1
	s_andn2_b64 vcc, exec, s[76:77]
	s_cbranch_vccnz .LBB190_3
; %bb.77:                               ;   in Loop: Header=BB190_4 Depth=1
	v_readlane_b32 s44, v41, 4
	v_readlane_b32 s45, v41, 5
	s_andn2_b64 vcc, exec, s[44:45]
	s_mov_b64 s[76:77], -1
	s_cbranch_vccnz .LBB190_84
; %bb.78:                               ;   in Loop: Header=BB190_4 Depth=1
	s_and_saveexec_b64 s[76:77], s[2:3]
	s_cbranch_execz .LBB190_83
; %bb.79:                               ;   in Loop: Header=BB190_4 Depth=1
	s_mov_b64 s[78:79], 0
	v_mov_b32_e32 v10, v4
	s_branch .LBB190_81
.LBB190_80:                             ;   in Loop: Header=BB190_81 Depth=2
	v_add_u32_e32 v10, s4, v10
	v_cmp_le_i32_e32 vcc, s19, v10
	s_waitcnt vmcnt(0)
	global_store_dwordx4 v[12:13], v[0:3], off
	s_or_b64 s[78:79], vcc, s[78:79]
	v_mov_b32_e32 v0, s63
	v_add_co_u32_e32 v8, vcc, s62, v8
	v_addc_co_u32_e32 v9, vcc, v9, v0, vcc
	s_andn2_b64 exec, exec, s[78:79]
	s_cbranch_execz .LBB190_83
.LBB190_81:                             ;   Parent Loop BB190_4 Depth=1
                                        ; =>  This Loop Header: Depth=2
                                        ;       Child Loop BB190_82 Depth 3
	v_ashrrev_i32_e32 v11, 31, v10
	v_lshlrev_b64 v[0:1], 4, v[10:11]
	v_mov_b32_e32 v2, s53
	v_add_co_u32_e32 v12, vcc, s52, v0
	v_addc_co_u32_e32 v13, vcc, v2, v1, vcc
	global_load_dwordx4 v[0:3], v[12:13], off
	s_andn2_b64 vcc, exec, s[46:47]
	v_pk_mov_b32 v[14:15], v[8:9], v[8:9] op_sel:[0,1]
	s_mov_b64 s[80:81], s[74:75]
	s_mov_b64 s[82:83], s[72:73]
	s_mov_b32 s48, s93
	s_cbranch_vccnz .LBB190_80
.LBB190_82:                             ;   Parent Loop BB190_4 Depth=1
                                        ;     Parent Loop BB190_81 Depth=2
                                        ; =>    This Inner Loop Header: Depth=3
	global_load_dwordx2 v[16:17], v40, s[80:81]
	global_load_dwordx4 v[42:45], v[14:15], off offset:-8
	global_load_dwordx2 v[46:47], v40, s[82:83]
	s_add_i32 s48, s48, -1
	s_waitcnt vmcnt(3)
	v_pk_mov_b32 v[48:49], v[2:3], v[2:3] op_sel:[0,1]
	v_pk_mov_b32 v[50:51], v[0:1], v[0:1] op_sel:[0,1]
	s_add_u32 s82, s82, -8
	s_addc_u32 s83, s83, -1
	s_add_u32 s80, s80, -8
	v_mov_b32_e32 v5, s95
	s_addc_u32 s81, s81, -1
	s_cmp_lt_u32 s48, 3
	s_waitcnt vmcnt(2)
	v_mul_f64 v[52:53], v[50:51], v[16:17]
	v_mul_f64 v[54:55], v[48:49], v[16:17]
	s_waitcnt vmcnt(1)
	v_mul_f64 v[0:1], v[16:17], v[42:43]
	v_mul_f64 v[2:3], v[16:17], v[44:45]
	s_waitcnt vmcnt(0)
	v_fma_f64 v[42:43], v[46:47], v[42:43], -v[52:53]
	v_fma_f64 v[44:45], v[46:47], v[44:45], -v[54:55]
	global_store_dwordx4 v[14:15], v[42:45], off offset:-8
	v_add_co_u32_e32 v14, vcc, s94, v14
	v_fmac_f64_e32 v[0:1], v[50:51], v[46:47]
	v_fmac_f64_e32 v[2:3], v[48:49], v[46:47]
	v_addc_co_u32_e32 v15, vcc, v15, v5, vcc
	s_cbranch_scc0 .LBB190_82
	s_branch .LBB190_80
.LBB190_83:                             ;   in Loop: Header=BB190_4 Depth=1
	s_or_b64 exec, exec, s[76:77]
	s_mov_b64 s[76:77], 0
.LBB190_84:                             ;   in Loop: Header=BB190_4 Depth=1
	s_andn2_b64 vcc, exec, s[76:77]
	s_cbranch_vccnz .LBB190_3
; %bb.85:                               ;   in Loop: Header=BB190_4 Depth=1
	v_readlane_b32 s44, v41, 6
	v_readlane_b32 s45, v41, 7
	s_andn2_b64 vcc, exec, s[44:45]
	s_mov_b64 s[76:77], -1
	s_cbranch_vccnz .LBB190_92
; %bb.86:                               ;   in Loop: Header=BB190_4 Depth=1
	s_and_saveexec_b64 s[76:77], s[2:3]
	s_cbranch_execz .LBB190_91
; %bb.87:                               ;   in Loop: Header=BB190_4 Depth=1
	s_lshl_b64 s[44:45], s[66:67], 4
	s_add_u32 s48, s52, s44
	s_addc_u32 s49, s53, s45
	s_mov_b64 s[78:79], 0
	v_mov_b32_e32 v8, v4
	s_branch .LBB190_89
.LBB190_88:                             ;   in Loop: Header=BB190_89 Depth=2
	v_add_u32_e32 v8, s4, v8
	v_cmp_le_i32_e32 vcc, s19, v8
	s_waitcnt vmcnt(0)
	global_store_dwordx4 v[10:11], v[0:3], off
	s_or_b64 s[78:79], vcc, s[78:79]
	v_mov_b32_e32 v0, s63
	v_add_co_u32_e32 v6, vcc, s62, v6
	v_addc_co_u32_e32 v7, vcc, v7, v0, vcc
	s_andn2_b64 exec, exec, s[78:79]
	s_cbranch_execz .LBB190_91
.LBB190_89:                             ;   Parent Loop BB190_4 Depth=1
                                        ; =>  This Loop Header: Depth=2
                                        ;       Child Loop BB190_90 Depth 3
	v_ashrrev_i32_e32 v9, 31, v8
	v_lshlrev_b64 v[0:1], 4, v[8:9]
	v_mov_b32_e32 v2, s49
	v_add_co_u32_e32 v10, vcc, s48, v0
	v_addc_co_u32_e32 v11, vcc, v2, v1, vcc
	global_load_dwordx4 v[0:3], v[10:11], off
	s_andn2_b64 vcc, exec, s[46:47]
	v_pk_mov_b32 v[12:13], v[6:7], v[6:7] op_sel:[0,1]
	s_mov_b64 s[80:81], s[70:71]
	s_mov_b64 s[82:83], s[68:69]
	s_mov_b32 s50, s18
	s_cbranch_vccnz .LBB190_88
.LBB190_90:                             ;   Parent Loop BB190_4 Depth=1
                                        ;     Parent Loop BB190_89 Depth=2
                                        ; =>    This Inner Loop Header: Depth=3
	global_load_dwordx4 v[14:17], v[12:13], off offset:-8
	global_load_dwordx2 v[46:47], v40, s[82:83]
	global_load_dwordx2 v[48:49], v40, s[80:81]
	s_add_i32 s50, s50, -1
	s_add_u32 s82, s82, 8
	s_addc_u32 s83, s83, 0
	s_add_u32 s80, s80, 8
	v_mov_b32_e32 v5, s65
	s_addc_u32 s81, s81, 0
	s_cmp_eq_u32 s50, 0
	s_waitcnt vmcnt(1)
	v_mul_f64 v[42:43], v[46:47], v[14:15]
	v_mul_f64 v[44:45], v[46:47], v[16:17]
	s_waitcnt vmcnt(0)
	v_fmac_f64_e32 v[42:43], v[0:1], v[48:49]
	v_fmac_f64_e32 v[44:45], v[2:3], v[48:49]
	v_mul_f64 v[14:15], v[48:49], v[14:15]
	v_mul_f64 v[16:17], v[48:49], v[16:17]
	global_store_dwordx4 v[12:13], v[42:45], off offset:-8
	v_add_co_u32_e32 v12, vcc, s64, v12
	v_fma_f64 v[0:1], v[0:1], v[46:47], -v[14:15]
	v_fma_f64 v[2:3], v[2:3], v[46:47], -v[16:17]
	v_addc_co_u32_e32 v13, vcc, v13, v5, vcc
	s_cbranch_scc0 .LBB190_90
	s_branch .LBB190_88
.LBB190_91:                             ;   in Loop: Header=BB190_4 Depth=1
	s_or_b64 exec, exec, s[76:77]
	s_mov_b64 s[76:77], 0
.LBB190_92:                             ;   in Loop: Header=BB190_4 Depth=1
	s_andn2_b64 vcc, exec, s[76:77]
	s_cbranch_vccnz .LBB190_3
; %bb.93:                               ;   in Loop: Header=BB190_4 Depth=1
	s_mov_b64 s[68:69], exec
	v_readlane_b32 s44, v41, 8
	v_readlane_b32 s45, v41, 9
	s_and_b64 s[44:45], s[68:69], s[44:45]
	s_mov_b64 exec, s[44:45]
	s_cbranch_execz .LBB190_2
; %bb.94:                               ;   in Loop: Header=BB190_4 Depth=1
	s_lshl_b64 s[44:45], s[66:67], 4
	v_mov_b32_e32 v0, s54
	v_add_co_u32_e32 v6, vcc, s55, v38
	s_add_u32 s48, s52, s44
	v_addc_co_u32_e32 v7, vcc, v39, v0, vcc
	s_addc_u32 s49, s53, s45
	s_mov_b64 s[70:71], 0
	v_mov_b32_e32 v8, v4
	s_branch .LBB190_96
.LBB190_95:                             ;   in Loop: Header=BB190_96 Depth=2
	v_add_u32_e32 v8, s4, v8
	v_cmp_le_i32_e32 vcc, s19, v8
	s_waitcnt vmcnt(0)
	global_store_dwordx4 v[10:11], v[0:3], off
	s_or_b64 s[70:71], vcc, s[70:71]
	v_mov_b32_e32 v0, s63
	v_add_co_u32_e32 v6, vcc, s62, v6
	v_addc_co_u32_e32 v7, vcc, v7, v0, vcc
	s_andn2_b64 exec, exec, s[70:71]
	s_cbranch_execz .LBB190_2
.LBB190_96:                             ;   Parent Loop BB190_4 Depth=1
                                        ; =>  This Loop Header: Depth=2
                                        ;       Child Loop BB190_97 Depth 3
	v_ashrrev_i32_e32 v9, 31, v8
	v_lshlrev_b64 v[0:1], 4, v[8:9]
	v_mov_b32_e32 v2, s49
	v_add_co_u32_e32 v10, vcc, s48, v0
	v_addc_co_u32_e32 v11, vcc, v2, v1, vcc
	global_load_dwordx4 v[0:3], v[10:11], off
	s_andn2_b64 vcc, exec, s[46:47]
	v_pk_mov_b32 v[12:13], v[6:7], v[6:7] op_sel:[0,1]
	s_mov_b64 s[76:77], s[74:75]
	s_mov_b64 s[78:79], s[72:73]
	s_mov_b32 s50, s18
	s_cbranch_vccnz .LBB190_95
.LBB190_97:                             ;   Parent Loop BB190_4 Depth=1
                                        ;     Parent Loop BB190_96 Depth=2
                                        ; =>    This Inner Loop Header: Depth=3
	global_load_dwordx4 v[14:17], v[12:13], off offset:-8
	global_load_dwordx2 v[46:47], v40, s[78:79]
	global_load_dwordx2 v[48:49], v40, s[76:77]
	s_add_i32 s50, s50, -1
	s_add_u32 s78, s78, -8
	s_addc_u32 s79, s79, -1
	s_add_u32 s76, s76, -8
	v_mov_b32_e32 v5, s95
	s_addc_u32 s77, s77, -1
	s_cmp_eq_u32 s50, 0
	s_waitcnt vmcnt(1)
	v_mul_f64 v[42:43], v[46:47], v[14:15]
	v_mul_f64 v[44:45], v[46:47], v[16:17]
	s_waitcnt vmcnt(0)
	v_fmac_f64_e32 v[42:43], v[0:1], v[48:49]
	v_fmac_f64_e32 v[44:45], v[2:3], v[48:49]
	v_mul_f64 v[14:15], v[48:49], v[14:15]
	v_mul_f64 v[16:17], v[48:49], v[16:17]
	global_store_dwordx4 v[12:13], v[42:45], off offset:-8
	v_add_co_u32_e32 v12, vcc, s94, v12
	v_fma_f64 v[0:1], v[0:1], v[46:47], -v[14:15]
	v_fma_f64 v[2:3], v[2:3], v[46:47], -v[16:17]
	v_addc_co_u32_e32 v13, vcc, v13, v5, vcc
	s_cbranch_scc0 .LBB190_97
	s_branch .LBB190_95
.LBB190_98:
	s_endpgm
	.section	.rodata,"a",@progbits
	.p2align	6, 0x0
	.amdhsa_kernel _ZN9rocsolver6v33100L11lasr_kernelI19rocblas_complex_numIdEdPS3_iEEv13rocblas_side_14rocblas_pivot_15rocblas_direct_T2_S8_PT0_lSA_lT1_lS8_lS8_
		.amdhsa_group_segment_fixed_size 0
		.amdhsa_private_segment_fixed_size 0
		.amdhsa_kernarg_size 352
		.amdhsa_user_sgpr_count 6
		.amdhsa_user_sgpr_private_segment_buffer 1
		.amdhsa_user_sgpr_dispatch_ptr 0
		.amdhsa_user_sgpr_queue_ptr 0
		.amdhsa_user_sgpr_kernarg_segment_ptr 1
		.amdhsa_user_sgpr_dispatch_id 0
		.amdhsa_user_sgpr_flat_scratch_init 0
		.amdhsa_user_sgpr_kernarg_preload_length 0
		.amdhsa_user_sgpr_kernarg_preload_offset 0
		.amdhsa_user_sgpr_private_segment_size 0
		.amdhsa_uses_dynamic_stack 0
		.amdhsa_system_sgpr_private_segment_wavefront_offset 0
		.amdhsa_system_sgpr_workgroup_id_x 1
		.amdhsa_system_sgpr_workgroup_id_y 0
		.amdhsa_system_sgpr_workgroup_id_z 1
		.amdhsa_system_sgpr_workgroup_info 0
		.amdhsa_system_vgpr_workitem_id 0
		.amdhsa_next_free_vgpr 60
		.amdhsa_next_free_sgpr 96
		.amdhsa_accum_offset 60
		.amdhsa_reserve_vcc 1
		.amdhsa_reserve_flat_scratch 0
		.amdhsa_float_round_mode_32 0
		.amdhsa_float_round_mode_16_64 0
		.amdhsa_float_denorm_mode_32 3
		.amdhsa_float_denorm_mode_16_64 3
		.amdhsa_dx10_clamp 1
		.amdhsa_ieee_mode 1
		.amdhsa_fp16_overflow 0
		.amdhsa_tg_split 0
		.amdhsa_exception_fp_ieee_invalid_op 0
		.amdhsa_exception_fp_denorm_src 0
		.amdhsa_exception_fp_ieee_div_zero 0
		.amdhsa_exception_fp_ieee_overflow 0
		.amdhsa_exception_fp_ieee_underflow 0
		.amdhsa_exception_fp_ieee_inexact 0
		.amdhsa_exception_int_div_zero 0
	.end_amdhsa_kernel
	.section	.text._ZN9rocsolver6v33100L11lasr_kernelI19rocblas_complex_numIdEdPS3_iEEv13rocblas_side_14rocblas_pivot_15rocblas_direct_T2_S8_PT0_lSA_lT1_lS8_lS8_,"axG",@progbits,_ZN9rocsolver6v33100L11lasr_kernelI19rocblas_complex_numIdEdPS3_iEEv13rocblas_side_14rocblas_pivot_15rocblas_direct_T2_S8_PT0_lSA_lT1_lS8_lS8_,comdat
.Lfunc_end190:
	.size	_ZN9rocsolver6v33100L11lasr_kernelI19rocblas_complex_numIdEdPS3_iEEv13rocblas_side_14rocblas_pivot_15rocblas_direct_T2_S8_PT0_lSA_lT1_lS8_lS8_, .Lfunc_end190-_ZN9rocsolver6v33100L11lasr_kernelI19rocblas_complex_numIdEdPS3_iEEv13rocblas_side_14rocblas_pivot_15rocblas_direct_T2_S8_PT0_lSA_lT1_lS8_lS8_
                                        ; -- End function
	.section	.AMDGPU.csdata,"",@progbits
; Kernel info:
; codeLenInByte = 5004
; NumSgprs: 100
; NumVgprs: 60
; NumAgprs: 0
; TotalNumVgprs: 60
; ScratchSize: 0
; MemoryBound: 0
; FloatMode: 240
; IeeeMode: 1
; LDSByteSize: 0 bytes/workgroup (compile time only)
; SGPRBlocks: 12
; VGPRBlocks: 7
; NumSGPRsForWavesPerEU: 100
; NumVGPRsForWavesPerEU: 60
; AccumOffset: 60
; Occupancy: 8
; WaveLimiterHint : 0
; COMPUTE_PGM_RSRC2:SCRATCH_EN: 0
; COMPUTE_PGM_RSRC2:USER_SGPR: 6
; COMPUTE_PGM_RSRC2:TRAP_HANDLER: 0
; COMPUTE_PGM_RSRC2:TGID_X_EN: 1
; COMPUTE_PGM_RSRC2:TGID_Y_EN: 0
; COMPUTE_PGM_RSRC2:TGID_Z_EN: 1
; COMPUTE_PGM_RSRC2:TIDIG_COMP_CNT: 0
; COMPUTE_PGM_RSRC3_GFX90A:ACCUM_OFFSET: 14
; COMPUTE_PGM_RSRC3_GFX90A:TG_SPLIT: 0
	.section	.text._ZN9rocsolver6v33100L11swap_kernelI19rocblas_complex_numIdEiEEvT0_PT_S4_S6_S4_,"axG",@progbits,_ZN9rocsolver6v33100L11swap_kernelI19rocblas_complex_numIdEiEEvT0_PT_S4_S6_S4_,comdat
	.globl	_ZN9rocsolver6v33100L11swap_kernelI19rocblas_complex_numIdEiEEvT0_PT_S4_S6_S4_ ; -- Begin function _ZN9rocsolver6v33100L11swap_kernelI19rocblas_complex_numIdEiEEvT0_PT_S4_S6_S4_
	.p2align	8
	.type	_ZN9rocsolver6v33100L11swap_kernelI19rocblas_complex_numIdEiEEvT0_PT_S4_S6_S4_,@function
_ZN9rocsolver6v33100L11swap_kernelI19rocblas_complex_numIdEiEEvT0_PT_S4_S6_S4_: ; @_ZN9rocsolver6v33100L11swap_kernelI19rocblas_complex_numIdEiEEvT0_PT_S4_S6_S4_
; %bb.0:
	s_load_dword s16, s[6:7], 0x0
	s_waitcnt lgkmcnt(0)
	s_cmp_lt_i32 s16, 1
	s_cbranch_scc1 .LBB191_10
; %bb.1:
	s_load_dwordx2 s[0:1], s[4:5], 0x4
	s_load_dwordx2 s[2:3], s[6:7], 0x8
	s_load_dword s12, s[6:7], 0x10
	s_load_dwordx2 s[10:11], s[6:7], 0x18
	s_load_dword s9, s[6:7], 0x20
	s_waitcnt lgkmcnt(0)
	s_lshr_b32 s0, s0, 16
	s_mul_i32 s0, s0, s1
	v_and_b32_e32 v2, 0x3ff, v0
	v_mul_lo_u32 v1, s0, v2
	s_load_dword s0, s[6:7], 0x28
	s_load_dword s4, s[6:7], 0x34
	v_bfe_u32 v3, v0, 10, 10
	v_mul_u32_u24_e32 v3, s1, v3
	v_bfe_u32 v0, v0, 20, 10
	v_add3_u32 v1, v1, v3, v0
	s_waitcnt lgkmcnt(0)
	s_and_b32 s1, s4, 0xffff
	s_cmp_eq_u32 s12, 1
	s_mul_i32 s8, s8, s1
	s_mul_i32 s4, s0, s1
	s_cselect_b64 s[0:1], -1, 0
	s_cmp_eq_u32 s9, 1
	s_cselect_b64 s[6:7], -1, 0
	v_add_u32_e32 v0, s8, v2
	s_and_b64 s[14:15], s[0:1], s[6:7]
	v_cmp_gt_i32_e64 s[0:1], s16, v0
	s_mov_b64 s[6:7], -1
	s_and_b64 vcc, exec, s[14:15]
	s_cbranch_vccnz .LBB191_6
; %bb.2:
	s_and_saveexec_b64 s[6:7], s[0:1]
	s_cbranch_execz .LBB191_5
; %bb.3:
	v_mad_i64_i32 v[2:3], s[14:15], s9, v0, 0
	v_lshlrev_b64 v[2:3], 4, v[2:3]
	v_mov_b32_e32 v4, s11
	v_add_co_u32_e32 v2, vcc, s10, v2
	s_mul_hi_i32 s15, s9, s4
	s_mul_i32 s14, s9, s4
	v_addc_co_u32_e32 v3, vcc, v4, v3, vcc
	s_lshl_b64 s[8:9], s[14:15], 4
	v_mad_i64_i32 v[4:5], s[14:15], s12, v0, 0
	v_lshlrev_b64 v[4:5], 4, v[4:5]
	s_mul_hi_i32 s13, s12, s4
	s_mul_i32 s12, s12, s4
	v_mov_b32_e32 v7, s3
	v_add_co_u32_e32 v4, vcc, s2, v4
	s_lshl_b64 s[12:13], s[12:13], 4
	v_lshlrev_b32_e32 v6, 4, v1
	v_addc_co_u32_e32 v5, vcc, v7, v5, vcc
	s_mov_b64 s[14:15], 0
	v_mov_b32_e32 v7, s9
	v_mov_b32_e32 v8, s13
	v_mov_b32_e32 v9, v0
.LBB191_4:                              ; =>This Inner Loop Header: Depth=1
	global_load_dwordx4 v[10:13], v[2:3], off
	global_load_dwordx4 v[14:17], v[4:5], off
	v_add_u32_e32 v9, s4, v9
	v_cmp_le_i32_e32 vcc, s16, v9
	s_or_b64 s[14:15], vcc, s[14:15]
	s_waitcnt vmcnt(1)
	ds_write2_b64 v6, v[10:11], v[12:13] offset1:1
	s_waitcnt vmcnt(0)
	global_store_dwordx4 v[2:3], v[14:17], off
	global_store_dwordx4 v[4:5], v[10:13], off
	v_add_co_u32_e32 v2, vcc, s8, v2
	v_addc_co_u32_e32 v3, vcc, v3, v7, vcc
	v_add_co_u32_e32 v4, vcc, s12, v4
	v_addc_co_u32_e32 v5, vcc, v5, v8, vcc
	s_andn2_b64 exec, exec, s[14:15]
	s_cbranch_execnz .LBB191_4
.LBB191_5:
	s_or_b64 exec, exec, s[6:7]
	s_mov_b64 s[6:7], 0
.LBB191_6:
	s_andn2_b64 vcc, exec, s[6:7]
	s_cbranch_vccnz .LBB191_10
; %bb.7:
	s_and_saveexec_b64 s[6:7], s[0:1]
	s_cbranch_execz .LBB191_10
; %bb.8:
	v_mov_b32_e32 v2, 0x4000
	s_ashr_i32 s5, s4, 31
	v_lshl_add_u32 v4, v1, 4, v2
	v_ashrrev_i32_e32 v1, 31, v0
	s_lshl_b64 s[0:1], s[4:5], 4
	v_lshlrev_b64 v[2:3], 4, v[0:1]
	s_mov_b64 s[6:7], 0
	v_mov_b32_e32 v1, s11
	v_mov_b32_e32 v5, s3
	;; [unrolled: 1-line block ×3, first 2 shown]
.LBB191_9:                              ; =>This Inner Loop Header: Depth=1
	v_add_co_u32_e32 v16, vcc, s10, v2
	v_addc_co_u32_e32 v17, vcc, v1, v3, vcc
	v_add_co_u32_e32 v18, vcc, s2, v2
	v_addc_co_u32_e32 v19, vcc, v5, v3, vcc
	global_load_dwordx4 v[8:11], v[16:17], off
	global_load_dwordx4 v[12:15], v[18:19], off
	v_add_co_u32_e32 v2, vcc, s0, v2
	v_add_u32_e32 v0, s4, v0
	v_addc_co_u32_e32 v3, vcc, v3, v6, vcc
	v_cmp_le_i32_e32 vcc, s16, v0
	s_or_b64 s[6:7], vcc, s[6:7]
	s_waitcnt vmcnt(1)
	ds_write2_b64 v4, v[8:9], v[10:11] offset1:1
	s_waitcnt vmcnt(0)
	global_store_dwordx4 v[16:17], v[12:15], off
	global_store_dwordx4 v[18:19], v[8:11], off
	s_andn2_b64 exec, exec, s[6:7]
	s_cbranch_execnz .LBB191_9
.LBB191_10:
	s_endpgm
	.section	.rodata,"a",@progbits
	.p2align	6, 0x0
	.amdhsa_kernel _ZN9rocsolver6v33100L11swap_kernelI19rocblas_complex_numIdEiEEvT0_PT_S4_S6_S4_
		.amdhsa_group_segment_fixed_size 32768
		.amdhsa_private_segment_fixed_size 0
		.amdhsa_kernarg_size 296
		.amdhsa_user_sgpr_count 8
		.amdhsa_user_sgpr_private_segment_buffer 1
		.amdhsa_user_sgpr_dispatch_ptr 1
		.amdhsa_user_sgpr_queue_ptr 0
		.amdhsa_user_sgpr_kernarg_segment_ptr 1
		.amdhsa_user_sgpr_dispatch_id 0
		.amdhsa_user_sgpr_flat_scratch_init 0
		.amdhsa_user_sgpr_kernarg_preload_length 0
		.amdhsa_user_sgpr_kernarg_preload_offset 0
		.amdhsa_user_sgpr_private_segment_size 0
		.amdhsa_uses_dynamic_stack 0
		.amdhsa_system_sgpr_private_segment_wavefront_offset 0
		.amdhsa_system_sgpr_workgroup_id_x 1
		.amdhsa_system_sgpr_workgroup_id_y 0
		.amdhsa_system_sgpr_workgroup_id_z 0
		.amdhsa_system_sgpr_workgroup_info 0
		.amdhsa_system_vgpr_workitem_id 2
		.amdhsa_next_free_vgpr 20
		.amdhsa_next_free_sgpr 17
		.amdhsa_accum_offset 20
		.amdhsa_reserve_vcc 1
		.amdhsa_reserve_flat_scratch 0
		.amdhsa_float_round_mode_32 0
		.amdhsa_float_round_mode_16_64 0
		.amdhsa_float_denorm_mode_32 3
		.amdhsa_float_denorm_mode_16_64 3
		.amdhsa_dx10_clamp 1
		.amdhsa_ieee_mode 1
		.amdhsa_fp16_overflow 0
		.amdhsa_tg_split 0
		.amdhsa_exception_fp_ieee_invalid_op 0
		.amdhsa_exception_fp_denorm_src 0
		.amdhsa_exception_fp_ieee_div_zero 0
		.amdhsa_exception_fp_ieee_overflow 0
		.amdhsa_exception_fp_ieee_underflow 0
		.amdhsa_exception_fp_ieee_inexact 0
		.amdhsa_exception_int_div_zero 0
	.end_amdhsa_kernel
	.section	.text._ZN9rocsolver6v33100L11swap_kernelI19rocblas_complex_numIdEiEEvT0_PT_S4_S6_S4_,"axG",@progbits,_ZN9rocsolver6v33100L11swap_kernelI19rocblas_complex_numIdEiEEvT0_PT_S4_S6_S4_,comdat
.Lfunc_end191:
	.size	_ZN9rocsolver6v33100L11swap_kernelI19rocblas_complex_numIdEiEEvT0_PT_S4_S6_S4_, .Lfunc_end191-_ZN9rocsolver6v33100L11swap_kernelI19rocblas_complex_numIdEiEEvT0_PT_S4_S6_S4_
                                        ; -- End function
	.section	.AMDGPU.csdata,"",@progbits
; Kernel info:
; codeLenInByte = 560
; NumSgprs: 21
; NumVgprs: 20
; NumAgprs: 0
; TotalNumVgprs: 20
; ScratchSize: 0
; MemoryBound: 0
; FloatMode: 240
; IeeeMode: 1
; LDSByteSize: 32768 bytes/workgroup (compile time only)
; SGPRBlocks: 2
; VGPRBlocks: 2
; NumSGPRsForWavesPerEU: 21
; NumVGPRsForWavesPerEU: 20
; AccumOffset: 20
; Occupancy: 8
; WaveLimiterHint : 0
; COMPUTE_PGM_RSRC2:SCRATCH_EN: 0
; COMPUTE_PGM_RSRC2:USER_SGPR: 8
; COMPUTE_PGM_RSRC2:TRAP_HANDLER: 0
; COMPUTE_PGM_RSRC2:TGID_X_EN: 1
; COMPUTE_PGM_RSRC2:TGID_Y_EN: 0
; COMPUTE_PGM_RSRC2:TGID_Z_EN: 0
; COMPUTE_PGM_RSRC2:TIDIG_COMP_CNT: 2
; COMPUTE_PGM_RSRC3_GFX90A:ACCUM_OFFSET: 4
; COMPUTE_PGM_RSRC3_GFX90A:TG_SPLIT: 0
	.section	.text._ZN9rocsolver6v33100L12steqr_kernelI19rocblas_complex_numIdEdPS3_EEviPT0_lS6_lT1_iilPiS6_iS5_S5_S5_,"axG",@progbits,_ZN9rocsolver6v33100L12steqr_kernelI19rocblas_complex_numIdEdPS3_EEviPT0_lS6_lT1_iilPiS6_iS5_S5_S5_,comdat
	.globl	_ZN9rocsolver6v33100L12steqr_kernelI19rocblas_complex_numIdEdPS3_EEviPT0_lS6_lT1_iilPiS6_iS5_S5_S5_ ; -- Begin function _ZN9rocsolver6v33100L12steqr_kernelI19rocblas_complex_numIdEdPS3_EEviPT0_lS6_lT1_iilPiS6_iS5_S5_S5_
	.p2align	8
	.type	_ZN9rocsolver6v33100L12steqr_kernelI19rocblas_complex_numIdEdPS3_EEviPT0_lS6_lT1_iilPiS6_iS5_S5_S5_,@function
_ZN9rocsolver6v33100L12steqr_kernelI19rocblas_complex_numIdEdPS3_EEviPT0_lS6_lT1_iilPiS6_iS5_S5_S5_: ; @_ZN9rocsolver6v33100L12steqr_kernelI19rocblas_complex_numIdEdPS3_EEviPT0_lS6_lT1_iilPiS6_iS5_S5_S5_
; %bb.0:
                                        ; implicit-def: $vgpr70 : SGPR spill to VGPR lane
	v_and_b32_e32 v1, 0x3ff, v0
	v_writelane_b32 v70, s4, 0
	v_writelane_b32 v70, s5, 1
	s_load_dword s0, s[6:7], 0x7c
	s_load_dword s4, s[6:7], 0x70
	s_mov_b32 s38, s9
	s_waitcnt lgkmcnt(0)
	s_and_b32 s5, s0, 0xffff
	s_mul_i32 s8, s8, s5
	v_add_u32_e32 v6, s8, v1
	v_cmp_eq_u32_e64 s[0:1], 0, v6
	s_and_saveexec_b64 s[2:3], s[0:1]
	s_cbranch_execz .LBB192_2
; %bb.1:
	v_mov_b32_e32 v2, 0
	ds_write2_b32 v2, v2, v2 offset0:6 offset1:9
.LBB192_2:
	s_or_b64 exec, exec, s[2:3]
	s_load_dword s10, s[6:7], 0x0
	s_load_dwordx8 s[20:27], s[6:7], 0x8
	s_load_dwordx8 s[12:19], s[6:7], 0x28
	s_load_dwordx2 s[56:57], s[6:7], 0x48
	s_load_dword s33, s[6:7], 0x50
	s_ashr_i32 s39, s38, 31
	s_waitcnt lgkmcnt(0)
	s_mul_i32 s2, s38, s23
	s_mul_hi_u32 s3, s38, s22
	s_add_i32 s2, s3, s2
	s_mul_i32 s3, s39, s22
	s_add_i32 s3, s2, s3
	s_mul_i32 s2, s38, s22
	s_lshl_b64 s[34:35], s[2:3], 3
	s_add_u32 s22, s20, s34
	s_mul_i32 s2, s38, s27
	s_mul_hi_u32 s3, s38, s26
	s_addc_u32 s23, s21, s35
	s_add_i32 s2, s3, s2
	s_mul_i32 s3, s39, s26
	s_add_i32 s3, s2, s3
	s_mul_i32 s2, s38, s26
	v_writelane_b32 v70, s2, 2
	v_writelane_b32 v70, s3, 3
	s_ashr_i32 s3, s14, 31
	s_mov_b32 s2, s14
	v_mov_b32_e32 v8, 0
	v_writelane_b32 v70, s2, 4
	s_barrier
	ds_read2_b32 v[2:3], v8 offset0:6 offset1:9
	v_writelane_b32 v70, s3, 5
	s_mul_i32 s2, s38, s17
	s_mul_hi_u32 s3, s38, s16
	s_add_i32 s2, s3, s2
	s_mul_i32 s3, s39, s16
	s_add_i32 s3, s2, s3
	s_mul_i32 s2, s38, s16
	v_writelane_b32 v70, s2, 6
	v_writelane_b32 v70, s3, 7
	s_waitcnt lgkmcnt(0)
	v_cmp_gt_i32_e32 vcc, s10, v2
	v_cmp_gt_i32_e64 s[2:3], s33, v3
	s_and_b64 s[2:3], vcc, s[2:3]
	s_mul_i32 s36, s4, s5
	v_readfirstlane_b32 s8, v2
	s_andn2_b64 vcc, exec, s[2:3]
	s_add_i32 s40, s10, -1
	s_cbranch_vccnz .LBB192_224
; %bb.3:
	v_readlane_b32 s2, v70, 2
	v_readlane_b32 s3, v70, 3
	s_load_dwordx4 s[28:31], s[6:7], 0x58
	s_load_dwordx2 s[44:45], s[6:7], 0x68
	s_lshl_b32 s6, s10, 1
	s_lshl_b64 s[2:3], s[2:3], 3
	s_add_u32 s14, s24, s2
	s_addc_u32 s92, s25, s3
	v_readlane_b32 s2, v70, 6
	v_readlane_b32 s4, v70, 4
	;; [unrolled: 1-line block ×4, first 2 shown]
	s_lshl_b64 s[2:3], s[2:3], 4
	s_lshl_b64 s[4:5], s[4:5], 4
	s_add_u32 s2, s2, s4
	s_addc_u32 s3, s3, s5
	s_add_u32 s93, s12, s2
	s_addc_u32 s94, s13, s3
	s_mul_hi_i32 s3, s6, s38
	s_mul_i32 s2, s6, s38
	s_lshl_b64 s[6:7], s[2:3], 3
	s_add_u32 s95, s56, s6
	s_addc_u32 s66, s57, s7
	s_ashr_i32 s11, s10, 31
	s_ashr_i32 s47, s15, 31
	s_add_u32 s48, s14, -8
	s_addc_u32 s49, s92, -1
	s_add_u32 s50, s95, -8
	s_addc_u32 s51, s66, -1
	s_add_u32 s67, s20, s34
	s_addc_u32 s4, s21, s35
	s_add_u32 s5, s67, 8
	s_addc_u32 s26, s4, 0
	s_ashr_i32 s37, s36, 31
	s_lshl_b64 s[52:53], s[36:37], 3
	s_lshl_b64 s[54:55], s[10:11], 3
	s_add_u32 s6, s6, s54
	s_addc_u32 s7, s7, s55
	s_add_u32 s6, s6, s56
	s_addc_u32 s7, s7, s57
	s_add_u32 s6, s6, -16
	s_addc_u32 s7, s7, -1
	s_mov_b32 s46, s15
	s_add_u32 s11, s54, -8
	v_ashrrev_i32_e32 v7, 31, v6
	s_addc_u32 s27, s55, -1
	v_lshlrev_b64 v[2:3], 4, v[6:7]
	s_lshl_b64 s[58:59], s[46:47], 4
	s_lshl_b64 s[60:61], s[36:37], 4
	v_mov_b32_e32 v4, s94
	v_add_co_u32_e32 v2, vcc, s93, v2
	s_sub_u32 s37, 0, s58
	v_addc_co_u32_e32 v3, vcc, v4, v3, vcc
	s_subb_u32 s56, 0, s59
	v_add_co_u32_e32 v7, vcc, 8, v2
	s_add_u32 s57, s67, -8
	s_mov_b32 s64, 0
	s_mov_b32 s86, 0x667f3bcd
	s_waitcnt lgkmcnt(0)
	v_mul_f64 v[10:11], s[28:29], s[28:29]
	v_cmp_gt_i32_e64 s[2:3], s10, v6
	v_writelane_b32 v70, s6, 8
	v_addc_co_u32_e32 v58, vcc, 0, v3, vcc
	s_addc_u32 s16, s4, -1
	s_mov_b32 s63, 0
	s_brev_b32 s65, 8
	v_mov_b32_e32 v59, 0x260
	s_mov_b32 s87, 0x3ff6a09e
	v_mov_b32_e32 v60, 0xffffff80
	v_writelane_b32 v70, s7, 9
                                        ; implicit-def: $vgpr16_vgpr17
                                        ; implicit-def: $vgpr18_vgpr19
                                        ; implicit-def: $vgpr20_vgpr21
                                        ; implicit-def: $vgpr12_vgpr13
                                        ; implicit-def: $vgpr61
                                        ; implicit-def: $vgpr14_vgpr15
                                        ; implicit-def: $vgpr62
                                        ; implicit-def: $vgpr22_vgpr23
                                        ; implicit-def: $vgpr24_vgpr25
	s_branch .LBB192_7
.LBB192_4:                              ;   in Loop: Header=BB192_7 Depth=1
	s_or_b64 exec, exec, s[6:7]
.LBB192_5:                              ;   in Loop: Header=BB192_7 Depth=1
	s_barrier
.LBB192_6:                              ;   in Loop: Header=BB192_7 Depth=1
	ds_read2_b32 v[2:3], v8 offset0:6 offset1:9
	v_mov_b32_e32 v62, v63
	v_pk_mov_b32 v[22:23], v[30:31], v[30:31] op_sel:[0,1]
	v_pk_mov_b32 v[24:25], v[32:33], v[32:33] op_sel:[0,1]
	s_waitcnt lgkmcnt(0)
	v_cmp_gt_i32_e32 vcc, s10, v2
	v_cmp_gt_i32_e64 s[6:7], s33, v3
	s_and_b64 s[6:7], vcc, s[6:7]
	v_readfirstlane_b32 s8, v2
	s_andn2_b64 vcc, exec, s[6:7]
	s_cbranch_vccnz .LBB192_224
.LBB192_7:                              ; =>This Loop Header: Depth=1
                                        ;     Child Loop BB192_15 Depth 2
                                        ;     Child Loop BB192_28 Depth 2
	;; [unrolled: 1-line block ×5, first 2 shown]
                                        ;       Child Loop BB192_61 Depth 3
                                        ;       Child Loop BB192_80 Depth 3
	;; [unrolled: 1-line block ×3, first 2 shown]
                                        ;         Child Loop BB192_127 Depth 4
                                        ;     Child Loop BB192_148 Depth 2
                                        ;       Child Loop BB192_156 Depth 3
                                        ;       Child Loop BB192_175 Depth 3
	;; [unrolled: 1-line block ×3, first 2 shown]
                                        ;         Child Loop BB192_222 Depth 4
                                        ;     Child Loop BB192_138 Depth 2
                                        ;     Child Loop BB192_145 Depth 2
	s_and_saveexec_b64 s[6:7], s[0:1]
	s_cbranch_execz .LBB192_31
; %bb.8:                                ;   in Loop: Header=BB192_7 Depth=1
	s_cmp_lt_i32 s8, 1
	s_cbranch_scc1 .LBB192_10
; %bb.9:                                ;   in Loop: Header=BB192_7 Depth=1
	s_mov_b32 s9, s63
	s_lshl_b64 s[68:69], s[8:9], 3
	s_add_u32 s68, s48, s68
	s_addc_u32 s69, s49, s69
	v_mov_b32_e32 v9, v8
	global_store_dwordx2 v8, v[8:9], s[68:69]
.LBB192_10:                             ;   in Loop: Header=BB192_7 Depth=1
	s_mov_b64 s[70:71], -1
	s_mov_b64 s[74:75], 0
	s_cmp_lt_i32 s8, s40
	s_mov_b64 s[68:69], 0
	s_cbranch_scc1 .LBB192_12
; %bb.11:                               ;   in Loop: Header=BB192_7 Depth=1
	s_ashr_i32 s9, s8, 31
	s_mov_b64 s[70:71], 0
	s_mov_b64 s[68:69], -1
.LBB192_12:                             ;   in Loop: Header=BB192_7 Depth=1
	s_andn2_b64 vcc, exec, s[70:71]
	s_cbranch_vccnz .LBB192_17
; %bb.13:                               ;   in Loop: Header=BB192_7 Depth=1
	s_ashr_i32 s9, s8, 31
	s_lshl_b64 s[70:71], s[8:9], 3
	s_add_u32 s76, s14, s70
	s_addc_u32 s77, s92, s71
	s_add_u32 s74, s5, s70
	s_addc_u32 s75, s26, s71
	s_mov_b64 s[78:79], s[8:9]
	s_branch .LBB192_15
.LBB192_14:                             ;   in Loop: Header=BB192_15 Depth=2
	s_andn2_b64 vcc, exec, s[82:83]
	s_cbranch_vccz .LBB192_18
.LBB192_15:                             ;   Parent Loop BB192_7 Depth=1
                                        ; =>  This Inner Loop Header: Depth=2
	global_load_dwordx4 v[2:5], v8, s[74:75] offset:-8
	global_load_dwordx2 v[16:17], v8, s[76:77]
	s_mov_b64 s[70:71], s[76:77]
	s_mov_b64 s[72:73], s[78:79]
	s_mov_b64 s[80:81], -1
                                        ; implicit-def: $sgpr78_sgpr79
                                        ; implicit-def: $sgpr76_sgpr77
	s_waitcnt vmcnt(1)
	v_cmp_lt_f64_e64 s[82:83], |v[2:3]|, s[64:65]
	v_cndmask_b32_e64 v9, 0, 1, s[82:83]
	v_cmp_lt_f64_e64 s[84:85], |v[4:5]|, s[64:65]
	v_cndmask_b32_e64 v18, 0, 1, s[84:85]
	v_lshlrev_b32_e32 v9, 8, v9
	v_lshlrev_b32_e32 v18, 8, v18
	v_ldexp_f64 v[2:3], |v[2:3]|, v9
	v_ldexp_f64 v[4:5], |v[4:5]|, v18
	v_rsq_f64_e32 v[18:19], v[2:3]
	v_rsq_f64_e32 v[20:21], v[4:5]
	s_and_b64 s[82:83], s[82:83], exec
	s_cselect_b32 s17, 0xffffff80, 0
	v_mul_f64 v[26:27], v[2:3], v[18:19]
	v_mul_f64 v[18:19], v[18:19], 0.5
	v_mul_f64 v[28:29], v[4:5], v[20:21]
	v_mul_f64 v[20:21], v[20:21], 0.5
	v_fma_f64 v[30:31], -v[18:19], v[26:27], 0.5
	v_fma_f64 v[32:33], -v[20:21], v[28:29], 0.5
	v_fmac_f64_e32 v[26:27], v[26:27], v[30:31]
	v_fmac_f64_e32 v[18:19], v[18:19], v[30:31]
	;; [unrolled: 1-line block ×3, first 2 shown]
	v_fma_f64 v[30:31], -v[26:27], v[26:27], v[2:3]
	v_fmac_f64_e32 v[20:21], v[20:21], v[32:33]
	v_fma_f64 v[32:33], -v[28:29], v[28:29], v[4:5]
	v_fmac_f64_e32 v[26:27], v[30:31], v[18:19]
	v_fmac_f64_e32 v[28:29], v[32:33], v[20:21]
	v_fma_f64 v[30:31], -v[26:27], v[26:27], v[2:3]
	s_and_b64 s[82:83], s[84:85], exec
	v_fma_f64 v[32:33], -v[28:29], v[28:29], v[4:5]
	v_fmac_f64_e32 v[26:27], v[30:31], v[18:19]
	s_cselect_b32 s41, 0xffffff80, 0
	v_fmac_f64_e32 v[28:29], v[32:33], v[20:21]
	v_ldexp_f64 v[18:19], v[26:27], s17
	v_cmp_class_f64_e32 vcc, v[2:3], v59
	v_ldexp_f64 v[20:21], v[28:29], s41
	v_cndmask_b32_e32 v3, v19, v3, vcc
	v_cndmask_b32_e32 v2, v18, v2, vcc
	v_cmp_class_f64_e32 vcc, v[4:5], v59
	v_cndmask_b32_e32 v5, v21, v5, vcc
	v_cndmask_b32_e32 v4, v20, v4, vcc
	v_mul_f64 v[2:3], v[2:3], v[4:5]
	v_mul_f64 v[2:3], v[2:3], s[28:29]
	s_waitcnt vmcnt(0)
	v_cmp_nle_f64_e64 s[82:83], |v[16:17]|, v[2:3]
	s_and_b64 vcc, exec, s[82:83]
	s_mov_b64 s[82:83], -1
	s_cbranch_vccz .LBB192_14
; %bb.16:                               ;   in Loop: Header=BB192_15 Depth=2
	s_add_u32 s78, s72, 1
	s_addc_u32 s79, s73, 0
	s_add_u32 s76, s70, 8
	s_addc_u32 s77, s71, 0
	;; [unrolled: 2-line block ×3, first 2 shown]
	s_cmp_ge_i32 s78, s40
	s_mov_b64 s[80:81], 0
	s_cselect_b64 s[82:83], -1, 0
	s_branch .LBB192_14
.LBB192_17:                             ;   in Loop: Header=BB192_7 Depth=1
	s_mov_b32 s17, s8
	s_mov_b64 s[76:77], s[8:9]
	s_and_b64 vcc, exec, s[68:69]
	s_cbranch_vccnz .LBB192_21
	s_branch .LBB192_22
.LBB192_18:                             ;   in Loop: Header=BB192_7 Depth=1
	s_xor_b64 s[42:43], s[80:81], -1
	s_mov_b64 s[74:75], -1
	s_and_b64 vcc, exec, s[42:43]
                                        ; implicit-def: $sgpr76_sgpr77
	s_cbranch_vccz .LBB192_20
; %bb.19:                               ;   in Loop: Header=BB192_7 Depth=1
	s_ashr_i32 s41, s40, 31
	s_mov_b64 s[68:69], -1
	s_mov_b64 s[74:75], 0
	s_mov_b64 s[76:77], s[40:41]
.LBB192_20:                             ;   in Loop: Header=BB192_7 Depth=1
	v_pk_mov_b32 v[16:17], s[72:73], s[72:73] op_sel:[0,1]
	v_pk_mov_b32 v[18:19], s[70:71], s[70:71] op_sel:[0,1]
	;; [unrolled: 1-line block ×3, first 2 shown]
	s_mov_b32 s17, s40
	s_and_b64 vcc, exec, s[68:69]
	s_cbranch_vccz .LBB192_22
.LBB192_21:                             ;   in Loop: Header=BB192_7 Depth=1
	v_mov_b32_e32 v2, s17
	ds_write_b32 v8, v2 offset:20
.LBB192_22:                             ;   in Loop: Header=BB192_7 Depth=1
	s_andn2_b64 vcc, exec, s[74:75]
	v_pk_mov_b32 v[2:3], s[8:9], s[8:9] op_sel:[0,1]
	v_pk_mov_b32 v[4:5], s[76:77], s[76:77] op_sel:[0,1]
	v_mov_b32_e32 v9, s17
	s_cbranch_vccnz .LBB192_24
; %bb.23:                               ;   in Loop: Header=BB192_7 Depth=1
	v_mov_b32_e32 v9, v8
	global_store_dwordx2 v[18:19], v[8:9], off
	v_pk_mov_b32 v[2:3], v[20:21], v[20:21] op_sel:[0,1]
	v_pk_mov_b32 v[4:5], v[16:17], v[16:17] op_sel:[0,1]
	v_mov_b32_e32 v9, v16
	ds_write_b32 v8, v16 offset:20
.LBB192_24:                             ;   in Loop: Header=BB192_7 Depth=1
	v_lshlrev_b64 v[4:5], 3, v[4:5]
	v_mov_b32_e32 v26, s23
	v_add_co_u32_e32 v4, vcc, s22, v4
	v_addc_co_u32_e32 v5, vcc, v26, v5, vcc
	v_lshlrev_b64 v[26:27], 3, v[2:3]
	v_mov_b32_e32 v2, s23
	v_add_co_u32_e32 v28, vcc, s22, v26
	v_addc_co_u32_e32 v29, vcc, v2, v27, vcc
	global_load_dwordx2 v[2:3], v[4:5], off
	s_nop 0
	global_load_dwordx2 v[4:5], v[28:29], off
	v_mov_b32_e32 v29, s8
	v_add_u32_e32 v28, 1, v9
	ds_write_b32 v8, v29 offset:16
	ds_write2_b32 v8, v9, v9 offset0:8 offset1:10
	ds_write_b64 v8, v[28:29] offset:24
	s_waitcnt vmcnt(0)
	v_cmp_lt_f64_e64 s[70:71], |v[2:3]|, |v[4:5]|
	s_and_saveexec_b64 s[68:69], s[70:71]
	s_cbranch_execz .LBB192_26
; %bb.25:                               ;   in Loop: Header=BB192_7 Depth=1
	v_mov_b32_e32 v4, s8
	ds_write2_b32 v8, v9, v4 offset0:4 offset1:8
.LBB192_26:                             ;   in Loop: Header=BB192_7 Depth=1
	s_or_b64 exec, exec, s[68:69]
	v_and_b32_e32 v3, 0x7fffffff, v3
	v_cmp_lt_i32_e32 vcc, s8, v9
	s_and_saveexec_b64 s[68:69], vcc
	s_cbranch_execz .LBB192_30
; %bb.27:                               ;   in Loop: Header=BB192_7 Depth=1
	v_mov_b32_e32 v5, s4
	v_add_co_u32_e32 v4, vcc, s67, v26
	v_addc_co_u32_e32 v5, vcc, v5, v27, vcc
	v_mov_b32_e32 v28, s92
	v_add_co_u32_e32 v26, vcc, s14, v26
	v_addc_co_u32_e32 v27, vcc, v28, v27, vcc
	s_mov_b64 s[70:71], 0
.LBB192_28:                             ;   Parent Loop BB192_7 Depth=1
                                        ; =>  This Inner Loop Header: Depth=2
	global_load_dwordx2 v[28:29], v[26:27], off
	global_load_dwordx2 v[30:31], v[4:5], off
	v_add_co_u32_e32 v4, vcc, 8, v4
	v_addc_co_u32_e32 v5, vcc, 0, v5, vcc
	v_add_co_u32_e32 v26, vcc, 8, v26
	s_add_i32 s8, s8, 1
	v_addc_co_u32_e32 v27, vcc, 0, v27, vcc
	v_max_f64 v[2:3], v[2:3], v[2:3]
	v_cmp_ge_i32_e32 vcc, s8, v9
	s_or_b64 s[70:71], vcc, s[70:71]
	s_waitcnt vmcnt(1)
	v_max_f64 v[28:29], |v[28:29]|, |v[28:29]|
	s_waitcnt vmcnt(0)
	v_max_f64 v[30:31], |v[30:31]|, |v[30:31]|
	v_max_f64 v[28:29], v[30:31], v[28:29]
	v_max_f64 v[2:3], v[2:3], v[28:29]
	s_andn2_b64 exec, exec, s[70:71]
	s_cbranch_execnz .LBB192_28
; %bb.29:                               ;   in Loop: Header=BB192_7 Depth=1
	s_or_b64 exec, exec, s[70:71]
.LBB192_30:                             ;   in Loop: Header=BB192_7 Depth=1
	s_or_b64 exec, exec, s[68:69]
	ds_write_b64 v8, v[2:3] offset:8
.LBB192_31:                             ;   in Loop: Header=BB192_7 Depth=1
	s_or_b64 exec, exec, s[6:7]
	s_waitcnt lgkmcnt(0)
	s_barrier
	ds_read2_b32 v[4:5], v8 offset0:4 offset1:8
	ds_read_b64 v[2:3], v8 offset:8
	s_waitcnt lgkmcnt(1)
	v_readfirstlane_b32 s6, v5
	v_readfirstlane_b32 s7, v4
	s_cmp_eq_u32 s6, s7
	s_cselect_b64 s[6:7], -1, 0
	s_waitcnt lgkmcnt(0)
	v_cmp_eq_f64_e32 vcc, 0, v[2:3]
	s_or_b64 s[6:7], s[6:7], vcc
	s_and_b64 vcc, exec, s[6:7]
	s_cbranch_vccnz .LBB192_129
; %bb.32:                               ;   in Loop: Header=BB192_7 Depth=1
	v_cmp_nlt_f64_e32 vcc, s[44:45], v[2:3]
	s_mov_b64 s[6:7], -1
	s_cbranch_vccz .LBB192_41
; %bb.33:                               ;   in Loop: Header=BB192_7 Depth=1
	v_cmp_ngt_f64_e32 vcc, s[30:31], v[2:3]
	s_cbranch_vccnz .LBB192_40
; %bb.34:                               ;   in Loop: Header=BB192_7 Depth=1
	v_div_scale_f64 v[26:27], s[6:7], s[30:31], s[30:31], v[2:3]
	v_rcp_f64_e32 v[28:29], v[26:27]
	ds_read2_b32 v[4:5], v8 offset0:7 offset1:10
	v_fma_f64 v[30:31], -v[26:27], v[28:29], 1.0
	v_fmac_f64_e32 v[28:29], v[28:29], v[30:31]
	v_fma_f64 v[30:31], -v[26:27], v[28:29], 1.0
	v_fmac_f64_e32 v[28:29], v[28:29], v[30:31]
	v_div_scale_f64 v[30:31], vcc, v[2:3], s[30:31], v[2:3]
	v_mul_f64 v[32:33], v[30:31], v[28:29]
	v_fma_f64 v[26:27], -v[26:27], v[32:33], v[30:31]
	s_nop 1
	v_div_fmas_f64 v[26:27], v[26:27], v[28:29], v[32:33]
	v_div_fixup_f64 v[26:27], v[26:27], s[30:31], v[2:3]
	s_and_saveexec_b64 s[6:7], s[0:1]
	s_cbranch_execz .LBB192_36
; %bb.35:                               ;   in Loop: Header=BB192_7 Depth=1
	s_waitcnt lgkmcnt(0)
	v_ashrrev_i32_e32 v29, 31, v5
	v_mov_b32_e32 v28, v5
	v_lshlrev_b64 v[28:29], 3, v[28:29]
	v_mov_b32_e32 v9, s23
	v_add_co_u32_e32 v28, vcc, s22, v28
	v_addc_co_u32_e32 v29, vcc, v9, v29, vcc
	global_load_dwordx2 v[30:31], v[28:29], off
	s_waitcnt vmcnt(0)
	v_mul_f64 v[30:31], v[26:27], v[30:31]
	global_store_dwordx2 v[28:29], v[30:31], off
.LBB192_36:                             ;   in Loop: Header=BB192_7 Depth=1
	s_or_b64 exec, exec, s[6:7]
	s_waitcnt lgkmcnt(0)
	v_add_u32_e32 v28, v4, v6
	v_cmp_lt_i32_e32 vcc, v28, v5
	s_and_saveexec_b64 s[6:7], vcc
	s_cbranch_execz .LBB192_39
; %bb.37:                               ;   in Loop: Header=BB192_7 Depth=1
	v_ashrrev_i32_e32 v29, 31, v28
	v_lshlrev_b64 v[30:31], 3, v[28:29]
	s_mov_b64 s[8:9], 0
.LBB192_38:                             ;   Parent Loop BB192_7 Depth=1
                                        ; =>  This Inner Loop Header: Depth=2
	v_mov_b32_e32 v4, s23
	v_add_co_u32_e32 v32, vcc, s22, v30
	v_addc_co_u32_e32 v33, vcc, v4, v31, vcc
	global_load_dwordx2 v[34:35], v[32:33], off
	v_mov_b32_e32 v4, s92
	v_add_co_u32_e32 v36, vcc, s14, v30
	v_addc_co_u32_e32 v37, vcc, v4, v31, vcc
	v_mov_b32_e32 v4, s53
	v_add_co_u32_e32 v30, vcc, s52, v30
	v_add_u32_e32 v28, s36, v28
	v_addc_co_u32_e32 v31, vcc, v31, v4, vcc
	v_cmp_ge_i32_e32 vcc, v28, v5
	s_or_b64 s[8:9], vcc, s[8:9]
	s_waitcnt vmcnt(0)
	v_mul_f64 v[34:35], v[26:27], v[34:35]
	global_store_dwordx2 v[32:33], v[34:35], off
	global_load_dwordx2 v[32:33], v[36:37], off
	s_waitcnt vmcnt(0)
	v_mul_f64 v[32:33], v[26:27], v[32:33]
	global_store_dwordx2 v[36:37], v[32:33], off
	s_andn2_b64 exec, exec, s[8:9]
	s_cbranch_execnz .LBB192_38
.LBB192_39:                             ;   in Loop: Header=BB192_7 Depth=1
	s_or_b64 exec, exec, s[6:7]
.LBB192_40:                             ;   in Loop: Header=BB192_7 Depth=1
	s_mov_b64 s[6:7], 0
.LBB192_41:                             ;   in Loop: Header=BB192_7 Depth=1
	s_andn2_b64 vcc, exec, s[6:7]
	s_cbranch_vccnz .LBB192_48
; %bb.42:                               ;   in Loop: Header=BB192_7 Depth=1
	v_div_scale_f64 v[26:27], s[6:7], s[44:45], s[44:45], v[2:3]
	v_rcp_f64_e32 v[28:29], v[26:27]
	ds_read2_b32 v[4:5], v8 offset0:7 offset1:10
	v_fma_f64 v[30:31], -v[26:27], v[28:29], 1.0
	v_fmac_f64_e32 v[28:29], v[28:29], v[30:31]
	v_fma_f64 v[30:31], -v[26:27], v[28:29], 1.0
	v_fmac_f64_e32 v[28:29], v[28:29], v[30:31]
	v_div_scale_f64 v[30:31], vcc, v[2:3], s[44:45], v[2:3]
	v_mul_f64 v[32:33], v[30:31], v[28:29]
	v_fma_f64 v[26:27], -v[26:27], v[32:33], v[30:31]
	s_nop 1
	v_div_fmas_f64 v[26:27], v[26:27], v[28:29], v[32:33]
	v_div_fixup_f64 v[2:3], v[26:27], s[44:45], v[2:3]
	s_and_saveexec_b64 s[6:7], s[0:1]
	s_cbranch_execz .LBB192_44
; %bb.43:                               ;   in Loop: Header=BB192_7 Depth=1
	s_waitcnt lgkmcnt(0)
	v_ashrrev_i32_e32 v27, 31, v5
	v_mov_b32_e32 v26, v5
	v_lshlrev_b64 v[26:27], 3, v[26:27]
	v_mov_b32_e32 v9, s23
	v_add_co_u32_e32 v26, vcc, s22, v26
	v_addc_co_u32_e32 v27, vcc, v9, v27, vcc
	global_load_dwordx2 v[28:29], v[26:27], off
	s_waitcnt vmcnt(0)
	v_mul_f64 v[28:29], v[2:3], v[28:29]
	global_store_dwordx2 v[26:27], v[28:29], off
.LBB192_44:                             ;   in Loop: Header=BB192_7 Depth=1
	s_or_b64 exec, exec, s[6:7]
	s_waitcnt lgkmcnt(0)
	v_add_u32_e32 v26, v4, v6
	v_cmp_lt_i32_e32 vcc, v26, v5
	s_and_saveexec_b64 s[6:7], vcc
	s_cbranch_execz .LBB192_47
; %bb.45:                               ;   in Loop: Header=BB192_7 Depth=1
	v_ashrrev_i32_e32 v27, 31, v26
	v_lshlrev_b64 v[28:29], 3, v[26:27]
	s_mov_b64 s[8:9], 0
.LBB192_46:                             ;   Parent Loop BB192_7 Depth=1
                                        ; =>  This Inner Loop Header: Depth=2
	v_mov_b32_e32 v4, s23
	v_add_co_u32_e32 v30, vcc, s22, v28
	v_addc_co_u32_e32 v31, vcc, v4, v29, vcc
	global_load_dwordx2 v[32:33], v[30:31], off
	v_mov_b32_e32 v4, s92
	v_add_co_u32_e32 v34, vcc, s14, v28
	v_addc_co_u32_e32 v35, vcc, v4, v29, vcc
	v_mov_b32_e32 v4, s53
	v_add_co_u32_e32 v28, vcc, s52, v28
	v_add_u32_e32 v26, s36, v26
	v_addc_co_u32_e32 v29, vcc, v29, v4, vcc
	v_cmp_ge_i32_e32 vcc, v26, v5
	s_or_b64 s[8:9], vcc, s[8:9]
	s_waitcnt vmcnt(0)
	v_mul_f64 v[32:33], v[2:3], v[32:33]
	global_store_dwordx2 v[30:31], v[32:33], off
	global_load_dwordx2 v[30:31], v[34:35], off
	s_waitcnt vmcnt(0)
	v_mul_f64 v[30:31], v[2:3], v[30:31]
	global_store_dwordx2 v[34:35], v[30:31], off
	s_andn2_b64 exec, exec, s[8:9]
	s_cbranch_execnz .LBB192_46
.LBB192_47:                             ;   in Loop: Header=BB192_7 Depth=1
	s_or_b64 exec, exec, s[6:7]
.LBB192_48:                             ;   in Loop: Header=BB192_7 Depth=1
	s_barrier
	ds_read_b32 v26, v8 offset:16
	ds_read_b64 v[28:29], v8 offset:32
	s_waitcnt lgkmcnt(0)
	v_cmp_gt_i32_e64 s[6:7], s33, v29
	v_cmp_lt_i32_e32 vcc, v28, v26
	v_cndmask_b32_e64 v2, 0, 1, s[6:7]
	v_cmp_ne_u32_e64 s[6:7], 1, v2
	s_cbranch_vccnz .LBB192_130
; %bb.49:                               ;   in Loop: Header=BB192_7 Depth=1
	s_and_b64 vcc, exec, s[6:7]
	v_pk_mov_b32 v[32:33], v[24:25], v[24:25] op_sel:[0,1]
	v_pk_mov_b32 v[30:31], v[22:23], v[22:23] op_sel:[0,1]
	v_mov_b32_e32 v63, v62
	v_mov_b32_e32 v41, v29
	;; [unrolled: 1-line block ×4, first 2 shown]
	s_cbranch_vccz .LBB192_53
.LBB192_50:                             ;   in Loop: Header=BB192_7 Depth=1
	s_cbranch_execz .LBB192_131
	s_branch .LBB192_133
.LBB192_51:                             ;   in Loop: Header=BB192_53 Depth=2
	s_or_b64 exec, exec, s[68:69]
	s_barrier
	ds_read_b32 v34, v8 offset:16
.LBB192_52:                             ;   in Loop: Header=BB192_53 Depth=2
	ds_read_b64 v[40:41], v8 offset:32
	s_waitcnt lgkmcnt(0)
	v_cmp_le_i32_e32 vcc, v34, v40
	v_cmp_gt_i32_e64 s[8:9], s33, v41
	s_and_b64 s[8:9], vcc, s[8:9]
	s_andn2_b64 vcc, exec, s[8:9]
	s_cbranch_vccnz .LBB192_50
.LBB192_53:                             ;   Parent Loop BB192_7 Depth=1
                                        ; =>  This Loop Header: Depth=2
                                        ;       Child Loop BB192_61 Depth 3
                                        ;       Child Loop BB192_80 Depth 3
	;; [unrolled: 1-line block ×3, first 2 shown]
                                        ;         Child Loop BB192_127 Depth 4
	s_and_saveexec_b64 s[68:69], s[0:1]
	s_cbranch_execz .LBB192_122
; %bb.54:                               ;   in Loop: Header=BB192_53 Depth=2
	v_cmp_lt_i32_e32 vcc, v34, v40
	s_mov_b64 s[8:9], 0
	s_cbranch_vccnz .LBB192_58
; %bb.55:                               ;   in Loop: Header=BB192_53 Depth=2
	v_ashrrev_i32_e32 v35, 31, v34
	s_mov_b64 s[70:71], -1
	v_pk_mov_b32 v[4:5], v[34:35], v[34:35] op_sel:[0,1]
	v_mov_b32_e32 v2, v34
	s_cbranch_execz .LBB192_59
; %bb.56:                               ;   in Loop: Header=BB192_53 Depth=2
	s_and_b64 vcc, exec, s[70:71]
	s_cbranch_vccz .LBB192_64
.LBB192_57:                             ;   in Loop: Header=BB192_53 Depth=2
	ds_write2_b32 v8, v2, v34 offset0:5 offset1:7
	s_cbranch_execz .LBB192_65
	s_branch .LBB192_66
.LBB192_58:                             ;   in Loop: Header=BB192_53 Depth=2
                                        ; implicit-def: $vgpr4_vgpr5
	s_mov_b64 s[70:71], 0
	v_mov_b32_e32 v2, v34
.LBB192_59:                             ;   in Loop: Header=BB192_53 Depth=2
	v_ashrrev_i32_e32 v35, 31, v34
	v_lshlrev_b64 v[2:3], 3, v[34:35]
	v_mov_b32_e32 v5, s92
	v_add_co_u32_e32 v4, vcc, s14, v2
	v_addc_co_u32_e32 v5, vcc, v5, v3, vcc
	v_mov_b32_e32 v9, s4
	v_add_co_u32_e32 v2, vcc, s67, v2
	v_addc_co_u32_e32 v3, vcc, v9, v3, vcc
	v_mov_b32_e32 v9, v34
	s_branch .LBB192_61
.LBB192_60:                             ;   in Loop: Header=BB192_61 Depth=3
	v_add_co_u32_e32 v4, vcc, 8, v30
	v_addc_co_u32_e32 v5, vcc, 0, v31, vcc
	v_add_u32_e32 v9, 1, v63
	v_add_co_u32_e32 v2, vcc, 8, v2
	v_addc_co_u32_e32 v3, vcc, 0, v3, vcc
	s_mov_b64 s[8:9], 0
	v_cmp_ge_i32_e64 s[70:71], v9, v40
	s_andn2_b64 vcc, exec, s[70:71]
	s_cbranch_vccz .LBB192_63
.LBB192_61:                             ;   Parent Loop BB192_7 Depth=1
                                        ;     Parent Loop BB192_53 Depth=2
                                        ; =>    This Inner Loop Header: Depth=3
	v_pk_mov_b32 v[30:31], v[4:5], v[4:5] op_sel:[0,1]
	global_load_dwordx4 v[36:39], v[2:3], off
	s_nop 0
	global_load_dwordx2 v[4:5], v[4:5], off
	v_mov_b32_e32 v63, v9
	s_waitcnt vmcnt(1)
	v_mul_f64 v[32:33], v[36:37], v[38:39]
	s_waitcnt vmcnt(0)
	v_mul_f64 v[4:5], v[4:5], v[4:5]
	v_mul_f64 v[32:33], v[10:11], |v[32:33]|
	v_cmp_le_f64_e64 s[8:9], |v[4:5]|, v[32:33]
	s_and_b64 vcc, exec, s[8:9]
	s_cbranch_vccz .LBB192_60
; %bb.62:                               ;   in Loop: Header=BB192_53 Depth=2
	s_mov_b64 s[8:9], -1
                                        ; implicit-def: $vgpr9
                                        ; implicit-def: $vgpr4_vgpr5
                                        ; implicit-def: $vgpr2_vgpr3
.LBB192_63:                             ;   in Loop: Header=BB192_53 Depth=2
	s_xor_b64 s[70:71], s[8:9], -1
	s_mov_b64 s[8:9], -1
	v_pk_mov_b32 v[32:33], v[34:35], v[34:35] op_sel:[0,1]
	v_mov_b32_e32 v2, v40
	v_pk_mov_b32 v[4:5], v[34:35], v[34:35] op_sel:[0,1]
	s_and_b64 vcc, exec, s[70:71]
	s_cbranch_vccnz .LBB192_57
.LBB192_64:                             ;   in Loop: Header=BB192_53 Depth=2
                                        ; implicit-def: $vgpr2
                                        ; implicit-def: $vgpr4_vgpr5
	s_andn2_b64 vcc, exec, s[8:9]
	s_cbranch_vccnz .LBB192_66
.LBB192_65:                             ;   in Loop: Header=BB192_53 Depth=2
	v_mov_b32_e32 v9, v8
	v_pk_mov_b32 v[4:5], v[32:33], v[32:33] op_sel:[0,1]
	v_mov_b32_e32 v2, v63
	ds_write2_b32 v8, v63, v34 offset0:5 offset1:7
	global_store_dwordx2 v[30:31], v[8:9], off
.LBB192_66:                             ;   in Loop: Header=BB192_53 Depth=2
	v_lshlrev_b64 v[38:39], 3, v[4:5]
	v_mov_b32_e32 v3, s23
	v_add_co_u32_e32 v36, vcc, s22, v38
	v_addc_co_u32_e32 v37, vcc, v3, v39, vcc
	global_load_dwordx2 v[44:45], v[36:37], off
	v_cmp_ne_u32_e32 vcc, v2, v34
	v_add_u32_e32 v3, 1, v34
	s_waitcnt vmcnt(0)
	ds_write_b64 v8, v[44:45]
	s_and_saveexec_b64 s[8:9], vcc
	s_xor_b64 s[70:71], exec, s[8:9]
	s_cbranch_execz .LBB192_119
; %bb.67:                               ;   in Loop: Header=BB192_53 Depth=2
	v_cmp_ne_u32_e32 vcc, v2, v3
	s_and_saveexec_b64 s[8:9], vcc
	s_xor_b64 s[72:73], exec, s[8:9]
	s_cbranch_execz .LBB192_95
; %bb.68:                               ;   in Loop: Header=BB192_53 Depth=2
	v_mov_b32_e32 v3, s92
	v_add_co_u32_e32 v4, vcc, s14, v38
	v_addc_co_u32_e32 v5, vcc, v3, v39, vcc
	global_load_dwordx2 v[52:53], v[36:37], off offset:8
	global_load_dwordx2 v[42:43], v[4:5], off
	v_ashrrev_i32_e32 v3, 31, v2
	v_lshlrev_b64 v[50:51], 3, v[2:3]
	v_mov_b32_e32 v9, s23
	v_add_co_u32_e32 v46, vcc, s22, v50
	v_addc_co_u32_e32 v47, vcc, v9, v51, vcc
	global_load_dwordx2 v[48:49], v[46:47], off
	v_add_u32_e32 v3, 1, v41
	v_mov_b32_e32 v9, v8
	ds_write_b32 v8, v3 offset:36
	ds_write_b64 v8, v[8:9]
	v_mov_b32_e32 v38, 0
	v_mov_b32_e32 v39, 0x3ff00000
	s_waitcnt vmcnt(2)
	v_add_f64 v[40:41], v[52:53], -v[44:45]
	s_waitcnt vmcnt(1)
	v_add_f64 v[52:53], v[42:43], v[42:43]
	v_div_scale_f64 v[54:55], s[8:9], v[52:53], v[52:53], v[40:41]
	v_rcp_f64_e32 v[56:57], v[54:55]
	v_div_scale_f64 v[64:65], vcc, v[40:41], v[52:53], v[40:41]
	v_cmp_gt_i32_e64 s[8:9], v2, v34
	v_fma_f64 v[66:67], -v[54:55], v[56:57], 1.0
	v_fmac_f64_e32 v[56:57], v[56:57], v[66:67]
	v_fma_f64 v[66:67], -v[54:55], v[56:57], 1.0
	v_fmac_f64_e32 v[56:57], v[56:57], v[66:67]
	v_mul_f64 v[66:67], v[64:65], v[56:57]
	v_fma_f64 v[54:55], -v[54:55], v[66:67], v[64:65]
	v_div_fmas_f64 v[54:55], v[54:55], v[56:57], v[66:67]
	v_div_fixup_f64 v[40:41], v[54:55], v[52:53], v[40:41]
	v_fma_f64 v[52:53], v[40:41], v[40:41], 1.0
	v_cmp_gt_f64_e32 vcc, s[64:65], v[52:53]
	v_cndmask_b32_e64 v27, 0, 1, vcc
	v_lshlrev_b32_e32 v27, 8, v27
	v_ldexp_f64 v[52:53], v[52:53], v27
	v_rsq_f64_e32 v[54:55], v[52:53]
	v_cndmask_b32_e32 v3, 0, v60, vcc
	v_cmp_class_f64_e32 vcc, v[52:53], v59
	v_mul_f64 v[56:57], v[52:53], v[54:55]
	v_mul_f64 v[54:55], v[54:55], 0.5
	v_fma_f64 v[64:65], -v[54:55], v[56:57], 0.5
	v_fmac_f64_e32 v[56:57], v[56:57], v[64:65]
	v_fmac_f64_e32 v[54:55], v[54:55], v[64:65]
	v_fma_f64 v[64:65], -v[56:57], v[56:57], v[52:53]
	v_fmac_f64_e32 v[56:57], v[64:65], v[54:55]
	v_fma_f64 v[64:65], -v[56:57], v[56:57], v[52:53]
	v_fmac_f64_e32 v[56:57], v[64:65], v[54:55]
	v_ldexp_f64 v[54:55], v[56:57], v3
	v_cndmask_b32_e32 v3, v55, v53, vcc
	v_cndmask_b32_e32 v52, v54, v52, vcc
	v_and_b32_e32 v9, 0x7fffffff, v3
	v_or_b32_e32 v3, 0x80000000, v3
	v_cmp_nle_f64_e32 vcc, 0, v[40:41]
	v_cndmask_b32_e32 v53, v9, v3, vcc
	v_add_f64 v[40:41], v[40:41], v[52:53]
	v_div_scale_f64 v[52:53], s[74:75], v[40:41], v[40:41], v[42:43]
	v_rcp_f64_e32 v[54:55], v[52:53]
	v_div_scale_f64 v[64:65], vcc, v[42:43], v[40:41], v[42:43]
	s_waitcnt vmcnt(0)
	v_add_f64 v[56:57], v[48:49], -v[44:45]
	v_fma_f64 v[66:67], -v[52:53], v[54:55], 1.0
	v_fmac_f64_e32 v[54:55], v[54:55], v[66:67]
	v_fma_f64 v[66:67], -v[52:53], v[54:55], 1.0
	v_fmac_f64_e32 v[54:55], v[54:55], v[66:67]
	v_mul_f64 v[66:67], v[64:65], v[54:55]
	v_fma_f64 v[52:53], -v[52:53], v[66:67], v[64:65]
	v_div_fmas_f64 v[52:53], v[52:53], v[54:55], v[66:67]
	v_div_fixup_f64 v[40:41], v[52:53], v[40:41], v[42:43]
	v_add_f64 v[40:41], v[56:57], v[40:41]
	v_pk_mov_b32 v[42:43], 0, 0
	s_and_saveexec_b64 s[74:75], s[8:9]
	s_cbranch_execz .LBB192_94
; %bb.69:                               ;   in Loop: Header=BB192_53 Depth=2
	v_mov_b32_e32 v3, s49
	v_add_co_u32_e32 v42, vcc, s48, v50
	v_addc_co_u32_e32 v43, vcc, v3, v51, vcc
	global_load_dwordx2 v[44:45], v[42:43], off
	v_pk_mov_b32 v[52:53], 0, 0
	s_waitcnt vmcnt(0)
	v_cmp_neq_f64_e32 vcc, 0, v[44:45]
	s_and_saveexec_b64 s[8:9], vcc
	s_cbranch_execz .LBB192_77
; %bb.70:                               ;   in Loop: Header=BB192_53 Depth=2
	v_mov_b32_e32 v52, 0
	v_cmp_neq_f64_e32 vcc, 0, v[40:41]
	v_mov_b32_e32 v53, 0x3ff00000
	v_pk_mov_b32 v[38:39], 0, 0
	s_and_saveexec_b64 s[76:77], vcc
	s_cbranch_execz .LBB192_76
; %bb.71:                               ;   in Loop: Header=BB192_53 Depth=2
	v_cmp_ngt_f64_e64 s[78:79], |v[44:45]|, |v[40:41]|
                                        ; implicit-def: $vgpr52_vgpr53
                                        ; implicit-def: $vgpr38_vgpr39
	s_and_saveexec_b64 s[80:81], s[78:79]
	s_xor_b64 s[78:79], exec, s[80:81]
	s_cbranch_execz .LBB192_73
; %bb.72:                               ;   in Loop: Header=BB192_53 Depth=2
	v_div_scale_f64 v[38:39], s[80:81], v[40:41], v[40:41], -v[44:45]
	v_rcp_f64_e32 v[42:43], v[38:39]
	v_div_scale_f64 v[52:53], vcc, -v[44:45], v[40:41], -v[44:45]
	v_fma_f64 v[54:55], -v[38:39], v[42:43], 1.0
	v_fmac_f64_e32 v[42:43], v[42:43], v[54:55]
	v_fma_f64 v[54:55], -v[38:39], v[42:43], 1.0
	v_fmac_f64_e32 v[42:43], v[42:43], v[54:55]
	v_mul_f64 v[54:55], v[52:53], v[42:43]
	v_fma_f64 v[38:39], -v[38:39], v[54:55], v[52:53]
	v_div_fmas_f64 v[38:39], v[38:39], v[42:43], v[54:55]
	v_div_fixup_f64 v[40:41], v[38:39], v[40:41], -v[44:45]
	v_fma_f64 v[38:39], v[40:41], v[40:41], 1.0
	v_cmp_gt_f64_e32 vcc, s[64:65], v[38:39]
	v_cndmask_b32_e64 v3, 0, 1, vcc
	v_lshlrev_b32_e32 v3, 8, v3
	v_ldexp_f64 v[38:39], v[38:39], v3
	v_rsq_f64_e32 v[42:43], v[38:39]
	v_cndmask_b32_e32 v3, 0, v60, vcc
	v_cmp_class_f64_e32 vcc, v[38:39], v59
	v_mul_f64 v[52:53], v[38:39], v[42:43]
	v_mul_f64 v[42:43], v[42:43], 0.5
	v_fma_f64 v[54:55], -v[42:43], v[52:53], 0.5
	v_fmac_f64_e32 v[52:53], v[52:53], v[54:55]
	v_fma_f64 v[56:57], -v[52:53], v[52:53], v[38:39]
	v_fmac_f64_e32 v[42:43], v[42:43], v[54:55]
	v_fmac_f64_e32 v[52:53], v[56:57], v[42:43]
	v_fma_f64 v[54:55], -v[52:53], v[52:53], v[38:39]
	v_fmac_f64_e32 v[52:53], v[54:55], v[42:43]
	v_ldexp_f64 v[42:43], v[52:53], v3
	v_cndmask_b32_e32 v39, v43, v39, vcc
	v_cndmask_b32_e32 v38, v42, v38, vcc
	v_div_scale_f64 v[42:43], s[80:81], v[38:39], v[38:39], 1.0
	v_rcp_f64_e32 v[52:53], v[42:43]
	v_fma_f64 v[54:55], -v[42:43], v[52:53], 1.0
	v_fmac_f64_e32 v[52:53], v[52:53], v[54:55]
	v_fma_f64 v[54:55], -v[42:43], v[52:53], 1.0
	v_fmac_f64_e32 v[52:53], v[52:53], v[54:55]
	v_div_scale_f64 v[54:55], vcc, 1.0, v[38:39], 1.0
	v_mul_f64 v[56:57], v[54:55], v[52:53]
	v_fma_f64 v[42:43], -v[42:43], v[56:57], v[54:55]
	s_nop 1
	v_div_fmas_f64 v[42:43], v[42:43], v[52:53], v[56:57]
	v_div_fixup_f64 v[38:39], v[42:43], v[38:39], 1.0
	v_mul_f64 v[52:53], v[40:41], v[38:39]
                                        ; implicit-def: $vgpr40_vgpr41
.LBB192_73:                             ;   in Loop: Header=BB192_53 Depth=2
	s_andn2_saveexec_b64 s[78:79], s[78:79]
	s_cbranch_execz .LBB192_75
; %bb.74:                               ;   in Loop: Header=BB192_53 Depth=2
	v_div_scale_f64 v[38:39], s[80:81], v[44:45], v[44:45], -v[40:41]
	v_rcp_f64_e32 v[42:43], v[38:39]
	v_div_scale_f64 v[52:53], vcc, -v[40:41], v[44:45], -v[40:41]
	v_fma_f64 v[54:55], -v[38:39], v[42:43], 1.0
	v_fmac_f64_e32 v[42:43], v[42:43], v[54:55]
	v_fma_f64 v[54:55], -v[38:39], v[42:43], 1.0
	v_fmac_f64_e32 v[42:43], v[42:43], v[54:55]
	v_mul_f64 v[54:55], v[52:53], v[42:43]
	v_fma_f64 v[38:39], -v[38:39], v[54:55], v[52:53]
	v_div_fmas_f64 v[38:39], v[38:39], v[42:43], v[54:55]
	v_div_fixup_f64 v[38:39], v[38:39], v[44:45], -v[40:41]
	v_fma_f64 v[40:41], v[38:39], v[38:39], 1.0
	v_cmp_gt_f64_e32 vcc, s[64:65], v[40:41]
	v_cndmask_b32_e64 v3, 0, 1, vcc
	v_lshlrev_b32_e32 v3, 8, v3
	v_ldexp_f64 v[40:41], v[40:41], v3
	v_rsq_f64_e32 v[42:43], v[40:41]
	v_cndmask_b32_e32 v3, 0, v60, vcc
	v_cmp_class_f64_e32 vcc, v[40:41], v59
	v_mul_f64 v[52:53], v[40:41], v[42:43]
	v_mul_f64 v[42:43], v[42:43], 0.5
	v_fma_f64 v[54:55], -v[42:43], v[52:53], 0.5
	v_fmac_f64_e32 v[52:53], v[52:53], v[54:55]
	v_fma_f64 v[56:57], -v[52:53], v[52:53], v[40:41]
	v_fmac_f64_e32 v[42:43], v[42:43], v[54:55]
	v_fmac_f64_e32 v[52:53], v[56:57], v[42:43]
	v_fma_f64 v[54:55], -v[52:53], v[52:53], v[40:41]
	v_fmac_f64_e32 v[52:53], v[54:55], v[42:43]
	v_ldexp_f64 v[42:43], v[52:53], v3
	v_cndmask_b32_e32 v41, v43, v41, vcc
	v_cndmask_b32_e32 v40, v42, v40, vcc
	v_div_scale_f64 v[42:43], s[80:81], v[40:41], v[40:41], 1.0
	v_rcp_f64_e32 v[52:53], v[42:43]
	v_fma_f64 v[54:55], -v[42:43], v[52:53], 1.0
	v_fmac_f64_e32 v[52:53], v[52:53], v[54:55]
	v_fma_f64 v[54:55], -v[42:43], v[52:53], 1.0
	v_fmac_f64_e32 v[52:53], v[52:53], v[54:55]
	v_div_scale_f64 v[54:55], vcc, 1.0, v[40:41], 1.0
	v_mul_f64 v[56:57], v[54:55], v[52:53]
	v_fma_f64 v[42:43], -v[42:43], v[56:57], v[54:55]
	s_nop 1
	v_div_fmas_f64 v[42:43], v[42:43], v[52:53], v[56:57]
	v_div_fixup_f64 v[52:53], v[42:43], v[40:41], 1.0
	v_mul_f64 v[38:39], v[38:39], v[52:53]
.LBB192_75:                             ;   in Loop: Header=BB192_53 Depth=2
	s_or_b64 exec, exec, s[78:79]
.LBB192_76:                             ;   in Loop: Header=BB192_53 Depth=2
	s_or_b64 exec, exec, s[76:77]
.LBB192_77:                             ;   in Loop: Header=BB192_53 Depth=2
	s_or_b64 exec, exec, s[8:9]
	global_load_dwordx2 v[40:41], v[46:47], off offset:-8
	v_mov_b32_e32 v3, s51
	v_add_co_u32_e32 v50, vcc, s50, v50
	v_addc_co_u32_e32 v51, vcc, v3, v51, vcc
	v_add_f64 v[42:43], v[38:39], v[38:39]
	v_mov_b32_e32 v9, s55
	v_add_co_u32_e32 v56, vcc, s54, v50
	v_add_u32_e32 v54, -1, v2
	v_addc_co_u32_e32 v57, vcc, v51, v9, vcc
	v_cmp_gt_i32_e32 vcc, v54, v34
	s_waitcnt vmcnt(0)
	v_add_f64 v[40:41], v[40:41], -v[48:49]
	v_mul_f64 v[40:41], v[52:53], v[40:41]
	v_fma_f64 v[40:41], v[44:45], v[42:43], -v[40:41]
	v_mul_f64 v[42:43], v[40:41], -v[52:53]
	v_fma_f64 v[48:49], v[40:41], -v[52:53], v[48:49]
	v_fma_f64 v[40:41], v[38:39], v[40:41], -v[44:45]
	ds_write_b64 v8, v[42:43]
	global_store_dwordx2 v[46:47], v[48:49], off
	global_store_dwordx2 v[50:51], v[38:39], off
	global_store_dwordx2 v[56:57], v[52:53], off offset:-8
	s_and_saveexec_b64 s[8:9], vcc
	s_cbranch_execz .LBB192_93
; %bb.78:                               ;   in Loop: Header=BB192_53 Depth=2
	v_ashrrev_i32_e32 v55, 31, v54
	v_readlane_b32 s82, v70, 8
	v_xor_b32_e32 v53, 0x80000000, v53
	v_lshlrev_b64 v[44:45], 3, v[54:55]
	s_mov_b32 s17, -1
	s_mov_b64 s[76:77], 0
	s_mov_b64 s[78:79], s[48:49]
	;; [unrolled: 1-line block ×3, first 2 shown]
	v_readlane_b32 s83, v70, 9
	s_mov_b64 s[84:85], s[50:51]
	s_branch .LBB192_80
.LBB192_79:                             ;   in Loop: Header=BB192_80 Depth=3
	v_mov_b32_e32 v3, s81
	v_add_co_u32_e32 v64, vcc, s80, v44
	v_addc_co_u32_e32 v65, vcc, v3, v45, vcc
	global_load_dwordx4 v[48:51], v[64:65], off offset:-8
	v_mul_f64 v[38:39], v[38:39], v[46:47]
	v_mov_b32_e32 v3, s85
	v_add_co_u32_e32 v46, vcc, s84, v44
	s_add_u32 s84, s84, -8
	v_addc_co_u32_e32 v47, vcc, v3, v45, vcc
	s_addc_u32 s85, s85, -1
	v_add_co_u32_e32 v66, vcc, s82, v44
	s_add_u32 s82, s82, -8
	v_mov_b32_e32 v9, s83
	s_addc_u32 s83, s83, -1
	s_add_i32 s17, s17, -1
	s_add_u32 s80, s80, -8
	s_addc_u32 s81, s81, -1
	v_add_f64 v[40:41], v[54:55], v[54:55]
	v_addc_co_u32_e32 v67, vcc, v9, v45, vcc
	v_add_u32_e32 v3, s17, v2
	s_add_u32 s78, s78, -8
	v_cmp_le_i32_e32 vcc, v3, v34
	s_addc_u32 s79, s79, -1
	v_xor_b32_e32 v53, 0x80000000, v57
	v_mov_b32_e32 v52, v56
	s_or_b64 s[76:77], vcc, s[76:77]
	s_waitcnt vmcnt(0)
	v_add_f64 v[50:51], v[50:51], -v[42:43]
	v_add_f64 v[42:43], v[48:49], -v[50:51]
	v_mul_f64 v[42:43], v[56:57], v[42:43]
	v_fma_f64 v[40:41], v[38:39], v[40:41], -v[42:43]
	v_mul_f64 v[42:43], v[40:41], -v[56:57]
	v_fma_f64 v[48:49], v[40:41], -v[56:57], v[50:51]
	v_fma_f64 v[40:41], v[54:55], v[40:41], -v[38:39]
	v_pk_mov_b32 v[38:39], v[54:55], v[54:55] op_sel:[0,1]
	global_store_dwordx2 v[64:65], v[48:49], off
	global_store_dwordx2 v[46:47], v[54:55], off
	;; [unrolled: 1-line block ×3, first 2 shown]
	s_andn2_b64 exec, exec, s[76:77]
	s_cbranch_execz .LBB192_92
.LBB192_80:                             ;   Parent Loop BB192_7 Depth=1
                                        ;     Parent Loop BB192_53 Depth=2
                                        ; =>    This Inner Loop Header: Depth=3
	v_mov_b32_e32 v3, s79
	v_add_co_u32_e32 v48, vcc, s78, v44
	v_addc_co_u32_e32 v49, vcc, v3, v45, vcc
	global_load_dwordx2 v[46:47], v[48:49], off
	v_mov_b32_e32 v54, 0
	v_mov_b32_e32 v55, 0x3ff00000
	v_pk_mov_b32 v[56:57], 0, 0
	s_waitcnt vmcnt(0)
	v_mul_f64 v[50:51], v[52:53], v[46:47]
	v_cmp_neq_f64_e32 vcc, 0, v[50:51]
	s_and_saveexec_b64 s[86:87], vcc
	s_cbranch_execz .LBB192_90
; %bb.81:                               ;   in Loop: Header=BB192_80 Depth=3
	v_cmp_neq_f64_e32 vcc, 0, v[40:41]
                                        ; implicit-def: $vgpr56_vgpr57
                                        ; implicit-def: $vgpr54_vgpr55
	s_and_saveexec_b64 s[88:89], vcc
	s_xor_b64 s[88:89], exec, s[88:89]
	s_cbranch_execz .LBB192_87
; %bb.82:                               ;   in Loop: Header=BB192_80 Depth=3
	v_cmp_ngt_f64_e64 s[90:91], |v[50:51]|, |v[40:41]|
                                        ; implicit-def: $vgpr56_vgpr57
                                        ; implicit-def: $vgpr54_vgpr55
	s_and_saveexec_b64 vcc, s[90:91]
	s_xor_b64 s[90:91], exec, vcc
	s_cbranch_execz .LBB192_84
; %bb.83:                               ;   in Loop: Header=BB192_80 Depth=3
	v_div_scale_f64 v[52:53], s[42:43], v[40:41], v[40:41], -v[50:51]
	v_rcp_f64_e32 v[54:55], v[52:53]
	v_div_scale_f64 v[56:57], vcc, -v[50:51], v[40:41], -v[50:51]
	v_fma_f64 v[64:65], -v[52:53], v[54:55], 1.0
	v_fmac_f64_e32 v[54:55], v[54:55], v[64:65]
	v_fma_f64 v[64:65], -v[52:53], v[54:55], 1.0
	v_fmac_f64_e32 v[54:55], v[54:55], v[64:65]
	v_mul_f64 v[64:65], v[56:57], v[54:55]
	v_fma_f64 v[52:53], -v[52:53], v[64:65], v[56:57]
	v_div_fmas_f64 v[52:53], v[52:53], v[54:55], v[64:65]
	v_div_fixup_f64 v[52:53], v[52:53], v[40:41], -v[50:51]
	v_fma_f64 v[54:55], v[52:53], v[52:53], 1.0
	v_cmp_gt_f64_e32 vcc, s[64:65], v[54:55]
	v_cndmask_b32_e64 v3, 0, 1, vcc
	v_lshlrev_b32_e32 v3, 8, v3
	v_ldexp_f64 v[54:55], v[54:55], v3
	v_rsq_f64_e32 v[56:57], v[54:55]
	v_cndmask_b32_e32 v3, 0, v60, vcc
	v_cmp_class_f64_e32 vcc, v[54:55], v59
	v_mul_f64 v[64:65], v[54:55], v[56:57]
	v_mul_f64 v[56:57], v[56:57], 0.5
	v_fma_f64 v[66:67], -v[56:57], v[64:65], 0.5
	v_fmac_f64_e32 v[64:65], v[64:65], v[66:67]
	v_fmac_f64_e32 v[56:57], v[56:57], v[66:67]
	v_fma_f64 v[66:67], -v[64:65], v[64:65], v[54:55]
	v_fmac_f64_e32 v[64:65], v[66:67], v[56:57]
	v_fma_f64 v[66:67], -v[64:65], v[64:65], v[54:55]
	v_fmac_f64_e32 v[64:65], v[66:67], v[56:57]
	v_ldexp_f64 v[56:57], v[64:65], v3
	v_cndmask_b32_e32 v55, v57, v55, vcc
	v_cndmask_b32_e32 v54, v56, v54, vcc
	v_div_scale_f64 v[56:57], s[42:43], v[54:55], v[54:55], 1.0
	v_rcp_f64_e32 v[64:65], v[56:57]
	v_fma_f64 v[66:67], -v[56:57], v[64:65], 1.0
	v_fmac_f64_e32 v[64:65], v[64:65], v[66:67]
	v_fma_f64 v[66:67], -v[56:57], v[64:65], 1.0
	v_fmac_f64_e32 v[64:65], v[64:65], v[66:67]
	v_div_scale_f64 v[66:67], vcc, 1.0, v[54:55], 1.0
	v_mul_f64 v[68:69], v[66:67], v[64:65]
	v_fma_f64 v[56:57], -v[56:57], v[68:69], v[66:67]
	s_nop 1
	v_div_fmas_f64 v[56:57], v[56:57], v[64:65], v[68:69]
	v_div_fixup_f64 v[54:55], v[56:57], v[54:55], 1.0
	v_mul_f64 v[56:57], v[52:53], v[54:55]
.LBB192_84:                             ;   in Loop: Header=BB192_80 Depth=3
	s_andn2_saveexec_b64 s[90:91], s[90:91]
	s_cbranch_execz .LBB192_86
; %bb.85:                               ;   in Loop: Header=BB192_80 Depth=3
	v_div_scale_f64 v[52:53], s[42:43], v[50:51], v[50:51], -v[40:41]
	v_rcp_f64_e32 v[54:55], v[52:53]
	v_div_scale_f64 v[56:57], vcc, -v[40:41], v[50:51], -v[40:41]
	v_fma_f64 v[64:65], -v[52:53], v[54:55], 1.0
	v_fmac_f64_e32 v[54:55], v[54:55], v[64:65]
	v_fma_f64 v[64:65], -v[52:53], v[54:55], 1.0
	v_fmac_f64_e32 v[54:55], v[54:55], v[64:65]
	v_mul_f64 v[64:65], v[56:57], v[54:55]
	v_fma_f64 v[52:53], -v[52:53], v[64:65], v[56:57]
	v_div_fmas_f64 v[52:53], v[52:53], v[54:55], v[64:65]
	v_div_fixup_f64 v[52:53], v[52:53], v[50:51], -v[40:41]
	v_fma_f64 v[54:55], v[52:53], v[52:53], 1.0
	v_cmp_gt_f64_e32 vcc, s[64:65], v[54:55]
	v_cndmask_b32_e64 v3, 0, 1, vcc
	v_lshlrev_b32_e32 v3, 8, v3
	v_ldexp_f64 v[54:55], v[54:55], v3
	v_rsq_f64_e32 v[56:57], v[54:55]
	v_cndmask_b32_e32 v3, 0, v60, vcc
	v_cmp_class_f64_e32 vcc, v[54:55], v59
	v_mul_f64 v[64:65], v[54:55], v[56:57]
	v_mul_f64 v[56:57], v[56:57], 0.5
	v_fma_f64 v[66:67], -v[56:57], v[64:65], 0.5
	v_fmac_f64_e32 v[64:65], v[64:65], v[66:67]
	v_fmac_f64_e32 v[56:57], v[56:57], v[66:67]
	v_fma_f64 v[66:67], -v[64:65], v[64:65], v[54:55]
	v_fmac_f64_e32 v[64:65], v[66:67], v[56:57]
	v_fma_f64 v[66:67], -v[64:65], v[64:65], v[54:55]
	v_fmac_f64_e32 v[64:65], v[66:67], v[56:57]
	v_ldexp_f64 v[56:57], v[64:65], v3
	v_cndmask_b32_e32 v55, v57, v55, vcc
	v_cndmask_b32_e32 v54, v56, v54, vcc
	v_div_scale_f64 v[56:57], s[42:43], v[54:55], v[54:55], 1.0
	v_rcp_f64_e32 v[64:65], v[56:57]
	v_fma_f64 v[66:67], -v[56:57], v[64:65], 1.0
	v_fmac_f64_e32 v[64:65], v[64:65], v[66:67]
	v_fma_f64 v[66:67], -v[56:57], v[64:65], 1.0
	v_fmac_f64_e32 v[64:65], v[64:65], v[66:67]
	v_div_scale_f64 v[66:67], vcc, 1.0, v[54:55], 1.0
	v_mul_f64 v[68:69], v[66:67], v[64:65]
	v_fma_f64 v[56:57], -v[56:57], v[68:69], v[66:67]
	s_nop 1
	v_div_fmas_f64 v[56:57], v[56:57], v[64:65], v[68:69]
	v_div_fixup_f64 v[56:57], v[56:57], v[54:55], 1.0
	v_mul_f64 v[54:55], v[52:53], v[56:57]
.LBB192_86:                             ;   in Loop: Header=BB192_80 Depth=3
	s_or_b64 exec, exec, s[90:91]
	v_mul_f64 v[50:51], v[50:51], v[56:57]
	v_fma_f64 v[40:41], v[40:41], v[54:55], -v[50:51]
                                        ; implicit-def: $vgpr50_vgpr51
.LBB192_87:                             ;   in Loop: Header=BB192_80 Depth=3
	s_andn2_saveexec_b64 s[88:89], s[88:89]
; %bb.88:                               ;   in Loop: Header=BB192_80 Depth=3
	v_xor_b32_e32 v51, 0x80000000, v51
	v_mov_b32_e32 v56, 0
	v_mov_b32_e32 v57, 0x3ff00000
	v_pk_mov_b32 v[54:55], 0, 0
	v_pk_mov_b32 v[40:41], v[50:51], v[50:51] op_sel:[0,1]
; %bb.89:                               ;   in Loop: Header=BB192_80 Depth=3
	s_or_b64 exec, exec, s[88:89]
.LBB192_90:                             ;   in Loop: Header=BB192_80 Depth=3
	s_or_b64 exec, exec, s[86:87]
	s_cmp_eq_u32 s17, 0
	s_cbranch_scc1 .LBB192_79
; %bb.91:                               ;   in Loop: Header=BB192_80 Depth=3
	global_store_dwordx2 v[48:49], v[40:41], off offset:8
	s_branch .LBB192_79
.LBB192_92:                             ;   in Loop: Header=BB192_53 Depth=2
	s_or_b64 exec, exec, s[76:77]
	s_mov_b32 s86, 0x667f3bcd
	s_mov_b32 s87, 0x3ff6a09e
	ds_write_b64 v8, v[42:43]
.LBB192_93:                             ;   in Loop: Header=BB192_53 Depth=2
	s_or_b64 exec, exec, s[8:9]
	global_load_dwordx2 v[44:45], v[36:37], off
.LBB192_94:                             ;   in Loop: Header=BB192_53 Depth=2
	s_or_b64 exec, exec, s[74:75]
	s_waitcnt vmcnt(0)
	v_add_f64 v[2:3], v[44:45], -v[42:43]
	global_store_dwordx2 v[36:37], v[2:3], off
	global_store_dwordx2 v[4:5], v[40:41], off
                                        ; implicit-def: $vgpr38_vgpr39
                                        ; implicit-def: $vgpr36_vgpr37
                                        ; implicit-def: $vgpr34
                                        ; implicit-def: $vgpr44_vgpr45
.LBB192_95:                             ;   in Loop: Header=BB192_53 Depth=2
	s_andn2_saveexec_b64 s[72:73], s[72:73]
	s_cbranch_execz .LBB192_128
; %bb.96:                               ;   in Loop: Header=BB192_53 Depth=2
	v_mov_b32_e32 v2, s92
	v_add_co_u32_e32 v40, vcc, s14, v38
	v_addc_co_u32_e32 v41, vcc, v2, v39, vcc
	global_load_dwordx2 v[2:3], v[36:37], off offset:8
	global_load_dwordx2 v[48:49], v[40:41], off
                                        ; implicit-def: $vgpr50_vgpr51
	s_waitcnt vmcnt(1)
	v_add_f64 v[46:47], v[44:45], -v[2:3]
	s_waitcnt vmcnt(0)
	v_add_f64 v[42:43], v[48:49], v[48:49]
	v_cmp_ngt_f64_e64 s[8:9], |v[46:47]|, |v[42:43]|
	s_and_saveexec_b64 s[74:75], s[8:9]
	s_xor_b64 s[8:9], exec, s[74:75]
	s_cbranch_execz .LBB192_102
; %bb.97:                               ;   in Loop: Header=BB192_53 Depth=2
	v_cmp_nlt_f64_e64 s[74:75], |v[46:47]|, |v[42:43]|
                                        ; implicit-def: $vgpr50_vgpr51
	s_and_saveexec_b64 s[76:77], s[74:75]
	s_xor_b64 s[74:75], exec, s[76:77]
; %bb.98:                               ;   in Loop: Header=BB192_53 Depth=2
	v_mul_f64 v[50:51], |v[42:43]|, s[86:87]
; %bb.99:                               ;   in Loop: Header=BB192_53 Depth=2
	s_andn2_saveexec_b64 s[74:75], s[74:75]
	s_cbranch_execz .LBB192_101
; %bb.100:                              ;   in Loop: Header=BB192_53 Depth=2
	v_and_b32_e32 v5, 0x7fffffff, v47
	v_mov_b32_e32 v4, v46
	v_and_b32_e32 v51, 0x7fffffff, v43
	v_mov_b32_e32 v50, v42
	v_div_scale_f64 v[52:53], s[76:77], v[50:51], v[50:51], v[4:5]
	v_rcp_f64_e32 v[54:55], v[52:53]
	v_div_scale_f64 v[4:5], vcc, v[4:5], v[50:51], v[4:5]
	v_fma_f64 v[56:57], -v[52:53], v[54:55], 1.0
	v_fmac_f64_e32 v[54:55], v[54:55], v[56:57]
	v_fma_f64 v[56:57], -v[52:53], v[54:55], 1.0
	v_fmac_f64_e32 v[54:55], v[54:55], v[56:57]
	v_mul_f64 v[50:51], v[4:5], v[54:55]
	v_fma_f64 v[4:5], -v[52:53], v[50:51], v[4:5]
	v_div_fmas_f64 v[4:5], v[4:5], v[54:55], v[50:51]
	v_div_fixup_f64 v[4:5], v[4:5], |v[42:43]|, |v[46:47]|
	v_fma_f64 v[4:5], v[4:5], v[4:5], 1.0
	v_cmp_gt_f64_e32 vcc, s[64:65], v[4:5]
	v_cndmask_b32_e64 v9, 0, 1, vcc
	v_lshlrev_b32_e32 v9, 8, v9
	v_ldexp_f64 v[4:5], v[4:5], v9
	v_rsq_f64_e32 v[50:51], v[4:5]
	v_cndmask_b32_e32 v9, 0, v60, vcc
	v_cmp_class_f64_e32 vcc, v[4:5], v59
	v_mul_f64 v[52:53], v[4:5], v[50:51]
	v_mul_f64 v[50:51], v[50:51], 0.5
	v_fma_f64 v[54:55], -v[50:51], v[52:53], 0.5
	v_fmac_f64_e32 v[52:53], v[52:53], v[54:55]
	v_fma_f64 v[56:57], -v[52:53], v[52:53], v[4:5]
	v_fmac_f64_e32 v[50:51], v[50:51], v[54:55]
	v_fmac_f64_e32 v[52:53], v[56:57], v[50:51]
	v_fma_f64 v[54:55], -v[52:53], v[52:53], v[4:5]
	v_fmac_f64_e32 v[52:53], v[54:55], v[50:51]
	v_ldexp_f64 v[50:51], v[52:53], v9
	v_cndmask_b32_e32 v5, v51, v5, vcc
	v_cndmask_b32_e32 v4, v50, v4, vcc
	v_mul_f64 v[50:51], |v[42:43]|, v[4:5]
.LBB192_101:                            ;   in Loop: Header=BB192_53 Depth=2
	s_or_b64 exec, exec, s[74:75]
.LBB192_102:                            ;   in Loop: Header=BB192_53 Depth=2
	s_andn2_saveexec_b64 s[8:9], s[8:9]
	s_cbranch_execz .LBB192_104
; %bb.103:                              ;   in Loop: Header=BB192_53 Depth=2
	v_and_b32_e32 v5, 0x7fffffff, v43
	v_mov_b32_e32 v4, v42
	v_and_b32_e32 v51, 0x7fffffff, v47
	v_mov_b32_e32 v50, v46
	v_div_scale_f64 v[52:53], s[74:75], v[50:51], v[50:51], v[4:5]
	v_rcp_f64_e32 v[54:55], v[52:53]
	v_div_scale_f64 v[4:5], vcc, v[4:5], v[50:51], v[4:5]
	v_fma_f64 v[56:57], -v[52:53], v[54:55], 1.0
	v_fmac_f64_e32 v[54:55], v[54:55], v[56:57]
	v_fma_f64 v[56:57], -v[52:53], v[54:55], 1.0
	v_fmac_f64_e32 v[54:55], v[54:55], v[56:57]
	v_mul_f64 v[50:51], v[4:5], v[54:55]
	v_fma_f64 v[4:5], -v[52:53], v[50:51], v[4:5]
	v_div_fmas_f64 v[4:5], v[4:5], v[54:55], v[50:51]
	v_div_fixup_f64 v[4:5], v[4:5], |v[46:47]|, |v[42:43]|
	v_fma_f64 v[4:5], v[4:5], v[4:5], 1.0
	v_cmp_gt_f64_e32 vcc, s[64:65], v[4:5]
	v_cndmask_b32_e64 v9, 0, 1, vcc
	v_lshlrev_b32_e32 v9, 8, v9
	v_ldexp_f64 v[4:5], v[4:5], v9
	v_rsq_f64_e32 v[50:51], v[4:5]
	v_cndmask_b32_e32 v9, 0, v60, vcc
	v_cmp_class_f64_e32 vcc, v[4:5], v59
	v_mul_f64 v[52:53], v[4:5], v[50:51]
	v_mul_f64 v[50:51], v[50:51], 0.5
	v_fma_f64 v[54:55], -v[50:51], v[52:53], 0.5
	v_fmac_f64_e32 v[52:53], v[52:53], v[54:55]
	v_fma_f64 v[56:57], -v[52:53], v[52:53], v[4:5]
	v_fmac_f64_e32 v[50:51], v[50:51], v[54:55]
	v_fmac_f64_e32 v[52:53], v[56:57], v[50:51]
	v_fma_f64 v[54:55], -v[52:53], v[52:53], v[4:5]
	v_fmac_f64_e32 v[52:53], v[54:55], v[50:51]
	v_ldexp_f64 v[50:51], v[52:53], v9
	v_cndmask_b32_e32 v5, v51, v5, vcc
	v_cndmask_b32_e32 v4, v50, v4, vcc
	v_mul_f64 v[50:51], |v[46:47]|, v[4:5]
.LBB192_104:                            ;   in Loop: Header=BB192_53 Depth=2
	s_or_b64 exec, exec, s[8:9]
	v_add_f64 v[54:55], v[44:45], v[2:3]
	v_cmp_gt_f64_e64 vcc, |v[44:45]|, |v[2:3]|
	v_cndmask_b32_e32 v53, v45, v3, vcc
	v_cndmask_b32_e32 v52, v44, v2, vcc
	;; [unrolled: 1-line block ×4, first 2 shown]
	v_cmp_ngt_f64_e32 vcc, 0, v[54:55]
                                        ; implicit-def: $vgpr9
                                        ; implicit-def: $vgpr4_vgpr5
	s_and_saveexec_b64 s[8:9], vcc
	s_xor_b64 s[8:9], exec, s[8:9]
	s_cbranch_execz .LBB192_110
; %bb.105:                              ;   in Loop: Header=BB192_53 Depth=2
	v_cmp_nlt_f64_e32 vcc, 0, v[54:55]
                                        ; implicit-def: $sgpr17
                                        ; implicit-def: $vgpr4_vgpr5
	s_and_saveexec_b64 s[74:75], vcc
	s_xor_b64 s[74:75], exec, s[74:75]
; %bb.106:                              ;   in Loop: Header=BB192_53 Depth=2
	v_mul_f64 v[2:3], v[50:51], 0.5
	v_mul_f64 v[4:5], v[50:51], -0.5
	s_mov_b32 s17, 1
                                        ; implicit-def: $vgpr54_vgpr55
                                        ; implicit-def: $vgpr44_vgpr45
                                        ; implicit-def: $vgpr48_vgpr49
                                        ; implicit-def: $vgpr52_vgpr53
; %bb.107:                              ;   in Loop: Header=BB192_53 Depth=2
	s_or_saveexec_b64 s[74:75], s[74:75]
	v_mov_b32_e32 v9, s17
	s_xor_b64 exec, exec, s[74:75]
	s_cbranch_execz .LBB192_109
; %bb.108:                              ;   in Loop: Header=BB192_53 Depth=2
	v_add_f64 v[2:3], v[54:55], v[50:51]
	v_mul_f64 v[2:3], v[2:3], 0.5
	v_div_scale_f64 v[4:5], s[76:77], v[2:3], v[2:3], v[44:45]
	v_rcp_f64_e32 v[54:55], v[4:5]
	v_div_scale_f64 v[56:57], vcc, v[44:45], v[2:3], v[44:45]
	v_mov_b32_e32 v9, 1
	v_fma_f64 v[64:65], -v[4:5], v[54:55], 1.0
	v_fmac_f64_e32 v[54:55], v[54:55], v[64:65]
	v_fma_f64 v[64:65], -v[4:5], v[54:55], 1.0
	v_fmac_f64_e32 v[54:55], v[54:55], v[64:65]
	v_mul_f64 v[64:65], v[56:57], v[54:55]
	v_fma_f64 v[4:5], -v[4:5], v[64:65], v[56:57]
	v_div_scale_f64 v[56:57], s[76:77], v[2:3], v[2:3], v[48:49]
	v_rcp_f64_e32 v[66:67], v[56:57]
	v_div_fmas_f64 v[4:5], v[4:5], v[54:55], v[64:65]
	v_div_fixup_f64 v[4:5], v[4:5], v[2:3], v[44:45]
	v_fma_f64 v[44:45], -v[56:57], v[66:67], 1.0
	v_fmac_f64_e32 v[66:67], v[66:67], v[44:45]
	v_fma_f64 v[44:45], -v[56:57], v[66:67], 1.0
	v_fmac_f64_e32 v[66:67], v[66:67], v[44:45]
	v_div_scale_f64 v[44:45], vcc, v[48:49], v[2:3], v[48:49]
	v_mul_f64 v[54:55], v[44:45], v[66:67]
	v_fma_f64 v[44:45], -v[56:57], v[54:55], v[44:45]
	s_nop 1
	v_div_fmas_f64 v[44:45], v[44:45], v[66:67], v[54:55]
	v_div_fixup_f64 v[44:45], v[44:45], v[2:3], v[48:49]
	v_mul_f64 v[44:45], v[48:49], v[44:45]
	v_fma_f64 v[4:5], v[52:53], v[4:5], -v[44:45]
.LBB192_109:                            ;   in Loop: Header=BB192_53 Depth=2
	s_or_b64 exec, exec, s[74:75]
                                        ; implicit-def: $vgpr54_vgpr55
                                        ; implicit-def: $vgpr44_vgpr45
                                        ; implicit-def: $vgpr48_vgpr49
                                        ; implicit-def: $vgpr52_vgpr53
.LBB192_110:                            ;   in Loop: Header=BB192_53 Depth=2
	s_andn2_saveexec_b64 s[8:9], s[8:9]
	s_cbranch_execz .LBB192_112
; %bb.111:                              ;   in Loop: Header=BB192_53 Depth=2
	v_add_f64 v[2:3], v[54:55], -v[50:51]
	v_mul_f64 v[2:3], v[2:3], 0.5
	v_div_scale_f64 v[4:5], s[74:75], v[2:3], v[2:3], v[44:45]
	v_rcp_f64_e32 v[54:55], v[4:5]
	v_div_scale_f64 v[56:57], vcc, v[44:45], v[2:3], v[44:45]
	v_mov_b32_e32 v9, -1
	v_fma_f64 v[64:65], -v[4:5], v[54:55], 1.0
	v_fmac_f64_e32 v[54:55], v[54:55], v[64:65]
	v_fma_f64 v[64:65], -v[4:5], v[54:55], 1.0
	v_fmac_f64_e32 v[54:55], v[54:55], v[64:65]
	v_mul_f64 v[64:65], v[56:57], v[54:55]
	v_fma_f64 v[4:5], -v[4:5], v[64:65], v[56:57]
	v_div_scale_f64 v[56:57], s[74:75], v[2:3], v[2:3], v[48:49]
	v_rcp_f64_e32 v[66:67], v[56:57]
	v_div_fmas_f64 v[4:5], v[4:5], v[54:55], v[64:65]
	v_div_fixup_f64 v[4:5], v[4:5], v[2:3], v[44:45]
	v_fma_f64 v[44:45], -v[56:57], v[66:67], 1.0
	v_fmac_f64_e32 v[66:67], v[66:67], v[44:45]
	v_fma_f64 v[44:45], -v[56:57], v[66:67], 1.0
	v_fmac_f64_e32 v[66:67], v[66:67], v[44:45]
	v_div_scale_f64 v[44:45], vcc, v[48:49], v[2:3], v[48:49]
	v_mul_f64 v[54:55], v[44:45], v[66:67]
	v_fma_f64 v[44:45], -v[56:57], v[54:55], v[44:45]
	s_nop 1
	v_div_fmas_f64 v[44:45], v[44:45], v[66:67], v[54:55]
	v_div_fixup_f64 v[44:45], v[44:45], v[2:3], v[48:49]
	v_mul_f64 v[44:45], v[48:49], v[44:45]
	v_fma_f64 v[4:5], v[52:53], v[4:5], -v[44:45]
.LBB192_112:                            ;   in Loop: Header=BB192_53 Depth=2
	s_or_b64 exec, exec, s[8:9]
	v_xor_b32_e32 v27, 0x80000000, v51
	v_cmp_nle_f64_e64 s[8:9], 0, v[46:47]
	v_cndmask_b32_e64 v45, v51, v27, s[8:9]
	v_cndmask_b32_e64 v44, v50, v50, s[8:9]
	v_add_f64 v[44:45], v[46:47], v[44:45]
	v_cmp_ngt_f64_e64 s[74:75], |v[44:45]|, |v[42:43]|
                                        ; implicit-def: $vgpr46_vgpr47
                                        ; implicit-def: $vgpr48_vgpr49
	s_and_saveexec_b64 s[76:77], s[74:75]
	s_xor_b64 s[74:75], exec, s[76:77]
	s_cbranch_execz .LBB192_116
; %bb.113:                              ;   in Loop: Header=BB192_53 Depth=2
	v_mov_b32_e32 v46, 0
	v_cmp_neq_f64_e32 vcc, 0, v[42:43]
	v_mov_b32_e32 v47, 0x3ff00000
	v_pk_mov_b32 v[48:49], 0, 0
	s_and_saveexec_b64 s[76:77], vcc
	s_cbranch_execz .LBB192_115
; %bb.114:                              ;   in Loop: Header=BB192_53 Depth=2
	v_div_scale_f64 v[46:47], s[78:79], v[42:43], v[42:43], -v[44:45]
	v_rcp_f64_e32 v[48:49], v[46:47]
	v_div_scale_f64 v[50:51], vcc, -v[44:45], v[42:43], -v[44:45]
	v_fma_f64 v[52:53], -v[46:47], v[48:49], 1.0
	v_fmac_f64_e32 v[48:49], v[48:49], v[52:53]
	v_fma_f64 v[52:53], -v[46:47], v[48:49], 1.0
	v_fmac_f64_e32 v[48:49], v[48:49], v[52:53]
	v_mul_f64 v[52:53], v[50:51], v[48:49]
	v_fma_f64 v[46:47], -v[46:47], v[52:53], v[50:51]
	v_div_fmas_f64 v[46:47], v[46:47], v[48:49], v[52:53]
	v_div_fixup_f64 v[42:43], v[46:47], v[42:43], -v[44:45]
	v_fma_f64 v[44:45], v[42:43], v[42:43], 1.0
	v_cmp_gt_f64_e32 vcc, s[64:65], v[44:45]
	v_cndmask_b32_e64 v27, 0, 1, vcc
	v_lshlrev_b32_e32 v27, 8, v27
	v_ldexp_f64 v[44:45], v[44:45], v27
	v_rsq_f64_e32 v[46:47], v[44:45]
	v_cndmask_b32_e32 v27, 0, v60, vcc
	v_cmp_class_f64_e32 vcc, v[44:45], v59
	v_mul_f64 v[48:49], v[44:45], v[46:47]
	v_mul_f64 v[46:47], v[46:47], 0.5
	v_fma_f64 v[50:51], -v[46:47], v[48:49], 0.5
	v_fmac_f64_e32 v[48:49], v[48:49], v[50:51]
	v_fma_f64 v[52:53], -v[48:49], v[48:49], v[44:45]
	v_fmac_f64_e32 v[46:47], v[46:47], v[50:51]
	v_fmac_f64_e32 v[48:49], v[52:53], v[46:47]
	v_fma_f64 v[50:51], -v[48:49], v[48:49], v[44:45]
	v_fmac_f64_e32 v[48:49], v[50:51], v[46:47]
	v_ldexp_f64 v[46:47], v[48:49], v27
	v_cndmask_b32_e32 v45, v47, v45, vcc
	v_cndmask_b32_e32 v44, v46, v44, vcc
	v_div_scale_f64 v[46:47], s[78:79], v[44:45], v[44:45], 1.0
	v_rcp_f64_e32 v[48:49], v[46:47]
	v_fma_f64 v[50:51], -v[46:47], v[48:49], 1.0
	v_fmac_f64_e32 v[48:49], v[48:49], v[50:51]
	v_fma_f64 v[50:51], -v[46:47], v[48:49], 1.0
	v_fmac_f64_e32 v[48:49], v[48:49], v[50:51]
	v_div_scale_f64 v[50:51], vcc, 1.0, v[44:45], 1.0
	v_mul_f64 v[52:53], v[50:51], v[48:49]
	v_fma_f64 v[46:47], -v[46:47], v[52:53], v[50:51]
	s_nop 1
	v_div_fmas_f64 v[46:47], v[46:47], v[48:49], v[52:53]
	v_div_fixup_f64 v[46:47], v[46:47], v[44:45], 1.0
	v_mul_f64 v[48:49], v[42:43], v[46:47]
.LBB192_115:                            ;   in Loop: Header=BB192_53 Depth=2
	s_or_b64 exec, exec, s[76:77]
                                        ; implicit-def: $vgpr44_vgpr45
                                        ; implicit-def: $vgpr42_vgpr43
.LBB192_116:                            ;   in Loop: Header=BB192_53 Depth=2
	s_andn2_saveexec_b64 s[74:75], s[74:75]
	s_cbranch_execz .LBB192_118
; %bb.117:                              ;   in Loop: Header=BB192_53 Depth=2
	v_div_scale_f64 v[46:47], s[76:77], v[44:45], v[44:45], -v[42:43]
	v_rcp_f64_e32 v[48:49], v[46:47]
	v_div_scale_f64 v[50:51], vcc, -v[42:43], v[44:45], -v[42:43]
	v_fma_f64 v[52:53], -v[46:47], v[48:49], 1.0
	v_fmac_f64_e32 v[48:49], v[48:49], v[52:53]
	v_fma_f64 v[52:53], -v[46:47], v[48:49], 1.0
	v_fmac_f64_e32 v[48:49], v[48:49], v[52:53]
	v_mul_f64 v[52:53], v[50:51], v[48:49]
	v_fma_f64 v[46:47], -v[46:47], v[52:53], v[50:51]
	v_div_fmas_f64 v[46:47], v[46:47], v[48:49], v[52:53]
	v_div_fixup_f64 v[42:43], v[46:47], v[44:45], -v[42:43]
	v_fma_f64 v[44:45], v[42:43], v[42:43], 1.0
	v_cmp_gt_f64_e32 vcc, s[64:65], v[44:45]
	v_cndmask_b32_e64 v27, 0, 1, vcc
	v_lshlrev_b32_e32 v27, 8, v27
	v_ldexp_f64 v[44:45], v[44:45], v27
	v_rsq_f64_e32 v[46:47], v[44:45]
	v_cndmask_b32_e32 v27, 0, v60, vcc
	v_cmp_class_f64_e32 vcc, v[44:45], v59
	v_mul_f64 v[48:49], v[44:45], v[46:47]
	v_mul_f64 v[46:47], v[46:47], 0.5
	v_fma_f64 v[50:51], -v[46:47], v[48:49], 0.5
	v_fmac_f64_e32 v[48:49], v[48:49], v[50:51]
	v_fma_f64 v[52:53], -v[48:49], v[48:49], v[44:45]
	v_fmac_f64_e32 v[46:47], v[46:47], v[50:51]
	v_fmac_f64_e32 v[48:49], v[52:53], v[46:47]
	v_fma_f64 v[50:51], -v[48:49], v[48:49], v[44:45]
	v_fmac_f64_e32 v[48:49], v[50:51], v[46:47]
	v_ldexp_f64 v[46:47], v[48:49], v27
	v_cndmask_b32_e32 v45, v47, v45, vcc
	v_cndmask_b32_e32 v44, v46, v44, vcc
	v_div_scale_f64 v[46:47], s[76:77], v[44:45], v[44:45], 1.0
	v_rcp_f64_e32 v[48:49], v[46:47]
	v_fma_f64 v[50:51], -v[46:47], v[48:49], 1.0
	v_fmac_f64_e32 v[48:49], v[48:49], v[50:51]
	v_fma_f64 v[50:51], -v[46:47], v[48:49], 1.0
	v_fmac_f64_e32 v[48:49], v[48:49], v[50:51]
	v_div_scale_f64 v[50:51], vcc, 1.0, v[44:45], 1.0
	v_mul_f64 v[52:53], v[50:51], v[48:49]
	v_fma_f64 v[46:47], -v[46:47], v[52:53], v[50:51]
	s_nop 1
	v_div_fmas_f64 v[46:47], v[46:47], v[48:49], v[52:53]
	v_div_fixup_f64 v[48:49], v[46:47], v[44:45], 1.0
	v_mul_f64 v[46:47], v[42:43], v[48:49]
.LBB192_118:                            ;   in Loop: Header=BB192_53 Depth=2
	s_or_b64 exec, exec, s[74:75]
	v_cndmask_b32_e64 v27, 1, -1, s[8:9]
	v_xor_b32_e32 v35, 0x80000000, v49
	v_cmp_eq_u32_e32 vcc, v9, v27
	v_cndmask_b32_e32 v43, v49, v47, vcc
	v_cndmask_b32_e32 v42, v48, v46, vcc
	;; [unrolled: 1-line block ×4, first 2 shown]
	v_mov_b32_e32 v9, s66
	v_add_co_u32_e32 v38, vcc, s95, v38
	v_addc_co_u32_e32 v39, vcc, v9, v39, vcc
	global_store_dwordx2 v[38:39], v[44:45], off
	v_mov_b32_e32 v9, s55
	v_add_co_u32_e32 v38, vcc, s54, v38
	v_addc_co_u32_e32 v39, vcc, v39, v9, vcc
	global_store_dwordx2 v[38:39], v[42:43], off offset:-8
	global_store_dwordx4 v[36:37], v[2:5], off
	v_mov_b32_e32 v9, v8
	v_add_u32_e32 v2, 2, v34
	global_store_dwordx2 v[40:41], v[8:9], off
	ds_write_b32 v8, v2 offset:16
	s_or_b64 exec, exec, s[72:73]
                                        ; implicit-def: $vgpr3
.LBB192_119:                            ;   in Loop: Header=BB192_53 Depth=2
	s_andn2_saveexec_b64 s[8:9], s[70:71]
	s_cbranch_execz .LBB192_121
.LBB192_120:                            ;   in Loop: Header=BB192_53 Depth=2
	ds_write_b32 v8, v3 offset:16
.LBB192_121:                            ;   in Loop: Header=BB192_53 Depth=2
	s_or_b64 exec, exec, s[8:9]
.LBB192_122:                            ;   in Loop: Header=BB192_53 Depth=2
	s_or_b64 exec, exec, s[68:69]
	s_waitcnt lgkmcnt(0)
	s_barrier
	ds_read_b64 v[2:3], v8 offset:16
	s_waitcnt lgkmcnt(0)
	v_readfirstlane_b32 s8, v3
	v_cmp_eq_u32_e32 vcc, s8, v2
	v_mov_b32_e32 v34, s8
	s_cbranch_vccnz .LBB192_52
; %bb.123:                              ;   in Loop: Header=BB192_53 Depth=2
	s_and_saveexec_b64 s[68:69], s[2:3]
	s_cbranch_execz .LBB192_51
; %bb.124:                              ;   in Loop: Header=BB192_53 Depth=2
	ds_read_b32 v2, v8 offset:28
	s_mov_b64 s[72:73], 0
	v_mov_b32_e32 v38, v6
	s_waitcnt lgkmcnt(0)
	v_readfirstlane_b32 s9, v2
	s_mul_i32 s42, s9, s15
	s_ashr_i32 s43, s42, 31
	s_lshl_b64 s[42:43], s[42:43], 4
	s_add_u32 s17, s93, s42
	s_addc_u32 s41, s94, s43
	s_sub_i32 s74, s8, s9
	s_mul_hi_i32 s9, s74, s46
	s_mul_i32 s8, s74, s46
	s_lshl_b64 s[8:9], s[8:9], 4
	s_add_u32 s75, s17, s8
	s_addc_u32 s76, s41, s9
	s_cmp_gt_i32 s74, 0
	v_ashrrev_i32_e32 v3, 31, v2
	s_cselect_b64 s[70:71], -1, 0
	s_add_i32 s62, s74, -1
	v_lshlrev_b64 v[2:3], 3, v[2:3]
	s_lshl_b64 s[8:9], s[62:63], 3
	v_mov_b32_e32 v4, s9
	v_add_co_u32_e32 v2, vcc, s8, v2
	s_mul_i32 s8, s59, s62
	s_mul_hi_u32 s9, s58, s62
	v_addc_co_u32_e32 v3, vcc, v3, v4, vcc
	s_add_i32 s9, s9, s8
	s_mul_i32 s8, s58, s62
	v_mov_b32_e32 v4, s66
	v_add_co_u32_e32 v34, vcc, s95, v2
	s_add_u32 s8, s8, s42
	v_addc_co_u32_e32 v35, vcc, v4, v3, vcc
	s_addc_u32 s9, s9, s43
	v_mov_b32_e32 v2, s9
	v_add_co_u32_e32 v36, vcc, s8, v7
	v_addc_co_u32_e32 v37, vcc, v58, v2, vcc
	s_branch .LBB192_126
.LBB192_125:                            ;   in Loop: Header=BB192_126 Depth=3
	v_add_u32_e32 v38, s36, v38
	v_cmp_le_i32_e32 vcc, s10, v38
	s_waitcnt vmcnt(0)
	global_store_dwordx4 v[40:41], v[2:5], off
	s_or_b64 s[72:73], vcc, s[72:73]
	v_mov_b32_e32 v2, s61
	v_add_co_u32_e32 v36, vcc, s60, v36
	v_addc_co_u32_e32 v37, vcc, v37, v2, vcc
	s_andn2_b64 exec, exec, s[72:73]
	s_cbranch_execz .LBB192_51
.LBB192_126:                            ;   Parent Loop BB192_7 Depth=1
                                        ;     Parent Loop BB192_53 Depth=2
                                        ; =>    This Loop Header: Depth=3
                                        ;         Child Loop BB192_127 Depth 4
	v_ashrrev_i32_e32 v39, 31, v38
	v_lshlrev_b64 v[40:41], 4, v[38:39]
	v_mov_b32_e32 v3, s76
	v_add_co_u32_e32 v2, vcc, s75, v40
	v_addc_co_u32_e32 v3, vcc, v3, v41, vcc
	global_load_dwordx4 v[2:5], v[2:3], off
	v_mov_b32_e32 v9, s41
	v_add_co_u32_e32 v40, vcc, s17, v40
	v_addc_co_u32_e32 v41, vcc, v9, v41, vcc
	s_andn2_b64 vcc, exec, s[70:71]
	v_pk_mov_b32 v[42:43], v[36:37], v[36:37] op_sel:[0,1]
	v_pk_mov_b32 v[44:45], v[34:35], v[34:35] op_sel:[0,1]
	s_mov_b32 s8, s74
	s_cbranch_vccnz .LBB192_125
.LBB192_127:                            ;   Parent Loop BB192_7 Depth=1
                                        ;     Parent Loop BB192_53 Depth=2
                                        ;       Parent Loop BB192_126 Depth=3
                                        ; =>      This Inner Loop Header: Depth=4
	v_mov_b32_e32 v9, s27
	v_add_co_u32_e32 v50, vcc, s11, v44
	v_addc_co_u32_e32 v51, vcc, v45, v9, vcc
	global_load_dwordx4 v[46:49], v[42:43], off offset:-8
	s_nop 0
	global_load_dwordx2 v[50:51], v[50:51], off
	s_nop 0
	global_load_dwordx2 v[52:53], v[44:45], off
	s_mul_i32 s43, s8, s47
	s_mul_hi_u32 s77, s8, s46
	s_waitcnt vmcnt(3)
	v_pk_mov_b32 v[56:57], v[2:3], v[2:3] op_sel:[0,1]
	s_mul_i32 s42, s8, s46
	v_mov_b32_e32 v2, s56
	v_add_co_u32_e32 v42, vcc, s37, v42
	s_add_i32 s43, s77, s43
	v_addc_co_u32_e32 v43, vcc, v43, v2, vcc
	s_lshl_b64 s[42:43], s[42:43], 4
	s_add_i32 s62, s8, -1
	v_add_co_u32_e64 v44, s[8:9], -8, v44
	v_mov_b32_e32 v2, s43
	v_add_co_u32_e32 v64, vcc, s42, v40
	v_pk_mov_b32 v[54:55], v[4:5], v[4:5] op_sel:[0,1]
	v_addc_co_u32_e64 v45, s[8:9], -1, v45, s[8:9]
	v_addc_co_u32_e32 v65, vcc, v41, v2, vcc
	s_mov_b32 s8, s62
	s_cmp_eq_u32 s62, 0
	s_waitcnt vmcnt(0)
	v_mul_f64 v[2:3], v[52:53], v[46:47]
	v_mul_f64 v[4:5], v[52:53], v[48:49]
	;; [unrolled: 1-line block ×4, first 2 shown]
	v_fmac_f64_e32 v[2:3], v[56:57], v[50:51]
	v_fmac_f64_e32 v[4:5], v[54:55], v[50:51]
	v_fma_f64 v[46:47], v[56:57], v[52:53], -v[46:47]
	v_fma_f64 v[48:49], v[54:55], v[52:53], -v[48:49]
	global_store_dwordx4 v[64:65], v[46:49], off
	s_cbranch_scc0 .LBB192_127
	s_branch .LBB192_125
.LBB192_128:                            ;   in Loop: Header=BB192_53 Depth=2
	s_or_b64 exec, exec, s[72:73]
                                        ; implicit-def: $vgpr3
	s_andn2_saveexec_b64 s[8:9], s[70:71]
	s_cbranch_execnz .LBB192_120
	s_branch .LBB192_121
.LBB192_129:                            ;   in Loop: Header=BB192_7 Depth=1
	v_pk_mov_b32 v[32:33], v[24:25], v[24:25] op_sel:[0,1]
	v_pk_mov_b32 v[30:31], v[22:23], v[22:23] op_sel:[0,1]
	v_mov_b32_e32 v63, v62
	s_branch .LBB192_6
.LBB192_130:                            ;   in Loop: Header=BB192_7 Depth=1
                                        ; implicit-def: $vgpr32_vgpr33
                                        ; implicit-def: $vgpr30_vgpr31
                                        ; implicit-def: $vgpr63
.LBB192_131:                            ;   in Loop: Header=BB192_7 Depth=1
	s_and_b64 vcc, exec, s[6:7]
	s_cbranch_vccz .LBB192_148
.LBB192_132:                            ;   in Loop: Header=BB192_7 Depth=1
	v_mov_b32_e32 v63, v62
	v_pk_mov_b32 v[30:31], v[22:23], v[22:23] op_sel:[0,1]
	v_pk_mov_b32 v[32:33], v[24:25], v[24:25] op_sel:[0,1]
.LBB192_133:                            ;   in Loop: Header=BB192_7 Depth=1
	s_barrier
	ds_read_b64 v[2:3], v8 offset:8
	s_waitcnt lgkmcnt(0)
	v_cmp_nlt_f64_e32 vcc, s[44:45], v[2:3]
	s_cbranch_vccnz .LBB192_140
; %bb.134:                              ;   in Loop: Header=BB192_7 Depth=1
	v_div_scale_f64 v[22:23], s[6:7], v[2:3], v[2:3], s[44:45]
	v_rcp_f64_e32 v[24:25], v[22:23]
	ds_read2_b32 v[4:5], v8 offset0:7 offset1:10
	v_fma_f64 v[26:27], -v[22:23], v[24:25], 1.0
	v_fmac_f64_e32 v[24:25], v[24:25], v[26:27]
	v_fma_f64 v[26:27], -v[22:23], v[24:25], 1.0
	v_fmac_f64_e32 v[24:25], v[24:25], v[26:27]
	v_div_scale_f64 v[26:27], vcc, s[44:45], v[2:3], s[44:45]
	v_mul_f64 v[28:29], v[26:27], v[24:25]
	v_fma_f64 v[22:23], -v[22:23], v[28:29], v[26:27]
	s_nop 1
	v_div_fmas_f64 v[22:23], v[22:23], v[24:25], v[28:29]
	v_div_fixup_f64 v[22:23], v[22:23], v[2:3], s[44:45]
	s_and_saveexec_b64 s[6:7], s[0:1]
	s_cbranch_execz .LBB192_136
; %bb.135:                              ;   in Loop: Header=BB192_7 Depth=1
	s_waitcnt lgkmcnt(0)
	v_ashrrev_i32_e32 v25, 31, v5
	v_mov_b32_e32 v24, v5
	v_lshlrev_b64 v[24:25], 3, v[24:25]
	v_mov_b32_e32 v9, s23
	v_add_co_u32_e32 v24, vcc, s22, v24
	v_addc_co_u32_e32 v25, vcc, v9, v25, vcc
	global_load_dwordx2 v[26:27], v[24:25], off
	s_waitcnt vmcnt(0)
	v_mul_f64 v[26:27], v[22:23], v[26:27]
	global_store_dwordx2 v[24:25], v[26:27], off
.LBB192_136:                            ;   in Loop: Header=BB192_7 Depth=1
	s_or_b64 exec, exec, s[6:7]
	s_waitcnt lgkmcnt(0)
	v_add_u32_e32 v24, v4, v6
	v_cmp_lt_i32_e32 vcc, v24, v5
	s_and_saveexec_b64 s[6:7], vcc
	s_cbranch_execz .LBB192_139
; %bb.137:                              ;   in Loop: Header=BB192_7 Depth=1
	v_ashrrev_i32_e32 v25, 31, v24
	v_lshlrev_b64 v[26:27], 3, v[24:25]
	s_mov_b64 s[8:9], 0
.LBB192_138:                            ;   Parent Loop BB192_7 Depth=1
                                        ; =>  This Inner Loop Header: Depth=2
	v_mov_b32_e32 v4, s23
	v_add_co_u32_e32 v28, vcc, s22, v26
	v_addc_co_u32_e32 v29, vcc, v4, v27, vcc
	global_load_dwordx2 v[34:35], v[28:29], off
	v_mov_b32_e32 v4, s92
	v_add_co_u32_e32 v36, vcc, s14, v26
	v_addc_co_u32_e32 v37, vcc, v4, v27, vcc
	v_mov_b32_e32 v4, s53
	v_add_co_u32_e32 v26, vcc, s52, v26
	v_add_u32_e32 v24, s36, v24
	v_addc_co_u32_e32 v27, vcc, v27, v4, vcc
	v_cmp_ge_i32_e32 vcc, v24, v5
	s_or_b64 s[8:9], vcc, s[8:9]
	s_waitcnt vmcnt(0)
	v_mul_f64 v[34:35], v[22:23], v[34:35]
	global_store_dwordx2 v[28:29], v[34:35], off
	global_load_dwordx2 v[28:29], v[36:37], off
	s_waitcnt vmcnt(0)
	v_mul_f64 v[28:29], v[22:23], v[28:29]
	global_store_dwordx2 v[36:37], v[28:29], off
	s_andn2_b64 exec, exec, s[8:9]
	s_cbranch_execnz .LBB192_138
.LBB192_139:                            ;   in Loop: Header=BB192_7 Depth=1
	s_or_b64 exec, exec, s[6:7]
.LBB192_140:                            ;   in Loop: Header=BB192_7 Depth=1
	v_cmp_ngt_f64_e32 vcc, s[30:31], v[2:3]
	s_cbranch_vccnz .LBB192_5
; %bb.141:                              ;   in Loop: Header=BB192_7 Depth=1
	v_div_scale_f64 v[22:23], s[6:7], v[2:3], v[2:3], s[30:31]
	v_rcp_f64_e32 v[24:25], v[22:23]
	ds_read2_b32 v[4:5], v8 offset0:7 offset1:10
	v_fma_f64 v[26:27], -v[22:23], v[24:25], 1.0
	v_fmac_f64_e32 v[24:25], v[24:25], v[26:27]
	v_fma_f64 v[26:27], -v[22:23], v[24:25], 1.0
	v_fmac_f64_e32 v[24:25], v[24:25], v[26:27]
	v_div_scale_f64 v[26:27], vcc, s[30:31], v[2:3], s[30:31]
	v_mul_f64 v[28:29], v[26:27], v[24:25]
	v_fma_f64 v[22:23], -v[22:23], v[28:29], v[26:27]
	s_nop 1
	v_div_fmas_f64 v[22:23], v[22:23], v[24:25], v[28:29]
	v_div_fixup_f64 v[2:3], v[22:23], v[2:3], s[30:31]
	s_and_saveexec_b64 s[6:7], s[0:1]
	s_cbranch_execz .LBB192_143
; %bb.142:                              ;   in Loop: Header=BB192_7 Depth=1
	s_waitcnt lgkmcnt(0)
	v_ashrrev_i32_e32 v23, 31, v5
	v_mov_b32_e32 v22, v5
	v_lshlrev_b64 v[22:23], 3, v[22:23]
	v_mov_b32_e32 v9, s23
	v_add_co_u32_e32 v22, vcc, s22, v22
	v_addc_co_u32_e32 v23, vcc, v9, v23, vcc
	global_load_dwordx2 v[24:25], v[22:23], off
	s_waitcnt vmcnt(0)
	v_mul_f64 v[24:25], v[2:3], v[24:25]
	global_store_dwordx2 v[22:23], v[24:25], off
.LBB192_143:                            ;   in Loop: Header=BB192_7 Depth=1
	s_or_b64 exec, exec, s[6:7]
	s_waitcnt lgkmcnt(0)
	v_add_u32_e32 v22, v4, v6
	v_cmp_lt_i32_e32 vcc, v22, v5
	s_and_saveexec_b64 s[6:7], vcc
	s_cbranch_execz .LBB192_4
; %bb.144:                              ;   in Loop: Header=BB192_7 Depth=1
	v_ashrrev_i32_e32 v23, 31, v22
	v_lshlrev_b64 v[24:25], 3, v[22:23]
	s_mov_b64 s[8:9], 0
.LBB192_145:                            ;   Parent Loop BB192_7 Depth=1
                                        ; =>  This Inner Loop Header: Depth=2
	v_mov_b32_e32 v4, s23
	v_add_co_u32_e32 v26, vcc, s22, v24
	v_addc_co_u32_e32 v27, vcc, v4, v25, vcc
	global_load_dwordx2 v[28:29], v[26:27], off
	v_mov_b32_e32 v4, s92
	v_add_co_u32_e32 v34, vcc, s14, v24
	v_addc_co_u32_e32 v35, vcc, v4, v25, vcc
	v_mov_b32_e32 v4, s53
	v_add_co_u32_e32 v24, vcc, s52, v24
	v_add_u32_e32 v22, s36, v22
	v_addc_co_u32_e32 v25, vcc, v25, v4, vcc
	v_cmp_ge_i32_e32 vcc, v22, v5
	s_or_b64 s[8:9], vcc, s[8:9]
	s_waitcnt vmcnt(0)
	v_mul_f64 v[28:29], v[2:3], v[28:29]
	global_store_dwordx2 v[26:27], v[28:29], off
	global_load_dwordx2 v[26:27], v[34:35], off
	s_waitcnt vmcnt(0)
	v_mul_f64 v[26:27], v[2:3], v[26:27]
	global_store_dwordx2 v[34:35], v[26:27], off
	s_andn2_b64 exec, exec, s[8:9]
	s_cbranch_execnz .LBB192_145
	s_branch .LBB192_4
.LBB192_146:                            ;   in Loop: Header=BB192_148 Depth=2
	s_or_b64 exec, exec, s[6:7]
	s_barrier
	ds_read_b32 v26, v8 offset:16
.LBB192_147:                            ;   in Loop: Header=BB192_148 Depth=2
	ds_read_b64 v[28:29], v8 offset:32
	s_waitcnt lgkmcnt(0)
	v_cmp_ge_i32_e32 vcc, v26, v28
	v_cmp_gt_i32_e64 s[6:7], s33, v29
	s_and_b64 s[6:7], vcc, s[6:7]
	s_andn2_b64 vcc, exec, s[6:7]
	s_cbranch_vccnz .LBB192_132
.LBB192_148:                            ;   Parent Loop BB192_7 Depth=1
                                        ; =>  This Loop Header: Depth=2
                                        ;       Child Loop BB192_156 Depth 3
                                        ;       Child Loop BB192_175 Depth 3
                                        ;       Child Loop BB192_221 Depth 3
                                        ;         Child Loop BB192_222 Depth 4
	s_and_saveexec_b64 s[8:9], s[0:1]
	s_cbranch_execz .LBB192_217
; %bb.149:                              ;   in Loop: Header=BB192_148 Depth=2
	v_cmp_gt_i32_e32 vcc, v26, v28
	s_mov_b64 s[6:7], 0
	s_cbranch_vccnz .LBB192_153
; %bb.150:                              ;   in Loop: Header=BB192_148 Depth=2
	v_ashrrev_i32_e32 v27, 31, v26
	s_mov_b64 s[68:69], -1
	v_pk_mov_b32 v[4:5], v[26:27], v[26:27] op_sel:[0,1]
	v_mov_b32_e32 v2, v26
	s_cbranch_execz .LBB192_154
; %bb.151:                              ;   in Loop: Header=BB192_148 Depth=2
	s_and_b64 vcc, exec, s[68:69]
	s_cbranch_vccz .LBB192_159
.LBB192_152:                            ;   in Loop: Header=BB192_148 Depth=2
	ds_write2_b32 v8, v2, v26 offset0:5 offset1:7
	s_cbranch_execz .LBB192_160
	s_branch .LBB192_161
.LBB192_153:                            ;   in Loop: Header=BB192_148 Depth=2
                                        ; implicit-def: $vgpr4_vgpr5
	s_mov_b64 s[68:69], 0
	v_mov_b32_e32 v2, v26
.LBB192_154:                            ;   in Loop: Header=BB192_148 Depth=2
	v_ashrrev_i32_e32 v27, 31, v26
	v_lshlrev_b64 v[4:5], 3, v[26:27]
	v_mov_b32_e32 v3, s16
	v_add_co_u32_e32 v2, vcc, s57, v4
	v_addc_co_u32_e32 v3, vcc, v3, v5, vcc
	v_mov_b32_e32 v9, s92
	v_add_co_u32_e32 v4, vcc, s14, v4
	v_addc_co_u32_e32 v5, vcc, v9, v5, vcc
	v_mov_b32_e32 v9, v26
	s_branch .LBB192_156
.LBB192_155:                            ;   in Loop: Header=BB192_156 Depth=3
	v_add_u32_e32 v9, -1, v61
	v_add_co_u32_e32 v2, vcc, -8, v2
	v_addc_co_u32_e32 v3, vcc, -1, v3, vcc
	s_mov_b64 s[6:7], 0
	v_cmp_le_i32_e64 s[68:69], v9, v28
	s_andn2_b64 vcc, exec, s[68:69]
	v_pk_mov_b32 v[4:5], v[12:13], v[12:13] op_sel:[0,1]
	s_cbranch_vccz .LBB192_158
.LBB192_156:                            ;   Parent Loop BB192_7 Depth=1
                                        ;     Parent Loop BB192_148 Depth=2
                                        ; =>    This Inner Loop Header: Depth=3
	global_load_dwordx2 v[14:15], v[4:5], off offset:-8
	global_load_dwordx4 v[30:33], v[2:3], off
	v_add_co_u32_e32 v12, vcc, -8, v4
	v_addc_co_u32_e32 v13, vcc, -1, v5, vcc
	v_mov_b32_e32 v61, v9
	s_waitcnt vmcnt(1)
	v_mul_f64 v[4:5], v[14:15], v[14:15]
	s_waitcnt vmcnt(0)
	v_mul_f64 v[14:15], v[32:33], v[30:31]
	v_mul_f64 v[14:15], v[10:11], |v[14:15]|
	v_cmp_le_f64_e64 s[6:7], |v[4:5]|, v[14:15]
	s_and_b64 vcc, exec, s[6:7]
	s_cbranch_vccz .LBB192_155
; %bb.157:                              ;   in Loop: Header=BB192_148 Depth=2
	s_mov_b64 s[6:7], -1
                                        ; implicit-def: $vgpr9
                                        ; implicit-def: $vgpr2_vgpr3
	v_pk_mov_b32 v[4:5], v[12:13], v[12:13] op_sel:[0,1]
.LBB192_158:                            ;   in Loop: Header=BB192_148 Depth=2
	s_xor_b64 s[68:69], s[6:7], -1
	s_mov_b64 s[6:7], -1
	v_pk_mov_b32 v[14:15], v[26:27], v[26:27] op_sel:[0,1]
	v_mov_b32_e32 v2, v28
	v_pk_mov_b32 v[4:5], v[26:27], v[26:27] op_sel:[0,1]
	s_and_b64 vcc, exec, s[68:69]
	s_cbranch_vccnz .LBB192_152
.LBB192_159:                            ;   in Loop: Header=BB192_148 Depth=2
                                        ; implicit-def: $vgpr2
                                        ; implicit-def: $vgpr4_vgpr5
	s_andn2_b64 vcc, exec, s[6:7]
	s_cbranch_vccnz .LBB192_161
.LBB192_160:                            ;   in Loop: Header=BB192_148 Depth=2
	v_mov_b32_e32 v9, v8
	v_pk_mov_b32 v[4:5], v[14:15], v[14:15] op_sel:[0,1]
	v_mov_b32_e32 v2, v61
	ds_write2_b32 v8, v61, v26 offset0:5 offset1:7
	global_store_dwordx2 v[12:13], v[8:9], off
.LBB192_161:                            ;   in Loop: Header=BB192_148 Depth=2
	v_lshlrev_b64 v[32:33], 3, v[4:5]
	v_mov_b32_e32 v3, s23
	v_add_co_u32_e32 v30, vcc, s22, v32
	v_addc_co_u32_e32 v31, vcc, v3, v33, vcc
	global_load_dwordx2 v[36:37], v[30:31], off
	v_cmp_ne_u32_e32 vcc, v2, v26
	v_add_u32_e32 v3, -1, v26
	s_waitcnt vmcnt(0)
	ds_write_b64 v8, v[36:37]
	s_and_saveexec_b64 s[6:7], vcc
	s_xor_b64 s[68:69], exec, s[6:7]
	s_cbranch_execz .LBB192_214
; %bb.162:                              ;   in Loop: Header=BB192_148 Depth=2
	v_cmp_ne_u32_e32 vcc, v2, v3
	s_and_saveexec_b64 s[6:7], vcc
	s_xor_b64 s[70:71], exec, s[6:7]
	s_cbranch_execz .LBB192_190
; %bb.163:                              ;   in Loop: Header=BB192_148 Depth=2
	v_mov_b32_e32 v3, s49
	v_add_co_u32_e32 v4, vcc, s48, v32
	v_addc_co_u32_e32 v5, vcc, v3, v33, vcc
	global_load_dwordx2 v[34:35], v[30:31], off offset:-8
	global_load_dwordx2 v[32:33], v[4:5], off
	v_ashrrev_i32_e32 v3, 31, v2
	v_lshlrev_b64 v[42:43], 3, v[2:3]
	v_mov_b32_e32 v9, s23
	v_add_co_u32_e32 v38, vcc, s22, v42
	v_addc_co_u32_e32 v39, vcc, v9, v43, vcc
	global_load_dwordx2 v[40:41], v[38:39], off
	v_add_u32_e32 v3, 1, v29
	v_mov_b32_e32 v9, v8
	ds_write_b32 v8, v3 offset:36
	ds_write_b64 v8, v[8:9]
	v_mov_b32_e32 v28, 0
	v_mov_b32_e32 v29, 0x3ff00000
	s_waitcnt vmcnt(2)
	v_add_f64 v[34:35], v[34:35], -v[36:37]
	s_waitcnt vmcnt(1)
	v_add_f64 v[44:45], v[32:33], v[32:33]
	v_div_scale_f64 v[46:47], s[6:7], v[44:45], v[44:45], v[34:35]
	v_rcp_f64_e32 v[48:49], v[46:47]
	v_div_scale_f64 v[50:51], vcc, v[34:35], v[44:45], v[34:35]
	v_cmp_lt_i32_e64 s[6:7], v2, v26
	v_fma_f64 v[52:53], -v[46:47], v[48:49], 1.0
	v_fmac_f64_e32 v[48:49], v[48:49], v[52:53]
	v_fma_f64 v[52:53], -v[46:47], v[48:49], 1.0
	v_fmac_f64_e32 v[48:49], v[48:49], v[52:53]
	v_mul_f64 v[52:53], v[50:51], v[48:49]
	v_fma_f64 v[46:47], -v[46:47], v[52:53], v[50:51]
	v_div_fmas_f64 v[46:47], v[46:47], v[48:49], v[52:53]
	v_div_fixup_f64 v[34:35], v[46:47], v[44:45], v[34:35]
	v_fma_f64 v[44:45], v[34:35], v[34:35], 1.0
	v_cmp_gt_f64_e32 vcc, s[64:65], v[44:45]
	v_cndmask_b32_e64 v27, 0, 1, vcc
	v_lshlrev_b32_e32 v27, 8, v27
	v_ldexp_f64 v[44:45], v[44:45], v27
	v_rsq_f64_e32 v[46:47], v[44:45]
	v_cndmask_b32_e32 v3, 0, v60, vcc
	v_cmp_class_f64_e32 vcc, v[44:45], v59
	v_mul_f64 v[48:49], v[44:45], v[46:47]
	v_mul_f64 v[46:47], v[46:47], 0.5
	v_fma_f64 v[50:51], -v[46:47], v[48:49], 0.5
	v_fmac_f64_e32 v[48:49], v[48:49], v[50:51]
	v_fmac_f64_e32 v[46:47], v[46:47], v[50:51]
	v_fma_f64 v[50:51], -v[48:49], v[48:49], v[44:45]
	v_fmac_f64_e32 v[48:49], v[50:51], v[46:47]
	v_fma_f64 v[50:51], -v[48:49], v[48:49], v[44:45]
	v_fmac_f64_e32 v[48:49], v[50:51], v[46:47]
	v_ldexp_f64 v[46:47], v[48:49], v3
	v_cndmask_b32_e32 v3, v47, v45, vcc
	v_cndmask_b32_e32 v44, v46, v44, vcc
	v_and_b32_e32 v9, 0x7fffffff, v3
	v_or_b32_e32 v3, 0x80000000, v3
	v_cmp_nle_f64_e32 vcc, 0, v[34:35]
	v_cndmask_b32_e32 v45, v9, v3, vcc
	v_add_f64 v[34:35], v[34:35], v[44:45]
	v_div_scale_f64 v[44:45], s[42:43], v[34:35], v[34:35], v[32:33]
	v_rcp_f64_e32 v[46:47], v[44:45]
	v_div_scale_f64 v[50:51], vcc, v[32:33], v[34:35], v[32:33]
	s_waitcnt vmcnt(0)
	v_add_f64 v[48:49], v[40:41], -v[36:37]
	v_fma_f64 v[52:53], -v[44:45], v[46:47], 1.0
	v_fmac_f64_e32 v[46:47], v[46:47], v[52:53]
	v_fma_f64 v[52:53], -v[44:45], v[46:47], 1.0
	v_fmac_f64_e32 v[46:47], v[46:47], v[52:53]
	v_mul_f64 v[52:53], v[50:51], v[46:47]
	v_fma_f64 v[44:45], -v[44:45], v[52:53], v[50:51]
	v_div_fmas_f64 v[44:45], v[44:45], v[46:47], v[52:53]
	v_div_fixup_f64 v[32:33], v[44:45], v[34:35], v[32:33]
	v_add_f64 v[32:33], v[48:49], v[32:33]
	v_pk_mov_b32 v[34:35], 0, 0
	s_and_saveexec_b64 s[72:73], s[6:7]
	s_cbranch_execz .LBB192_189
; %bb.164:                              ;   in Loop: Header=BB192_148 Depth=2
	v_mov_b32_e32 v3, s92
	v_add_co_u32_e32 v34, vcc, s14, v42
	v_addc_co_u32_e32 v35, vcc, v3, v43, vcc
	global_load_dwordx2 v[36:37], v[34:35], off
	v_pk_mov_b32 v[46:47], 0, 0
	s_waitcnt vmcnt(0)
	v_cmp_neq_f64_e32 vcc, 0, v[36:37]
	s_and_saveexec_b64 s[6:7], vcc
	s_cbranch_execz .LBB192_172
; %bb.165:                              ;   in Loop: Header=BB192_148 Depth=2
	v_mov_b32_e32 v46, 0
	v_cmp_neq_f64_e32 vcc, 0, v[32:33]
	v_mov_b32_e32 v47, 0x3ff00000
	v_pk_mov_b32 v[28:29], 0, 0
	s_and_saveexec_b64 s[74:75], vcc
	s_cbranch_execz .LBB192_171
; %bb.166:                              ;   in Loop: Header=BB192_148 Depth=2
	v_cmp_ngt_f64_e64 s[42:43], |v[36:37]|, |v[32:33]|
                                        ; implicit-def: $vgpr46_vgpr47
                                        ; implicit-def: $vgpr28_vgpr29
	s_and_saveexec_b64 s[76:77], s[42:43]
	s_xor_b64 s[76:77], exec, s[76:77]
	s_cbranch_execz .LBB192_168
; %bb.167:                              ;   in Loop: Header=BB192_148 Depth=2
	v_div_scale_f64 v[28:29], s[42:43], v[32:33], v[32:33], -v[36:37]
	v_rcp_f64_e32 v[34:35], v[28:29]
	v_div_scale_f64 v[44:45], vcc, -v[36:37], v[32:33], -v[36:37]
	v_fma_f64 v[46:47], -v[28:29], v[34:35], 1.0
	v_fmac_f64_e32 v[34:35], v[34:35], v[46:47]
	v_fma_f64 v[46:47], -v[28:29], v[34:35], 1.0
	v_fmac_f64_e32 v[34:35], v[34:35], v[46:47]
	v_mul_f64 v[46:47], v[44:45], v[34:35]
	v_fma_f64 v[28:29], -v[28:29], v[46:47], v[44:45]
	v_div_fmas_f64 v[28:29], v[28:29], v[34:35], v[46:47]
	v_div_fixup_f64 v[32:33], v[28:29], v[32:33], -v[36:37]
	v_fma_f64 v[28:29], v[32:33], v[32:33], 1.0
	v_cmp_gt_f64_e32 vcc, s[64:65], v[28:29]
	v_cndmask_b32_e64 v3, 0, 1, vcc
	v_lshlrev_b32_e32 v3, 8, v3
	v_ldexp_f64 v[28:29], v[28:29], v3
	v_rsq_f64_e32 v[34:35], v[28:29]
	v_cndmask_b32_e32 v3, 0, v60, vcc
	v_cmp_class_f64_e32 vcc, v[28:29], v59
	v_mul_f64 v[44:45], v[28:29], v[34:35]
	v_mul_f64 v[34:35], v[34:35], 0.5
	v_fma_f64 v[46:47], -v[34:35], v[44:45], 0.5
	v_fmac_f64_e32 v[44:45], v[44:45], v[46:47]
	v_fma_f64 v[48:49], -v[44:45], v[44:45], v[28:29]
	v_fmac_f64_e32 v[34:35], v[34:35], v[46:47]
	v_fmac_f64_e32 v[44:45], v[48:49], v[34:35]
	v_fma_f64 v[46:47], -v[44:45], v[44:45], v[28:29]
	v_fmac_f64_e32 v[44:45], v[46:47], v[34:35]
	v_ldexp_f64 v[34:35], v[44:45], v3
	v_cndmask_b32_e32 v29, v35, v29, vcc
	v_cndmask_b32_e32 v28, v34, v28, vcc
	v_div_scale_f64 v[34:35], s[42:43], v[28:29], v[28:29], 1.0
	v_rcp_f64_e32 v[44:45], v[34:35]
	v_fma_f64 v[46:47], -v[34:35], v[44:45], 1.0
	v_fmac_f64_e32 v[44:45], v[44:45], v[46:47]
	v_fma_f64 v[46:47], -v[34:35], v[44:45], 1.0
	v_fmac_f64_e32 v[44:45], v[44:45], v[46:47]
	v_div_scale_f64 v[46:47], vcc, 1.0, v[28:29], 1.0
	v_mul_f64 v[48:49], v[46:47], v[44:45]
	v_fma_f64 v[34:35], -v[34:35], v[48:49], v[46:47]
	s_nop 1
	v_div_fmas_f64 v[34:35], v[34:35], v[44:45], v[48:49]
	v_div_fixup_f64 v[28:29], v[34:35], v[28:29], 1.0
	v_mul_f64 v[46:47], v[32:33], v[28:29]
                                        ; implicit-def: $vgpr32_vgpr33
.LBB192_168:                            ;   in Loop: Header=BB192_148 Depth=2
	s_andn2_saveexec_b64 s[76:77], s[76:77]
	s_cbranch_execz .LBB192_170
; %bb.169:                              ;   in Loop: Header=BB192_148 Depth=2
	v_div_scale_f64 v[28:29], s[42:43], v[36:37], v[36:37], -v[32:33]
	v_rcp_f64_e32 v[34:35], v[28:29]
	v_div_scale_f64 v[44:45], vcc, -v[32:33], v[36:37], -v[32:33]
	v_fma_f64 v[46:47], -v[28:29], v[34:35], 1.0
	v_fmac_f64_e32 v[34:35], v[34:35], v[46:47]
	v_fma_f64 v[46:47], -v[28:29], v[34:35], 1.0
	v_fmac_f64_e32 v[34:35], v[34:35], v[46:47]
	v_mul_f64 v[46:47], v[44:45], v[34:35]
	v_fma_f64 v[28:29], -v[28:29], v[46:47], v[44:45]
	v_div_fmas_f64 v[28:29], v[28:29], v[34:35], v[46:47]
	v_div_fixup_f64 v[28:29], v[28:29], v[36:37], -v[32:33]
	v_fma_f64 v[32:33], v[28:29], v[28:29], 1.0
	v_cmp_gt_f64_e32 vcc, s[64:65], v[32:33]
	v_cndmask_b32_e64 v3, 0, 1, vcc
	v_lshlrev_b32_e32 v3, 8, v3
	v_ldexp_f64 v[32:33], v[32:33], v3
	v_rsq_f64_e32 v[34:35], v[32:33]
	v_cndmask_b32_e32 v3, 0, v60, vcc
	v_cmp_class_f64_e32 vcc, v[32:33], v59
	v_mul_f64 v[44:45], v[32:33], v[34:35]
	v_mul_f64 v[34:35], v[34:35], 0.5
	v_fma_f64 v[46:47], -v[34:35], v[44:45], 0.5
	v_fmac_f64_e32 v[44:45], v[44:45], v[46:47]
	v_fma_f64 v[48:49], -v[44:45], v[44:45], v[32:33]
	v_fmac_f64_e32 v[34:35], v[34:35], v[46:47]
	v_fmac_f64_e32 v[44:45], v[48:49], v[34:35]
	v_fma_f64 v[46:47], -v[44:45], v[44:45], v[32:33]
	v_fmac_f64_e32 v[44:45], v[46:47], v[34:35]
	v_ldexp_f64 v[34:35], v[44:45], v3
	v_cndmask_b32_e32 v33, v35, v33, vcc
	v_cndmask_b32_e32 v32, v34, v32, vcc
	v_div_scale_f64 v[34:35], s[42:43], v[32:33], v[32:33], 1.0
	v_rcp_f64_e32 v[44:45], v[34:35]
	v_fma_f64 v[46:47], -v[34:35], v[44:45], 1.0
	v_fmac_f64_e32 v[44:45], v[44:45], v[46:47]
	v_fma_f64 v[46:47], -v[34:35], v[44:45], 1.0
	v_fmac_f64_e32 v[44:45], v[44:45], v[46:47]
	v_div_scale_f64 v[46:47], vcc, 1.0, v[32:33], 1.0
	v_mul_f64 v[48:49], v[46:47], v[44:45]
	v_fma_f64 v[34:35], -v[34:35], v[48:49], v[46:47]
	s_nop 1
	v_div_fmas_f64 v[34:35], v[34:35], v[44:45], v[48:49]
	v_div_fixup_f64 v[46:47], v[34:35], v[32:33], 1.0
	v_mul_f64 v[28:29], v[28:29], v[46:47]
.LBB192_170:                            ;   in Loop: Header=BB192_148 Depth=2
	s_or_b64 exec, exec, s[76:77]
.LBB192_171:                            ;   in Loop: Header=BB192_148 Depth=2
	s_or_b64 exec, exec, s[74:75]
.LBB192_172:                            ;   in Loop: Header=BB192_148 Depth=2
	s_or_b64 exec, exec, s[6:7]
	global_load_dwordx2 v[32:33], v[38:39], off offset:8
	v_mov_b32_e32 v3, s66
	v_add_co_u32_e32 v42, vcc, s95, v42
	v_addc_co_u32_e32 v43, vcc, v3, v43, vcc
	v_add_f64 v[34:35], v[28:29], v[28:29]
	v_mov_b32_e32 v9, s55
	v_add_co_u32_e32 v50, vcc, s54, v42
	v_add_u32_e32 v48, 1, v2
	v_addc_co_u32_e32 v51, vcc, v43, v9, vcc
	v_xor_b32_e32 v45, 0x80000000, v47
	v_mov_b32_e32 v44, v46
	v_cmp_lt_i32_e32 vcc, v48, v26
	s_waitcnt vmcnt(0)
	v_add_f64 v[32:33], v[32:33], -v[40:41]
	v_mul_f64 v[32:33], v[46:47], v[32:33]
	v_fma_f64 v[32:33], v[36:37], v[34:35], -v[32:33]
	v_mul_f64 v[34:35], v[32:33], -v[46:47]
	v_fma_f64 v[40:41], v[32:33], -v[46:47], v[40:41]
	v_fma_f64 v[32:33], v[28:29], v[32:33], -v[36:37]
	ds_write_b64 v8, v[34:35]
	global_store_dwordx2 v[38:39], v[40:41], off
	global_store_dwordx2 v[42:43], v[28:29], off
	global_store_dwordx2 v[50:51], v[44:45], off offset:-8
	s_and_saveexec_b64 s[6:7], vcc
	s_cbranch_execz .LBB192_188
; %bb.173:                              ;   in Loop: Header=BB192_148 Depth=2
	v_ashrrev_i32_e32 v49, 31, v48
	v_lshlrev_b64 v[40:41], 3, v[48:49]
	v_mov_b32_e32 v3, s66
	v_add_co_u32_e32 v36, vcc, s95, v40
	v_addc_co_u32_e32 v37, vcc, v3, v41, vcc
	v_mov_b32_e32 v3, s49
	v_add_co_u32_e32 v38, vcc, s48, v40
	v_addc_co_u32_e32 v39, vcc, v3, v41, vcc
	;; [unrolled: 3-line block ×3, first 2 shown]
	s_mov_b32 s17, 1
	s_mov_b64 s[74:75], 0
	s_branch .LBB192_175
.LBB192_174:                            ;   in Loop: Header=BB192_175 Depth=3
	global_load_dwordx4 v[50:53], v[40:41], off
	v_add_co_u32_e32 v38, vcc, 8, v38
	v_addc_co_u32_e32 v39, vcc, 0, v39, vcc
	v_mul_f64 v[28:29], v[28:29], v[42:43]
	v_add_co_u32_e32 v42, vcc, 8, v40
	v_addc_co_u32_e32 v43, vcc, 0, v41, vcc
	v_add_f64 v[32:33], v[46:47], v[46:47]
	v_mov_b32_e32 v3, s27
	s_add_i32 s17, s17, 1
	v_add_co_u32_e32 v54, vcc, s11, v36
	v_addc_co_u32_e32 v55, vcc, v37, v3, vcc
	v_add_u32_e32 v3, s17, v2
	v_xor_b32_e32 v45, 0x80000000, v49
	v_mov_b32_e32 v44, v48
	v_cmp_ge_i32_e32 vcc, v3, v26
	s_or_b64 s[74:75], vcc, s[74:75]
	s_waitcnt vmcnt(0)
	v_add_f64 v[50:51], v[50:51], -v[34:35]
	v_add_f64 v[34:35], v[52:53], -v[50:51]
	v_mul_f64 v[34:35], v[48:49], v[34:35]
	v_fma_f64 v[32:33], v[28:29], v[32:33], -v[34:35]
	v_mul_f64 v[34:35], v[32:33], -v[48:49]
	v_fma_f64 v[48:49], v[32:33], -v[48:49], v[50:51]
	global_store_dwordx2 v[40:41], v[48:49], off
	global_store_dwordx2 v[36:37], v[46:47], off
	;; [unrolled: 1-line block ×3, first 2 shown]
	v_add_co_u32_e32 v36, vcc, 8, v36
	v_fma_f64 v[32:33], v[46:47], v[32:33], -v[28:29]
	v_addc_co_u32_e32 v37, vcc, 0, v37, vcc
	v_pk_mov_b32 v[40:41], v[42:43], v[42:43] op_sel:[0,1]
	v_pk_mov_b32 v[28:29], v[46:47], v[46:47] op_sel:[0,1]
	s_andn2_b64 exec, exec, s[74:75]
	s_cbranch_execz .LBB192_187
.LBB192_175:                            ;   Parent Loop BB192_7 Depth=1
                                        ;     Parent Loop BB192_148 Depth=2
                                        ; =>    This Inner Loop Header: Depth=3
	global_load_dwordx2 v[42:43], v[38:39], off offset:8
	v_mov_b32_e32 v46, 0
	v_mov_b32_e32 v47, 0x3ff00000
	v_pk_mov_b32 v[48:49], 0, 0
	s_waitcnt vmcnt(0)
	v_mul_f64 v[44:45], v[44:45], v[42:43]
	v_cmp_neq_f64_e32 vcc, 0, v[44:45]
	s_and_saveexec_b64 s[76:77], vcc
	s_cbranch_execz .LBB192_185
; %bb.176:                              ;   in Loop: Header=BB192_175 Depth=3
	v_cmp_neq_f64_e32 vcc, 0, v[32:33]
                                        ; implicit-def: $vgpr48_vgpr49
                                        ; implicit-def: $vgpr46_vgpr47
	s_and_saveexec_b64 s[42:43], vcc
	s_xor_b64 s[78:79], exec, s[42:43]
	s_cbranch_execz .LBB192_182
; %bb.177:                              ;   in Loop: Header=BB192_175 Depth=3
	v_cmp_ngt_f64_e64 s[42:43], |v[44:45]|, |v[32:33]|
                                        ; implicit-def: $vgpr48_vgpr49
                                        ; implicit-def: $vgpr46_vgpr47
	s_and_saveexec_b64 s[80:81], s[42:43]
	s_xor_b64 s[80:81], exec, s[80:81]
	s_cbranch_execz .LBB192_179
; %bb.178:                              ;   in Loop: Header=BB192_175 Depth=3
	v_div_scale_f64 v[46:47], s[42:43], v[32:33], v[32:33], -v[44:45]
	v_rcp_f64_e32 v[48:49], v[46:47]
	v_div_scale_f64 v[50:51], vcc, -v[44:45], v[32:33], -v[44:45]
	v_fma_f64 v[52:53], -v[46:47], v[48:49], 1.0
	v_fmac_f64_e32 v[48:49], v[48:49], v[52:53]
	v_fma_f64 v[52:53], -v[46:47], v[48:49], 1.0
	v_fmac_f64_e32 v[48:49], v[48:49], v[52:53]
	v_mul_f64 v[52:53], v[50:51], v[48:49]
	v_fma_f64 v[46:47], -v[46:47], v[52:53], v[50:51]
	v_div_fmas_f64 v[46:47], v[46:47], v[48:49], v[52:53]
	v_div_fixup_f64 v[48:49], v[46:47], v[32:33], -v[44:45]
	v_fma_f64 v[46:47], v[48:49], v[48:49], 1.0
	v_cmp_gt_f64_e32 vcc, s[64:65], v[46:47]
	v_cndmask_b32_e64 v3, 0, 1, vcc
	v_lshlrev_b32_e32 v3, 8, v3
	v_ldexp_f64 v[46:47], v[46:47], v3
	v_rsq_f64_e32 v[50:51], v[46:47]
	v_cndmask_b32_e32 v3, 0, v60, vcc
	v_cmp_class_f64_e32 vcc, v[46:47], v59
	v_mul_f64 v[52:53], v[46:47], v[50:51]
	v_mul_f64 v[50:51], v[50:51], 0.5
	v_fma_f64 v[54:55], -v[50:51], v[52:53], 0.5
	v_fmac_f64_e32 v[52:53], v[52:53], v[54:55]
	v_fma_f64 v[56:57], -v[52:53], v[52:53], v[46:47]
	v_fmac_f64_e32 v[50:51], v[50:51], v[54:55]
	v_fmac_f64_e32 v[52:53], v[56:57], v[50:51]
	v_fma_f64 v[54:55], -v[52:53], v[52:53], v[46:47]
	v_fmac_f64_e32 v[52:53], v[54:55], v[50:51]
	v_ldexp_f64 v[50:51], v[52:53], v3
	v_cndmask_b32_e32 v47, v51, v47, vcc
	v_cndmask_b32_e32 v46, v50, v46, vcc
	v_div_scale_f64 v[50:51], s[42:43], v[46:47], v[46:47], 1.0
	v_rcp_f64_e32 v[52:53], v[50:51]
	v_fma_f64 v[54:55], -v[50:51], v[52:53], 1.0
	v_fmac_f64_e32 v[52:53], v[52:53], v[54:55]
	v_fma_f64 v[54:55], -v[50:51], v[52:53], 1.0
	v_fmac_f64_e32 v[52:53], v[52:53], v[54:55]
	v_div_scale_f64 v[54:55], vcc, 1.0, v[46:47], 1.0
	v_mul_f64 v[56:57], v[54:55], v[52:53]
	v_fma_f64 v[50:51], -v[50:51], v[56:57], v[54:55]
	s_nop 1
	v_div_fmas_f64 v[50:51], v[50:51], v[52:53], v[56:57]
	v_div_fixup_f64 v[46:47], v[50:51], v[46:47], 1.0
	v_mul_f64 v[48:49], v[48:49], v[46:47]
.LBB192_179:                            ;   in Loop: Header=BB192_175 Depth=3
	s_andn2_saveexec_b64 s[80:81], s[80:81]
	s_cbranch_execz .LBB192_181
; %bb.180:                              ;   in Loop: Header=BB192_175 Depth=3
	v_div_scale_f64 v[46:47], s[42:43], v[44:45], v[44:45], -v[32:33]
	v_rcp_f64_e32 v[48:49], v[46:47]
	v_div_scale_f64 v[50:51], vcc, -v[32:33], v[44:45], -v[32:33]
	v_fma_f64 v[52:53], -v[46:47], v[48:49], 1.0
	v_fmac_f64_e32 v[48:49], v[48:49], v[52:53]
	v_fma_f64 v[52:53], -v[46:47], v[48:49], 1.0
	v_fmac_f64_e32 v[48:49], v[48:49], v[52:53]
	v_mul_f64 v[52:53], v[50:51], v[48:49]
	v_fma_f64 v[46:47], -v[46:47], v[52:53], v[50:51]
	v_div_fmas_f64 v[46:47], v[46:47], v[48:49], v[52:53]
	v_div_fixup_f64 v[46:47], v[46:47], v[44:45], -v[32:33]
	v_fma_f64 v[48:49], v[46:47], v[46:47], 1.0
	v_cmp_gt_f64_e32 vcc, s[64:65], v[48:49]
	v_cndmask_b32_e64 v3, 0, 1, vcc
	v_lshlrev_b32_e32 v3, 8, v3
	v_ldexp_f64 v[48:49], v[48:49], v3
	v_rsq_f64_e32 v[50:51], v[48:49]
	v_cndmask_b32_e32 v3, 0, v60, vcc
	v_cmp_class_f64_e32 vcc, v[48:49], v59
	v_mul_f64 v[52:53], v[48:49], v[50:51]
	v_mul_f64 v[50:51], v[50:51], 0.5
	v_fma_f64 v[54:55], -v[50:51], v[52:53], 0.5
	v_fmac_f64_e32 v[52:53], v[52:53], v[54:55]
	v_fma_f64 v[56:57], -v[52:53], v[52:53], v[48:49]
	v_fmac_f64_e32 v[50:51], v[50:51], v[54:55]
	v_fmac_f64_e32 v[52:53], v[56:57], v[50:51]
	v_fma_f64 v[54:55], -v[52:53], v[52:53], v[48:49]
	v_fmac_f64_e32 v[52:53], v[54:55], v[50:51]
	v_ldexp_f64 v[50:51], v[52:53], v3
	v_cndmask_b32_e32 v49, v51, v49, vcc
	v_cndmask_b32_e32 v48, v50, v48, vcc
	v_div_scale_f64 v[50:51], s[42:43], v[48:49], v[48:49], 1.0
	v_rcp_f64_e32 v[52:53], v[50:51]
	v_fma_f64 v[54:55], -v[50:51], v[52:53], 1.0
	v_fmac_f64_e32 v[52:53], v[52:53], v[54:55]
	v_fma_f64 v[54:55], -v[50:51], v[52:53], 1.0
	v_fmac_f64_e32 v[52:53], v[52:53], v[54:55]
	v_div_scale_f64 v[54:55], vcc, 1.0, v[48:49], 1.0
	v_mul_f64 v[56:57], v[54:55], v[52:53]
	v_fma_f64 v[50:51], -v[50:51], v[56:57], v[54:55]
	s_nop 1
	v_div_fmas_f64 v[50:51], v[50:51], v[52:53], v[56:57]
	v_div_fixup_f64 v[48:49], v[50:51], v[48:49], 1.0
	v_mul_f64 v[46:47], v[46:47], v[48:49]
.LBB192_181:                            ;   in Loop: Header=BB192_175 Depth=3
	s_or_b64 exec, exec, s[80:81]
	v_mul_f64 v[44:45], v[44:45], v[48:49]
	v_fma_f64 v[32:33], v[32:33], v[46:47], -v[44:45]
                                        ; implicit-def: $vgpr44_vgpr45
.LBB192_182:                            ;   in Loop: Header=BB192_175 Depth=3
	s_andn2_saveexec_b64 s[78:79], s[78:79]
; %bb.183:                              ;   in Loop: Header=BB192_175 Depth=3
	v_xor_b32_e32 v45, 0x80000000, v45
	v_mov_b32_e32 v48, 0
	v_mov_b32_e32 v49, 0x3ff00000
	v_pk_mov_b32 v[46:47], 0, 0
	v_pk_mov_b32 v[32:33], v[44:45], v[44:45] op_sel:[0,1]
; %bb.184:                              ;   in Loop: Header=BB192_175 Depth=3
	s_or_b64 exec, exec, s[78:79]
.LBB192_185:                            ;   in Loop: Header=BB192_175 Depth=3
	s_or_b64 exec, exec, s[76:77]
	s_cmp_eq_u32 s17, 0
	s_cbranch_scc1 .LBB192_174
; %bb.186:                              ;   in Loop: Header=BB192_175 Depth=3
	global_store_dwordx2 v[38:39], v[32:33], off
	s_branch .LBB192_174
.LBB192_187:                            ;   in Loop: Header=BB192_148 Depth=2
	s_or_b64 exec, exec, s[74:75]
	ds_write_b64 v8, v[34:35]
.LBB192_188:                            ;   in Loop: Header=BB192_148 Depth=2
	s_or_b64 exec, exec, s[6:7]
	global_load_dwordx2 v[36:37], v[30:31], off
.LBB192_189:                            ;   in Loop: Header=BB192_148 Depth=2
	s_or_b64 exec, exec, s[72:73]
	s_waitcnt vmcnt(0)
	v_add_f64 v[2:3], v[36:37], -v[34:35]
	global_store_dwordx2 v[30:31], v[2:3], off
	global_store_dwordx2 v[4:5], v[32:33], off
                                        ; implicit-def: $vgpr30_vgpr31
                                        ; implicit-def: $vgpr32_vgpr33
                                        ; implicit-def: $vgpr26
                                        ; implicit-def: $vgpr36_vgpr37
                                        ; implicit-def: $vgpr2
.LBB192_190:                            ;   in Loop: Header=BB192_148 Depth=2
	s_andn2_saveexec_b64 s[70:71], s[70:71]
	s_cbranch_execz .LBB192_223
; %bb.191:                              ;   in Loop: Header=BB192_148 Depth=2
	v_ashrrev_i32_e32 v3, 31, v2
	v_lshlrev_b64 v[28:29], 3, v[2:3]
	v_mov_b32_e32 v3, s23
	v_add_co_u32_e32 v2, vcc, s22, v28
	v_addc_co_u32_e32 v3, vcc, v3, v29, vcc
	v_mov_b32_e32 v5, s92
	v_add_co_u32_e32 v4, vcc, s14, v28
	v_addc_co_u32_e32 v5, vcc, v5, v29, vcc
	global_load_dwordx2 v[2:3], v[2:3], off
	s_nop 0
	global_load_dwordx2 v[40:41], v[4:5], off
                                        ; implicit-def: $vgpr42_vgpr43
	s_waitcnt vmcnt(1)
	v_add_f64 v[38:39], v[2:3], -v[36:37]
	s_waitcnt vmcnt(0)
	v_add_f64 v[34:35], v[40:41], v[40:41]
	v_cmp_ngt_f64_e64 s[6:7], |v[38:39]|, |v[34:35]|
	s_and_saveexec_b64 s[42:43], s[6:7]
	s_xor_b64 s[6:7], exec, s[42:43]
	s_cbranch_execz .LBB192_197
; %bb.192:                              ;   in Loop: Header=BB192_148 Depth=2
	v_cmp_nlt_f64_e64 s[42:43], |v[38:39]|, |v[34:35]|
                                        ; implicit-def: $vgpr42_vgpr43
	s_and_saveexec_b64 s[72:73], s[42:43]
	s_xor_b64 s[72:73], exec, s[72:73]
; %bb.193:                              ;   in Loop: Header=BB192_148 Depth=2
	v_mul_f64 v[42:43], |v[34:35]|, s[86:87]
; %bb.194:                              ;   in Loop: Header=BB192_148 Depth=2
	s_andn2_saveexec_b64 s[72:73], s[72:73]
	s_cbranch_execz .LBB192_196
; %bb.195:                              ;   in Loop: Header=BB192_148 Depth=2
	v_and_b32_e32 v5, 0x7fffffff, v39
	v_mov_b32_e32 v4, v38
	v_and_b32_e32 v43, 0x7fffffff, v35
	v_mov_b32_e32 v42, v34
	v_div_scale_f64 v[44:45], s[42:43], v[42:43], v[42:43], v[4:5]
	v_rcp_f64_e32 v[46:47], v[44:45]
	v_div_scale_f64 v[4:5], vcc, v[4:5], v[42:43], v[4:5]
	v_fma_f64 v[48:49], -v[44:45], v[46:47], 1.0
	v_fmac_f64_e32 v[46:47], v[46:47], v[48:49]
	v_fma_f64 v[48:49], -v[44:45], v[46:47], 1.0
	v_fmac_f64_e32 v[46:47], v[46:47], v[48:49]
	v_mul_f64 v[42:43], v[4:5], v[46:47]
	v_fma_f64 v[4:5], -v[44:45], v[42:43], v[4:5]
	v_div_fmas_f64 v[4:5], v[4:5], v[46:47], v[42:43]
	v_div_fixup_f64 v[4:5], v[4:5], |v[34:35]|, |v[38:39]|
	v_fma_f64 v[4:5], v[4:5], v[4:5], 1.0
	v_cmp_gt_f64_e32 vcc, s[64:65], v[4:5]
	v_cndmask_b32_e64 v9, 0, 1, vcc
	v_lshlrev_b32_e32 v9, 8, v9
	v_ldexp_f64 v[4:5], v[4:5], v9
	v_rsq_f64_e32 v[42:43], v[4:5]
	v_cndmask_b32_e32 v9, 0, v60, vcc
	v_cmp_class_f64_e32 vcc, v[4:5], v59
	v_mul_f64 v[44:45], v[4:5], v[42:43]
	v_mul_f64 v[42:43], v[42:43], 0.5
	v_fma_f64 v[46:47], -v[42:43], v[44:45], 0.5
	v_fmac_f64_e32 v[44:45], v[44:45], v[46:47]
	v_fma_f64 v[48:49], -v[44:45], v[44:45], v[4:5]
	v_fmac_f64_e32 v[42:43], v[42:43], v[46:47]
	v_fmac_f64_e32 v[44:45], v[48:49], v[42:43]
	v_fma_f64 v[46:47], -v[44:45], v[44:45], v[4:5]
	v_fmac_f64_e32 v[44:45], v[46:47], v[42:43]
	v_ldexp_f64 v[42:43], v[44:45], v9
	v_cndmask_b32_e32 v5, v43, v5, vcc
	v_cndmask_b32_e32 v4, v42, v4, vcc
	v_mul_f64 v[42:43], |v[34:35]|, v[4:5]
.LBB192_196:                            ;   in Loop: Header=BB192_148 Depth=2
	s_or_b64 exec, exec, s[72:73]
.LBB192_197:                            ;   in Loop: Header=BB192_148 Depth=2
	s_andn2_saveexec_b64 s[6:7], s[6:7]
	s_cbranch_execz .LBB192_199
; %bb.198:                              ;   in Loop: Header=BB192_148 Depth=2
	v_and_b32_e32 v5, 0x7fffffff, v35
	v_mov_b32_e32 v4, v34
	v_and_b32_e32 v43, 0x7fffffff, v39
	v_mov_b32_e32 v42, v38
	v_div_scale_f64 v[44:45], s[42:43], v[42:43], v[42:43], v[4:5]
	v_rcp_f64_e32 v[46:47], v[44:45]
	v_div_scale_f64 v[4:5], vcc, v[4:5], v[42:43], v[4:5]
	v_fma_f64 v[48:49], -v[44:45], v[46:47], 1.0
	v_fmac_f64_e32 v[46:47], v[46:47], v[48:49]
	v_fma_f64 v[48:49], -v[44:45], v[46:47], 1.0
	v_fmac_f64_e32 v[46:47], v[46:47], v[48:49]
	v_mul_f64 v[42:43], v[4:5], v[46:47]
	v_fma_f64 v[4:5], -v[44:45], v[42:43], v[4:5]
	v_div_fmas_f64 v[4:5], v[4:5], v[46:47], v[42:43]
	v_div_fixup_f64 v[4:5], v[4:5], |v[38:39]|, |v[34:35]|
	v_fma_f64 v[4:5], v[4:5], v[4:5], 1.0
	v_cmp_gt_f64_e32 vcc, s[64:65], v[4:5]
	v_cndmask_b32_e64 v9, 0, 1, vcc
	v_lshlrev_b32_e32 v9, 8, v9
	v_ldexp_f64 v[4:5], v[4:5], v9
	v_rsq_f64_e32 v[42:43], v[4:5]
	v_cndmask_b32_e32 v9, 0, v60, vcc
	v_cmp_class_f64_e32 vcc, v[4:5], v59
	v_mul_f64 v[44:45], v[4:5], v[42:43]
	v_mul_f64 v[42:43], v[42:43], 0.5
	v_fma_f64 v[46:47], -v[42:43], v[44:45], 0.5
	v_fmac_f64_e32 v[44:45], v[44:45], v[46:47]
	v_fma_f64 v[48:49], -v[44:45], v[44:45], v[4:5]
	v_fmac_f64_e32 v[42:43], v[42:43], v[46:47]
	v_fmac_f64_e32 v[44:45], v[48:49], v[42:43]
	v_fma_f64 v[46:47], -v[44:45], v[44:45], v[4:5]
	v_fmac_f64_e32 v[44:45], v[46:47], v[42:43]
	v_ldexp_f64 v[42:43], v[44:45], v9
	v_cndmask_b32_e32 v5, v43, v5, vcc
	v_cndmask_b32_e32 v4, v42, v4, vcc
	v_mul_f64 v[42:43], |v[38:39]|, v[4:5]
.LBB192_199:                            ;   in Loop: Header=BB192_148 Depth=2
	s_or_b64 exec, exec, s[6:7]
	v_add_f64 v[46:47], v[36:37], v[2:3]
	v_cmp_gt_f64_e64 vcc, |v[2:3]|, |v[36:37]|
	v_cndmask_b32_e32 v45, v3, v37, vcc
	v_cndmask_b32_e32 v44, v2, v36, vcc
	;; [unrolled: 1-line block ×4, first 2 shown]
	v_cmp_ngt_f64_e32 vcc, 0, v[46:47]
                                        ; implicit-def: $vgpr9
                                        ; implicit-def: $vgpr4_vgpr5
	s_and_saveexec_b64 s[6:7], vcc
	s_xor_b64 s[6:7], exec, s[6:7]
	s_cbranch_execz .LBB192_205
; %bb.200:                              ;   in Loop: Header=BB192_148 Depth=2
	v_cmp_nlt_f64_e32 vcc, 0, v[46:47]
                                        ; implicit-def: $sgpr17
                                        ; implicit-def: $vgpr4_vgpr5
	s_and_saveexec_b64 s[42:43], vcc
	s_xor_b64 s[72:73], exec, s[42:43]
; %bb.201:                              ;   in Loop: Header=BB192_148 Depth=2
	v_mul_f64 v[2:3], v[42:43], 0.5
	v_mul_f64 v[4:5], v[42:43], -0.5
	s_mov_b32 s17, 1
                                        ; implicit-def: $vgpr46_vgpr47
                                        ; implicit-def: $vgpr36_vgpr37
                                        ; implicit-def: $vgpr40_vgpr41
                                        ; implicit-def: $vgpr44_vgpr45
; %bb.202:                              ;   in Loop: Header=BB192_148 Depth=2
	s_or_saveexec_b64 s[72:73], s[72:73]
	v_mov_b32_e32 v9, s17
	s_xor_b64 exec, exec, s[72:73]
	s_cbranch_execz .LBB192_204
; %bb.203:                              ;   in Loop: Header=BB192_148 Depth=2
	v_add_f64 v[2:3], v[46:47], v[42:43]
	v_mul_f64 v[2:3], v[2:3], 0.5
	v_div_scale_f64 v[4:5], s[42:43], v[2:3], v[2:3], v[36:37]
	v_rcp_f64_e32 v[46:47], v[4:5]
	v_div_scale_f64 v[48:49], vcc, v[36:37], v[2:3], v[36:37]
	v_mov_b32_e32 v9, 1
	v_fma_f64 v[50:51], -v[4:5], v[46:47], 1.0
	v_fmac_f64_e32 v[46:47], v[46:47], v[50:51]
	v_fma_f64 v[50:51], -v[4:5], v[46:47], 1.0
	v_fmac_f64_e32 v[46:47], v[46:47], v[50:51]
	v_mul_f64 v[50:51], v[48:49], v[46:47]
	v_fma_f64 v[4:5], -v[4:5], v[50:51], v[48:49]
	v_div_scale_f64 v[48:49], s[42:43], v[2:3], v[2:3], v[40:41]
	v_rcp_f64_e32 v[52:53], v[48:49]
	v_div_fmas_f64 v[4:5], v[4:5], v[46:47], v[50:51]
	v_div_fixup_f64 v[4:5], v[4:5], v[2:3], v[36:37]
	v_fma_f64 v[36:37], -v[48:49], v[52:53], 1.0
	v_fmac_f64_e32 v[52:53], v[52:53], v[36:37]
	v_fma_f64 v[36:37], -v[48:49], v[52:53], 1.0
	v_fmac_f64_e32 v[52:53], v[52:53], v[36:37]
	v_div_scale_f64 v[36:37], vcc, v[40:41], v[2:3], v[40:41]
	v_mul_f64 v[46:47], v[36:37], v[52:53]
	v_fma_f64 v[36:37], -v[48:49], v[46:47], v[36:37]
	s_nop 1
	v_div_fmas_f64 v[36:37], v[36:37], v[52:53], v[46:47]
	v_div_fixup_f64 v[36:37], v[36:37], v[2:3], v[40:41]
	v_mul_f64 v[36:37], v[40:41], v[36:37]
	v_fma_f64 v[4:5], v[44:45], v[4:5], -v[36:37]
.LBB192_204:                            ;   in Loop: Header=BB192_148 Depth=2
	s_or_b64 exec, exec, s[72:73]
                                        ; implicit-def: $vgpr46_vgpr47
                                        ; implicit-def: $vgpr36_vgpr37
                                        ; implicit-def: $vgpr40_vgpr41
                                        ; implicit-def: $vgpr44_vgpr45
.LBB192_205:                            ;   in Loop: Header=BB192_148 Depth=2
	s_andn2_saveexec_b64 s[6:7], s[6:7]
	s_cbranch_execz .LBB192_207
; %bb.206:                              ;   in Loop: Header=BB192_148 Depth=2
	v_add_f64 v[2:3], v[46:47], -v[42:43]
	v_mul_f64 v[2:3], v[2:3], 0.5
	v_div_scale_f64 v[4:5], s[42:43], v[2:3], v[2:3], v[36:37]
	v_rcp_f64_e32 v[46:47], v[4:5]
	v_div_scale_f64 v[48:49], vcc, v[36:37], v[2:3], v[36:37]
	v_mov_b32_e32 v9, -1
	v_fma_f64 v[50:51], -v[4:5], v[46:47], 1.0
	v_fmac_f64_e32 v[46:47], v[46:47], v[50:51]
	v_fma_f64 v[50:51], -v[4:5], v[46:47], 1.0
	v_fmac_f64_e32 v[46:47], v[46:47], v[50:51]
	v_mul_f64 v[50:51], v[48:49], v[46:47]
	v_fma_f64 v[4:5], -v[4:5], v[50:51], v[48:49]
	v_div_scale_f64 v[48:49], s[42:43], v[2:3], v[2:3], v[40:41]
	v_rcp_f64_e32 v[52:53], v[48:49]
	v_div_fmas_f64 v[4:5], v[4:5], v[46:47], v[50:51]
	v_div_fixup_f64 v[4:5], v[4:5], v[2:3], v[36:37]
	v_fma_f64 v[36:37], -v[48:49], v[52:53], 1.0
	v_fmac_f64_e32 v[52:53], v[52:53], v[36:37]
	v_fma_f64 v[36:37], -v[48:49], v[52:53], 1.0
	v_fmac_f64_e32 v[52:53], v[52:53], v[36:37]
	v_div_scale_f64 v[36:37], vcc, v[40:41], v[2:3], v[40:41]
	v_mul_f64 v[46:47], v[36:37], v[52:53]
	v_fma_f64 v[36:37], -v[48:49], v[46:47], v[36:37]
	s_nop 1
	v_div_fmas_f64 v[36:37], v[36:37], v[52:53], v[46:47]
	v_div_fixup_f64 v[36:37], v[36:37], v[2:3], v[40:41]
	v_mul_f64 v[36:37], v[40:41], v[36:37]
	v_fma_f64 v[4:5], v[44:45], v[4:5], -v[36:37]
.LBB192_207:                            ;   in Loop: Header=BB192_148 Depth=2
	s_or_b64 exec, exec, s[6:7]
	v_xor_b32_e32 v27, 0x80000000, v43
	v_cmp_nle_f64_e64 s[6:7], 0, v[38:39]
	v_cndmask_b32_e64 v37, v43, v27, s[6:7]
	v_cndmask_b32_e64 v36, v42, v42, s[6:7]
	v_add_f64 v[36:37], v[38:39], v[36:37]
	v_cmp_ngt_f64_e64 s[42:43], |v[36:37]|, |v[34:35]|
                                        ; implicit-def: $vgpr38_vgpr39
                                        ; implicit-def: $vgpr40_vgpr41
	s_and_saveexec_b64 s[72:73], s[42:43]
	s_xor_b64 s[72:73], exec, s[72:73]
	s_cbranch_execz .LBB192_211
; %bb.208:                              ;   in Loop: Header=BB192_148 Depth=2
	v_mov_b32_e32 v40, 0
	v_cmp_neq_f64_e32 vcc, 0, v[34:35]
	v_pk_mov_b32 v[38:39], 0, 0
	v_mov_b32_e32 v41, 0x3ff00000
	s_and_saveexec_b64 s[74:75], vcc
	s_cbranch_execz .LBB192_210
; %bb.209:                              ;   in Loop: Header=BB192_148 Depth=2
	v_div_scale_f64 v[38:39], s[42:43], v[34:35], v[34:35], -v[36:37]
	v_rcp_f64_e32 v[40:41], v[38:39]
	v_div_scale_f64 v[42:43], vcc, -v[36:37], v[34:35], -v[36:37]
	v_fma_f64 v[44:45], -v[38:39], v[40:41], 1.0
	v_fmac_f64_e32 v[40:41], v[40:41], v[44:45]
	v_fma_f64 v[44:45], -v[38:39], v[40:41], 1.0
	v_fmac_f64_e32 v[40:41], v[40:41], v[44:45]
	v_mul_f64 v[44:45], v[42:43], v[40:41]
	v_fma_f64 v[38:39], -v[38:39], v[44:45], v[42:43]
	v_div_fmas_f64 v[38:39], v[38:39], v[40:41], v[44:45]
	v_div_fixup_f64 v[34:35], v[38:39], v[34:35], -v[36:37]
	v_fma_f64 v[36:37], v[34:35], v[34:35], 1.0
	v_cmp_gt_f64_e32 vcc, s[64:65], v[36:37]
	v_cndmask_b32_e64 v27, 0, 1, vcc
	v_lshlrev_b32_e32 v27, 8, v27
	v_ldexp_f64 v[36:37], v[36:37], v27
	v_rsq_f64_e32 v[38:39], v[36:37]
	v_cndmask_b32_e32 v27, 0, v60, vcc
	v_cmp_class_f64_e32 vcc, v[36:37], v59
	v_mul_f64 v[40:41], v[36:37], v[38:39]
	v_mul_f64 v[38:39], v[38:39], 0.5
	v_fma_f64 v[42:43], -v[38:39], v[40:41], 0.5
	v_fmac_f64_e32 v[40:41], v[40:41], v[42:43]
	v_fma_f64 v[44:45], -v[40:41], v[40:41], v[36:37]
	v_fmac_f64_e32 v[38:39], v[38:39], v[42:43]
	v_fmac_f64_e32 v[40:41], v[44:45], v[38:39]
	v_fma_f64 v[42:43], -v[40:41], v[40:41], v[36:37]
	v_fmac_f64_e32 v[40:41], v[42:43], v[38:39]
	v_ldexp_f64 v[38:39], v[40:41], v27
	v_cndmask_b32_e32 v37, v39, v37, vcc
	v_cndmask_b32_e32 v36, v38, v36, vcc
	v_div_scale_f64 v[38:39], s[42:43], v[36:37], v[36:37], 1.0
	v_rcp_f64_e32 v[40:41], v[38:39]
	v_fma_f64 v[42:43], -v[38:39], v[40:41], 1.0
	v_fmac_f64_e32 v[40:41], v[40:41], v[42:43]
	v_fma_f64 v[42:43], -v[38:39], v[40:41], 1.0
	v_fmac_f64_e32 v[40:41], v[40:41], v[42:43]
	v_div_scale_f64 v[42:43], vcc, 1.0, v[36:37], 1.0
	v_mul_f64 v[44:45], v[42:43], v[40:41]
	v_fma_f64 v[38:39], -v[38:39], v[44:45], v[42:43]
	s_nop 1
	v_div_fmas_f64 v[38:39], v[38:39], v[40:41], v[44:45]
	v_div_fixup_f64 v[40:41], v[38:39], v[36:37], 1.0
	v_mul_f64 v[38:39], v[34:35], v[40:41]
.LBB192_210:                            ;   in Loop: Header=BB192_148 Depth=2
	s_or_b64 exec, exec, s[74:75]
                                        ; implicit-def: $vgpr36_vgpr37
                                        ; implicit-def: $vgpr34_vgpr35
.LBB192_211:                            ;   in Loop: Header=BB192_148 Depth=2
	s_andn2_saveexec_b64 s[72:73], s[72:73]
	s_cbranch_execz .LBB192_213
; %bb.212:                              ;   in Loop: Header=BB192_148 Depth=2
	v_div_scale_f64 v[38:39], s[42:43], v[36:37], v[36:37], -v[34:35]
	v_rcp_f64_e32 v[40:41], v[38:39]
	v_div_scale_f64 v[42:43], vcc, -v[34:35], v[36:37], -v[34:35]
	v_fma_f64 v[44:45], -v[38:39], v[40:41], 1.0
	v_fmac_f64_e32 v[40:41], v[40:41], v[44:45]
	v_fma_f64 v[44:45], -v[38:39], v[40:41], 1.0
	v_fmac_f64_e32 v[40:41], v[40:41], v[44:45]
	v_mul_f64 v[44:45], v[42:43], v[40:41]
	v_fma_f64 v[38:39], -v[38:39], v[44:45], v[42:43]
	v_div_fmas_f64 v[38:39], v[38:39], v[40:41], v[44:45]
	v_div_fixup_f64 v[34:35], v[38:39], v[36:37], -v[34:35]
	v_fma_f64 v[36:37], v[34:35], v[34:35], 1.0
	v_cmp_gt_f64_e32 vcc, s[64:65], v[36:37]
	v_cndmask_b32_e64 v27, 0, 1, vcc
	v_lshlrev_b32_e32 v27, 8, v27
	v_ldexp_f64 v[36:37], v[36:37], v27
	v_rsq_f64_e32 v[38:39], v[36:37]
	v_cndmask_b32_e32 v27, 0, v60, vcc
	v_cmp_class_f64_e32 vcc, v[36:37], v59
	v_mul_f64 v[40:41], v[36:37], v[38:39]
	v_mul_f64 v[38:39], v[38:39], 0.5
	v_fma_f64 v[42:43], -v[38:39], v[40:41], 0.5
	v_fmac_f64_e32 v[40:41], v[40:41], v[42:43]
	v_fma_f64 v[44:45], -v[40:41], v[40:41], v[36:37]
	v_fmac_f64_e32 v[38:39], v[38:39], v[42:43]
	v_fmac_f64_e32 v[40:41], v[44:45], v[38:39]
	v_fma_f64 v[42:43], -v[40:41], v[40:41], v[36:37]
	v_fmac_f64_e32 v[40:41], v[42:43], v[38:39]
	v_ldexp_f64 v[38:39], v[40:41], v27
	v_cndmask_b32_e32 v37, v39, v37, vcc
	v_cndmask_b32_e32 v36, v38, v36, vcc
	v_div_scale_f64 v[38:39], s[42:43], v[36:37], v[36:37], 1.0
	v_rcp_f64_e32 v[40:41], v[38:39]
	v_fma_f64 v[42:43], -v[38:39], v[40:41], 1.0
	v_fmac_f64_e32 v[40:41], v[40:41], v[42:43]
	v_fma_f64 v[42:43], -v[38:39], v[40:41], 1.0
	v_fmac_f64_e32 v[40:41], v[40:41], v[42:43]
	v_div_scale_f64 v[42:43], vcc, 1.0, v[36:37], 1.0
	v_mul_f64 v[44:45], v[42:43], v[40:41]
	v_fma_f64 v[38:39], -v[38:39], v[44:45], v[42:43]
	s_nop 1
	v_div_fmas_f64 v[38:39], v[38:39], v[40:41], v[44:45]
	v_div_fixup_f64 v[38:39], v[38:39], v[36:37], 1.0
	v_mul_f64 v[40:41], v[34:35], v[38:39]
.LBB192_213:                            ;   in Loop: Header=BB192_148 Depth=2
	s_or_b64 exec, exec, s[72:73]
	v_cndmask_b32_e64 v27, 1, -1, s[6:7]
	v_xor_b32_e32 v34, 0x80000000, v39
	v_cmp_eq_u32_e32 vcc, v9, v27
	v_cndmask_b32_e32 v35, v41, v34, vcc
	v_cndmask_b32_e32 v34, v40, v38, vcc
	;; [unrolled: 1-line block ×4, first 2 shown]
	v_mov_b32_e32 v9, s66
	v_add_co_u32_e32 v28, vcc, s95, v28
	v_addc_co_u32_e32 v29, vcc, v9, v29, vcc
	global_store_dwordx2 v[28:29], v[34:35], off
	v_mov_b32_e32 v9, s55
	v_add_co_u32_e32 v28, vcc, s54, v28
	v_addc_co_u32_e32 v29, vcc, v29, v9, vcc
	global_store_dwordx2 v[28:29], v[36:37], off offset:-8
	global_store_dwordx4 v[30:31], v[2:5], off offset:-8
	v_mov_b32_e32 v9, v8
	v_mov_b32_e32 v3, s49
	v_add_co_u32_e32 v2, vcc, s48, v32
	v_addc_co_u32_e32 v3, vcc, v3, v33, vcc
	global_store_dwordx2 v[2:3], v[8:9], off
	v_add_u32_e32 v2, -2, v26
	ds_write_b32 v8, v2 offset:16
	s_or_b64 exec, exec, s[70:71]
                                        ; implicit-def: $vgpr3
.LBB192_214:                            ;   in Loop: Header=BB192_148 Depth=2
	s_andn2_saveexec_b64 s[6:7], s[68:69]
	s_cbranch_execz .LBB192_216
.LBB192_215:                            ;   in Loop: Header=BB192_148 Depth=2
	ds_write_b32 v8, v3 offset:16
.LBB192_216:                            ;   in Loop: Header=BB192_148 Depth=2
	s_or_b64 exec, exec, s[6:7]
.LBB192_217:                            ;   in Loop: Header=BB192_148 Depth=2
	s_or_b64 exec, exec, s[8:9]
	s_waitcnt lgkmcnt(0)
	s_barrier
	ds_read_b64 v[2:3], v8 offset:16
	s_waitcnt lgkmcnt(0)
	v_readfirstlane_b32 s8, v3
	v_cmp_eq_u32_e32 vcc, s8, v2
	v_mov_b32_e32 v26, s8
	s_cbranch_vccnz .LBB192_147
; %bb.218:                              ;   in Loop: Header=BB192_148 Depth=2
	s_and_saveexec_b64 s[6:7], s[2:3]
	s_cbranch_execz .LBB192_146
; %bb.219:                              ;   in Loop: Header=BB192_148 Depth=2
	ds_read_b32 v2, v8 offset:28
	s_ashr_i32 s9, s8, 31
	s_lshl_b64 s[68:69], s[8:9], 3
	s_mul_i32 s42, s8, s15
	v_mov_b32_e32 v28, v6
	s_waitcnt lgkmcnt(0)
	v_readfirstlane_b32 s9, v2
	s_sub_i32 s17, s9, s8
	s_add_u32 s8, s95, s68
	s_addc_u32 s9, s66, s69
	s_ashr_i32 s43, s42, 31
	s_lshl_b64 s[42:43], s[42:43], 4
	s_add_u32 s41, s93, s42
	s_addc_u32 s62, s94, s43
	s_cmp_gt_i32 s17, 0
	s_mul_hi_i32 s71, s17, s46
	s_mul_i32 s70, s17, s46
	s_cselect_b64 s[68:69], -1, 0
	s_lshl_b64 s[70:71], s[70:71], 4
	s_add_u32 s74, s41, s70
	v_mov_b32_e32 v2, s43
	v_add_co_u32_e32 v26, vcc, s42, v7
	s_addc_u32 s75, s62, s71
	v_addc_co_u32_e32 v27, vcc, v58, v2, vcc
	s_mov_b64 s[70:71], 0
	s_branch .LBB192_221
.LBB192_220:                            ;   in Loop: Header=BB192_221 Depth=3
	v_mov_b32_e32 v9, s75
	v_add_co_u32_e32 v30, vcc, s74, v30
	v_addc_co_u32_e32 v31, vcc, v9, v31, vcc
	v_add_u32_e32 v28, s36, v28
	v_cmp_le_i32_e32 vcc, s10, v28
	s_waitcnt vmcnt(0)
	global_store_dwordx4 v[30:31], v[2:5], off
	s_or_b64 s[70:71], vcc, s[70:71]
	v_mov_b32_e32 v2, s61
	v_add_co_u32_e32 v26, vcc, s60, v26
	v_addc_co_u32_e32 v27, vcc, v27, v2, vcc
	s_andn2_b64 exec, exec, s[70:71]
	s_cbranch_execz .LBB192_146
.LBB192_221:                            ;   Parent Loop BB192_7 Depth=1
                                        ;     Parent Loop BB192_148 Depth=2
                                        ; =>    This Loop Header: Depth=3
                                        ;         Child Loop BB192_222 Depth 4
	v_ashrrev_i32_e32 v29, 31, v28
	v_lshlrev_b64 v[30:31], 4, v[28:29]
	v_mov_b32_e32 v3, s62
	v_add_co_u32_e32 v2, vcc, s41, v30
	v_addc_co_u32_e32 v3, vcc, v3, v31, vcc
	global_load_dwordx4 v[2:5], v[2:3], off
	s_andn2_b64 vcc, exec, s[68:69]
	s_mov_b64 s[72:73], s[8:9]
	v_pk_mov_b32 v[32:33], v[26:27], v[26:27] op_sel:[0,1]
	s_mov_b32 s76, s17
	s_cbranch_vccnz .LBB192_220
.LBB192_222:                            ;   Parent Loop BB192_7 Depth=1
                                        ;     Parent Loop BB192_148 Depth=2
                                        ;       Parent Loop BB192_221 Depth=3
                                        ; =>      This Inner Loop Header: Depth=4
	s_add_u32 s42, s72, s11
	s_addc_u32 s43, s73, s27
	v_mov_b32_e32 v9, s59
	v_add_co_u32_e32 v44, vcc, s58, v32
	global_load_dwordx2 v[42:43], v8, s[42:43]
	v_addc_co_u32_e32 v45, vcc, v33, v9, vcc
	global_load_dwordx4 v[34:37], v[44:45], off offset:-8
	global_load_dwordx2 v[46:47], v8, s[72:73]
	s_add_i32 s76, s76, -1
	s_add_u32 s72, s72, 8
	s_addc_u32 s73, s73, 0
	s_cmp_eq_u32 s76, 0
	s_waitcnt vmcnt(2)
	v_mul_f64 v[48:49], v[2:3], v[42:43]
	s_waitcnt vmcnt(1)
	v_mul_f64 v[38:39], v[42:43], v[34:35]
	v_mul_f64 v[40:41], v[42:43], v[36:37]
	;; [unrolled: 1-line block ×3, first 2 shown]
	s_waitcnt vmcnt(0)
	v_fmac_f64_e32 v[38:39], v[2:3], v[46:47]
	v_fmac_f64_e32 v[40:41], v[4:5], v[46:47]
	v_fma_f64 v[2:3], v[46:47], v[34:35], -v[48:49]
	v_fma_f64 v[4:5], v[46:47], v[36:37], -v[42:43]
	global_store_dwordx4 v[32:33], v[38:41], off offset:-8
	v_pk_mov_b32 v[32:33], v[44:45], v[44:45] op_sel:[0,1]
	s_cbranch_scc0 .LBB192_222
	s_branch .LBB192_220
.LBB192_223:                            ;   in Loop: Header=BB192_148 Depth=2
	s_or_b64 exec, exec, s[70:71]
                                        ; implicit-def: $vgpr3
	s_andn2_saveexec_b64 s[6:7], s[68:69]
	s_cbranch_execnz .LBB192_215
	s_branch .LBB192_216
.LBB192_224:
	v_cmp_gt_i32_e32 vcc, s40, v6
	s_and_saveexec_b64 s[2:3], vcc
	s_cbranch_execz .LBB192_230
; %bb.225:
	s_lshl_b64 s[4:5], s[38:39], 2
	s_add_u32 s6, s18, s4
	s_addc_u32 s7, s19, s5
	v_readlane_b32 s4, v70, 2
	v_readlane_b32 s5, v70, 3
	s_lshl_b64 s[4:5], s[4:5], 3
	v_ashrrev_i32_e32 v7, 31, v6
	s_add_u32 s4, s24, s4
	v_lshlrev_b64 v[2:3], 3, v[6:7]
	s_addc_u32 s5, s25, s5
	s_ashr_i32 s37, s36, 31
	v_mov_b32_e32 v4, s5
	v_add_co_u32_e32 v2, vcc, s4, v2
	s_lshl_b64 s[8:9], s[36:37], 3
	v_addc_co_u32_e32 v3, vcc, v4, v3, vcc
	s_mov_b64 s[18:19], 0
	v_mov_b32_e32 v4, 0
	v_mov_b32_e32 v5, s9
	s_branch .LBB192_227
.LBB192_226:                            ;   in Loop: Header=BB192_227 Depth=1
	s_or_b64 exec, exec, s[24:25]
	v_add_u32_e32 v6, s36, v6
	v_cmp_le_i32_e32 vcc, s40, v6
	s_or_b64 s[18:19], vcc, s[18:19]
	v_add_co_u32_e32 v2, vcc, s8, v2
	v_addc_co_u32_e32 v3, vcc, v3, v5, vcc
	s_andn2_b64 exec, exec, s[18:19]
	s_cbranch_execz .LBB192_230
.LBB192_227:                            ; =>This Inner Loop Header: Depth=1
	global_load_dwordx2 v[8:9], v[2:3], off
	s_waitcnt vmcnt(0)
	v_cmp_neq_f64_e32 vcc, 0, v[8:9]
	s_and_saveexec_b64 s[24:25], vcc
	s_cbranch_execz .LBB192_226
; %bb.228:                              ;   in Loop: Header=BB192_227 Depth=1
	s_mov_b64 s[28:29], exec
	v_mbcnt_lo_u32_b32 v7, s28, 0
	v_mbcnt_hi_u32_b32 v7, s29, v7
	v_cmp_eq_u32_e32 vcc, 0, v7
	s_and_b64 s[4:5], exec, vcc
	s_mov_b64 exec, s[4:5]
	s_cbranch_execz .LBB192_226
; %bb.229:                              ;   in Loop: Header=BB192_227 Depth=1
	s_bcnt1_i32_b64 s4, s[28:29]
	v_mov_b32_e32 v7, s4
	global_atomic_add v4, v7, s[6:7]
	s_branch .LBB192_226
.LBB192_230:
	s_or_b64 exec, exec, s[2:3]
	s_cmp_lt_i32 s10, 2
	s_cbranch_scc1 .LBB192_243
; %bb.231:
	v_readlane_b32 s2, v70, 0
	v_readlane_b32 s3, v70, 1
	s_load_dwordx2 s[2:3], s[2:3], 0x4
	v_bfe_u32 v2, v0, 10, 10
	v_readlane_b32 s4, v70, 6
	v_readlane_b32 s6, v70, 4
	;; [unrolled: 1-line block ×3, first 2 shown]
	s_waitcnt lgkmcnt(0)
	s_lshr_b32 s2, s2, 16
	s_add_u32 s11, s22, -8
	s_mul_i32 s2, s2, s3
	s_addc_u32 s14, s23, -1
	v_mul_lo_u32 v1, s2, v1
	s_add_u32 s2, s34, s20
	v_mul_u32_u24_e32 v2, s3, v2
	s_addc_u32 s3, s35, s21
	s_add_u32 s2, s2, 8
	v_readlane_b32 s7, v70, 5
	s_addc_u32 s3, s3, 0
	s_lshl_b64 s[4:5], s[4:5], 4
	s_lshl_b64 s[6:7], s[6:7], 4
	s_add_u32 s4, s4, s6
	v_bfe_u32 v0, v0, 20, 10
	s_addc_u32 s5, s5, s7
	v_add3_u32 v0, v1, v2, v0
	s_add_u32 s18, s12, s4
	v_lshl_add_u32 v6, v0, 4, 48
	s_addc_u32 s19, s13, s5
	s_mov_b32 s4, 1
	v_mov_b32_e32 v7, 0
	s_branch .LBB192_233
.LBB192_232:                            ;   in Loop: Header=BB192_233 Depth=1
	s_add_i32 s4, s4, 1
	s_add_u32 s2, s2, 8
	s_addc_u32 s3, s3, 0
	s_cmp_lg_u32 s4, s10
	s_waitcnt lgkmcnt(0)
	s_barrier
	s_cbranch_scc0 .LBB192_243
.LBB192_233:                            ; =>This Loop Header: Depth=1
                                        ;     Child Loop BB192_236 Depth 2
                                        ;     Child Loop BB192_242 Depth 2
	s_and_saveexec_b64 s[6:7], s[0:1]
	s_cbranch_execz .LBB192_240
; %bb.234:                              ;   in Loop: Header=BB192_233 Depth=1
	s_ashr_i32 s5, s4, 31
	s_add_i32 s17, s4, -1
	s_lshl_b64 s[8:9], s[4:5], 3
	s_add_u32 s8, s11, s8
	s_addc_u32 s9, s14, s9
	global_load_dwordx2 v[0:1], v7, s[8:9]
	v_mov_b32_e32 v2, s17
	v_mov_b32_e32 v3, s17
	s_mov_b64 s[12:13], s[2:3]
	s_mov_b32 s5, s4
	s_mov_b32 s16, s17
	s_waitcnt vmcnt(0)
	ds_write2_b64 v7, v[0:1], v[2:3] offset1:2
	v_pk_mov_b32 v[2:3], v[0:1], v[0:1] op_sel:[0,1]
	s_branch .LBB192_236
.LBB192_235:                            ;   in Loop: Header=BB192_236 Depth=2
	s_add_i32 s5, s5, 1
	s_add_u32 s12, s12, 8
	s_addc_u32 s13, s13, 0
	s_cmp_ge_i32 s5, s10
	s_cbranch_scc1 .LBB192_238
.LBB192_236:                            ;   Parent Loop BB192_233 Depth=1
                                        ; =>  This Inner Loop Header: Depth=2
	global_load_dwordx2 v[4:5], v7, s[12:13]
	s_waitcnt vmcnt(0)
	v_cmp_nlt_f64_e32 vcc, v[4:5], v[2:3]
	s_cbranch_vccnz .LBB192_235
; %bb.237:                              ;   in Loop: Header=BB192_236 Depth=2
	v_mov_b32_e32 v2, s5
	ds_write_b32 v7, v2 offset:20
	ds_write_b64 v7, v[4:5]
	s_mov_b32 s16, s5
	v_pk_mov_b32 v[2:3], v[4:5], v[4:5] op_sel:[0,1]
	s_branch .LBB192_235
.LBB192_238:                            ;   in Loop: Header=BB192_233 Depth=1
	s_cmp_lg_u32 s16, s17
	s_cbranch_scc0 .LBB192_240
; %bb.239:                              ;   in Loop: Header=BB192_233 Depth=1
	s_ashr_i32 s17, s16, 31
	s_lshl_b64 s[12:13], s[16:17], 3
	s_add_u32 s12, s22, s12
	s_addc_u32 s13, s23, s13
	global_store_dwordx2 v7, v[0:1], s[12:13]
	global_store_dwordx2 v7, v[2:3], s[8:9]
.LBB192_240:                            ;   in Loop: Header=BB192_233 Depth=1
	s_or_b64 exec, exec, s[6:7]
	s_waitcnt lgkmcnt(0)
	s_barrier
	ds_read_b64 v[0:1], v7 offset:16
	s_waitcnt lgkmcnt(0)
	v_readfirstlane_b32 s5, v0
	v_readfirstlane_b32 s6, v1
	s_cmp_eq_u32 s6, s5
	s_cbranch_scc1 .LBB192_232
; %bb.241:                              ;   in Loop: Header=BB192_233 Depth=1
	s_mul_i32 s6, s6, s15
	s_ashr_i32 s7, s6, 31
	s_lshl_b64 s[6:7], s[6:7], 4
	s_mul_i32 s8, s5, s15
	s_add_u32 s6, s18, s6
	s_addc_u32 s7, s19, s7
	s_ashr_i32 s9, s8, 31
	s_lshl_b64 s[8:9], s[8:9], 4
	s_add_u32 s8, s18, s8
	s_addc_u32 s9, s19, s9
	s_mov_b32 s5, s10
.LBB192_242:                            ;   Parent Loop BB192_233 Depth=1
                                        ; =>  This Inner Loop Header: Depth=2
	global_load_dwordx4 v[0:3], v7, s[6:7]
	global_load_dwordx4 v[8:11], v7, s[8:9]
	s_add_i32 s5, s5, -1
	s_waitcnt vmcnt(1)
	global_store_dwordx4 v7, v[0:3], s[8:9]
	s_waitcnt vmcnt(1)
	global_store_dwordx4 v7, v[8:11], s[6:7]
	s_add_u32 s6, s6, 16
	s_addc_u32 s7, s7, 0
	s_add_u32 s8, s8, 16
	s_addc_u32 s9, s9, 0
	s_cmp_lg_u32 s5, 0
	ds_write2_b64 v6, v[8:9], v[10:11] offset1:1
	s_cbranch_scc1 .LBB192_242
	s_branch .LBB192_232
.LBB192_243:
	s_endpgm
	.section	.rodata,"a",@progbits
	.p2align	6, 0x0
	.amdhsa_kernel _ZN9rocsolver6v33100L12steqr_kernelI19rocblas_complex_numIdEdPS3_EEviPT0_lS6_lT1_iilPiS6_iS5_S5_S5_
		.amdhsa_group_segment_fixed_size 16432
		.amdhsa_private_segment_fixed_size 0
		.amdhsa_kernarg_size 368
		.amdhsa_user_sgpr_count 8
		.amdhsa_user_sgpr_private_segment_buffer 1
		.amdhsa_user_sgpr_dispatch_ptr 1
		.amdhsa_user_sgpr_queue_ptr 0
		.amdhsa_user_sgpr_kernarg_segment_ptr 1
		.amdhsa_user_sgpr_dispatch_id 0
		.amdhsa_user_sgpr_flat_scratch_init 0
		.amdhsa_user_sgpr_kernarg_preload_length 0
		.amdhsa_user_sgpr_kernarg_preload_offset 0
		.amdhsa_user_sgpr_private_segment_size 0
		.amdhsa_uses_dynamic_stack 0
		.amdhsa_system_sgpr_private_segment_wavefront_offset 0
		.amdhsa_system_sgpr_workgroup_id_x 1
		.amdhsa_system_sgpr_workgroup_id_y 1
		.amdhsa_system_sgpr_workgroup_id_z 0
		.amdhsa_system_sgpr_workgroup_info 0
		.amdhsa_system_vgpr_workitem_id 2
		.amdhsa_next_free_vgpr 71
		.amdhsa_next_free_sgpr 96
		.amdhsa_accum_offset 72
		.amdhsa_reserve_vcc 1
		.amdhsa_reserve_flat_scratch 0
		.amdhsa_float_round_mode_32 0
		.amdhsa_float_round_mode_16_64 0
		.amdhsa_float_denorm_mode_32 3
		.amdhsa_float_denorm_mode_16_64 3
		.amdhsa_dx10_clamp 1
		.amdhsa_ieee_mode 1
		.amdhsa_fp16_overflow 0
		.amdhsa_tg_split 0
		.amdhsa_exception_fp_ieee_invalid_op 0
		.amdhsa_exception_fp_denorm_src 0
		.amdhsa_exception_fp_ieee_div_zero 0
		.amdhsa_exception_fp_ieee_overflow 0
		.amdhsa_exception_fp_ieee_underflow 0
		.amdhsa_exception_fp_ieee_inexact 0
		.amdhsa_exception_int_div_zero 0
	.end_amdhsa_kernel
	.section	.text._ZN9rocsolver6v33100L12steqr_kernelI19rocblas_complex_numIdEdPS3_EEviPT0_lS6_lT1_iilPiS6_iS5_S5_S5_,"axG",@progbits,_ZN9rocsolver6v33100L12steqr_kernelI19rocblas_complex_numIdEdPS3_EEviPT0_lS6_lT1_iilPiS6_iS5_S5_S5_,comdat
.Lfunc_end192:
	.size	_ZN9rocsolver6v33100L12steqr_kernelI19rocblas_complex_numIdEdPS3_EEviPT0_lS6_lT1_iilPiS6_iS5_S5_S5_, .Lfunc_end192-_ZN9rocsolver6v33100L12steqr_kernelI19rocblas_complex_numIdEdPS3_EEviPT0_lS6_lT1_iilPiS6_iS5_S5_S5_
                                        ; -- End function
	.section	.AMDGPU.csdata,"",@progbits
; Kernel info:
; codeLenInByte = 14428
; NumSgprs: 100
; NumVgprs: 71
; NumAgprs: 0
; TotalNumVgprs: 71
; ScratchSize: 0
; MemoryBound: 0
; FloatMode: 240
; IeeeMode: 1
; LDSByteSize: 16432 bytes/workgroup (compile time only)
; SGPRBlocks: 12
; VGPRBlocks: 8
; NumSGPRsForWavesPerEU: 100
; NumVGPRsForWavesPerEU: 71
; AccumOffset: 72
; Occupancy: 7
; WaveLimiterHint : 0
; COMPUTE_PGM_RSRC2:SCRATCH_EN: 0
; COMPUTE_PGM_RSRC2:USER_SGPR: 8
; COMPUTE_PGM_RSRC2:TRAP_HANDLER: 0
; COMPUTE_PGM_RSRC2:TGID_X_EN: 1
; COMPUTE_PGM_RSRC2:TGID_Y_EN: 1
; COMPUTE_PGM_RSRC2:TGID_Z_EN: 0
; COMPUTE_PGM_RSRC2:TIDIG_COMP_CNT: 2
; COMPUTE_PGM_RSRC3_GFX90A:ACCUM_OFFSET: 17
; COMPUTE_PGM_RSRC3_GFX90A:TG_SPLIT: 0
	.section	.text._ZN9rocsolver6v33100L8copy_matI19rocblas_complex_numIdEdLb0EPS3_TnNSt9enable_ifIX18rocblas_is_complexIT_EEiE4typeELi0EEEvNS0_17copymat_directionEiiT2_iilPT0_13rocblas_fill_17rocblas_diagonal_,"axG",@progbits,_ZN9rocsolver6v33100L8copy_matI19rocblas_complex_numIdEdLb0EPS3_TnNSt9enable_ifIX18rocblas_is_complexIT_EEiE4typeELi0EEEvNS0_17copymat_directionEiiT2_iilPT0_13rocblas_fill_17rocblas_diagonal_,comdat
	.globl	_ZN9rocsolver6v33100L8copy_matI19rocblas_complex_numIdEdLb0EPS3_TnNSt9enable_ifIX18rocblas_is_complexIT_EEiE4typeELi0EEEvNS0_17copymat_directionEiiT2_iilPT0_13rocblas_fill_17rocblas_diagonal_ ; -- Begin function _ZN9rocsolver6v33100L8copy_matI19rocblas_complex_numIdEdLb0EPS3_TnNSt9enable_ifIX18rocblas_is_complexIT_EEiE4typeELi0EEEvNS0_17copymat_directionEiiT2_iilPT0_13rocblas_fill_17rocblas_diagonal_
	.p2align	8
	.type	_ZN9rocsolver6v33100L8copy_matI19rocblas_complex_numIdEdLb0EPS3_TnNSt9enable_ifIX18rocblas_is_complexIT_EEiE4typeELi0EEEvNS0_17copymat_directionEiiT2_iilPT0_13rocblas_fill_17rocblas_diagonal_,@function
_ZN9rocsolver6v33100L8copy_matI19rocblas_complex_numIdEdLb0EPS3_TnNSt9enable_ifIX18rocblas_is_complexIT_EEiE4typeELi0EEEvNS0_17copymat_directionEiiT2_iilPT0_13rocblas_fill_17rocblas_diagonal_: ; @_ZN9rocsolver6v33100L8copy_matI19rocblas_complex_numIdEdLb0EPS3_TnNSt9enable_ifIX18rocblas_is_complexIT_EEiE4typeELi0EEEvNS0_17copymat_directionEiiT2_iilPT0_13rocblas_fill_17rocblas_diagonal_
; %bb.0:
	s_load_dwordx4 s[12:15], s[4:5], 0x0
	s_load_dword s0, s[4:5], 0x44
	v_bfe_u32 v1, v0, 10, 10
	v_and_b32_e32 v0, 0x3ff, v0
	s_waitcnt lgkmcnt(0)
	s_lshr_b32 s1, s0, 16
	s_and_b32 s0, s0, 0xffff
	s_mul_i32 s7, s7, s1
	s_mul_i32 s6, s6, s0
	v_add_u32_e32 v1, s7, v1
	v_add_u32_e32 v0, s6, v0
	v_cmp_gt_u32_e32 vcc, s13, v0
	v_cmp_gt_u32_e64 s[0:1], s14, v1
	s_and_b64 s[0:1], s[0:1], vcc
	s_and_saveexec_b64 s[2:3], s[0:1]
	s_cbranch_execz .LBB193_16
; %bb.1:
	s_load_dwordx2 s[2:3], s[4:5], 0x30
	s_mov_b32 s9, s13
	s_waitcnt lgkmcnt(0)
	s_cmpk_lt_i32 s2, 0x7a
	s_cbranch_scc1 .LBB193_4
; %bb.2:
	s_cmpk_gt_i32 s2, 0x7a
	s_cbranch_scc0 .LBB193_5
; %bb.3:
	s_cmpk_lg_i32 s2, 0x7b
	s_mov_b64 s[6:7], -1
	s_cselect_b64 s[10:11], -1, 0
	s_cbranch_execz .LBB193_6
	s_branch .LBB193_7
.LBB193_4:
	s_mov_b64 s[10:11], 0
	s_mov_b64 s[6:7], 0
	s_cbranch_execnz .LBB193_8
	s_branch .LBB193_10
.LBB193_5:
	s_mov_b64 s[6:7], 0
	s_mov_b64 s[10:11], 0
.LBB193_6:
	v_cmp_gt_u32_e32 vcc, v0, v1
	v_cmp_le_u32_e64 s[0:1], v0, v1
	s_andn2_b64 s[6:7], s[6:7], exec
	s_and_b64 s[16:17], vcc, exec
	s_andn2_b64 s[10:11], s[10:11], exec
	s_and_b64 s[0:1], s[0:1], exec
	s_or_b64 s[6:7], s[6:7], s[16:17]
	s_or_b64 s[10:11], s[10:11], s[0:1]
.LBB193_7:
	s_branch .LBB193_10
.LBB193_8:
	s_cmpk_eq_i32 s2, 0x79
	s_mov_b64 s[10:11], -1
	s_cbranch_scc0 .LBB193_10
; %bb.9:
	v_cmp_gt_u32_e32 vcc, v1, v0
	v_cmp_le_u32_e64 s[0:1], v1, v0
	s_andn2_b64 s[6:7], s[6:7], exec
	s_and_b64 s[10:11], vcc, exec
	s_or_b64 s[6:7], s[6:7], s[10:11]
	s_orn2_b64 s[10:11], s[0:1], exec
.LBB193_10:
	s_and_saveexec_b64 s[0:1], s[10:11]
; %bb.11:
	s_cmpk_eq_i32 s3, 0x83
	s_cselect_b64 s[2:3], -1, 0
	v_cmp_eq_u32_e32 vcc, v0, v1
	s_and_b64 s[2:3], s[2:3], vcc
	s_andn2_b64 s[6:7], s[6:7], exec
	s_and_b64 s[2:3], s[2:3], exec
	s_or_b64 s[6:7], s[6:7], s[2:3]
; %bb.12:
	s_or_b64 exec, exec, s[0:1]
	s_and_b64 exec, exec, s[6:7]
	s_cbranch_execz .LBB193_16
; %bb.13:
	s_load_dwordx8 s[16:23], s[4:5], 0x10
	s_ashr_i32 s4, s13, 31
	s_ashr_i32 s5, s14, 31
	s_mul_i32 s4, s4, s8
	s_waitcnt lgkmcnt(0)
	s_mul_i32 s2, s8, s21
	s_mul_hi_u32 s3, s8, s20
	s_add_i32 s3, s3, s2
	s_mul_i32 s2, s8, s20
	s_ashr_i32 s1, s18, 31
	s_lshl_b64 s[2:3], s[2:3], 4
	s_mov_b32 s0, s18
	s_add_u32 s2, s16, s2
	s_addc_u32 s3, s17, s3
	s_lshl_b64 s[0:1], s[0:1], 4
	s_add_u32 s2, s2, s0
	s_mul_hi_u32 s0, s13, s8
	s_addc_u32 s3, s3, s1
	s_add_i32 s0, s0, s4
	s_mul_i32 s4, s13, s8
	s_mul_i32 s1, s4, s5
	s_mul_hi_u32 s5, s4, s14
	s_add_i32 s1, s5, s1
	s_mul_i32 s0, s0, s14
	s_add_i32 s1, s1, s0
	s_mul_i32 s0, s4, s14
	s_lshl_b64 s[0:1], s[0:1], 3
	s_add_u32 s4, s22, s0
	s_addc_u32 s5, s23, s1
	v_mad_u64_u32 v[4:5], s[0:1], v1, s19, v[0:1]
	v_mov_b32_e32 v5, 0
	s_cmp_lg_u32 s12, 0
	v_lshlrev_b64 v[2:3], 4, v[4:5]
	s_cbranch_scc0 .LBB193_17
; %bb.14:
	v_mad_u64_u32 v[6:7], s[0:1], v1, s9, v[0:1]
	v_mov_b32_e32 v7, v5
	v_lshlrev_b64 v[4:5], 3, v[6:7]
	v_mov_b32_e32 v6, s5
	v_add_co_u32_e32 v4, vcc, s4, v4
	v_addc_co_u32_e32 v5, vcc, v6, v5, vcc
	global_load_dwordx2 v[4:5], v[4:5], off
	v_mov_b32_e32 v7, s3
	v_add_co_u32_e32 v6, vcc, s2, v2
	v_addc_co_u32_e32 v7, vcc, v7, v3, vcc
	s_waitcnt vmcnt(0)
	global_store_dwordx2 v[6:7], v[4:5], off offset:8
	s_cbranch_execnz .LBB193_16
.LBB193_15:
	v_mov_b32_e32 v4, s3
	v_add_co_u32_e32 v2, vcc, s2, v2
	v_addc_co_u32_e32 v3, vcc, v4, v3, vcc
	global_load_dwordx2 v[2:3], v[2:3], off offset:8
	v_mad_u64_u32 v[0:1], s[0:1], v1, s9, v[0:1]
	v_mov_b32_e32 v1, 0
	v_lshlrev_b64 v[0:1], 3, v[0:1]
	v_mov_b32_e32 v4, s5
	v_add_co_u32_e32 v0, vcc, s4, v0
	v_addc_co_u32_e32 v1, vcc, v4, v1, vcc
	s_waitcnt vmcnt(0)
	global_store_dwordx2 v[0:1], v[2:3], off
.LBB193_16:
	s_endpgm
.LBB193_17:
	s_branch .LBB193_15
	.section	.rodata,"a",@progbits
	.p2align	6, 0x0
	.amdhsa_kernel _ZN9rocsolver6v33100L8copy_matI19rocblas_complex_numIdEdLb0EPS3_TnNSt9enable_ifIX18rocblas_is_complexIT_EEiE4typeELi0EEEvNS0_17copymat_directionEiiT2_iilPT0_13rocblas_fill_17rocblas_diagonal_
		.amdhsa_group_segment_fixed_size 0
		.amdhsa_private_segment_fixed_size 0
		.amdhsa_kernarg_size 312
		.amdhsa_user_sgpr_count 6
		.amdhsa_user_sgpr_private_segment_buffer 1
		.amdhsa_user_sgpr_dispatch_ptr 0
		.amdhsa_user_sgpr_queue_ptr 0
		.amdhsa_user_sgpr_kernarg_segment_ptr 1
		.amdhsa_user_sgpr_dispatch_id 0
		.amdhsa_user_sgpr_flat_scratch_init 0
		.amdhsa_user_sgpr_kernarg_preload_length 0
		.amdhsa_user_sgpr_kernarg_preload_offset 0
		.amdhsa_user_sgpr_private_segment_size 0
		.amdhsa_uses_dynamic_stack 0
		.amdhsa_system_sgpr_private_segment_wavefront_offset 0
		.amdhsa_system_sgpr_workgroup_id_x 1
		.amdhsa_system_sgpr_workgroup_id_y 1
		.amdhsa_system_sgpr_workgroup_id_z 1
		.amdhsa_system_sgpr_workgroup_info 0
		.amdhsa_system_vgpr_workitem_id 1
		.amdhsa_next_free_vgpr 8
		.amdhsa_next_free_sgpr 24
		.amdhsa_accum_offset 8
		.amdhsa_reserve_vcc 1
		.amdhsa_reserve_flat_scratch 0
		.amdhsa_float_round_mode_32 0
		.amdhsa_float_round_mode_16_64 0
		.amdhsa_float_denorm_mode_32 3
		.amdhsa_float_denorm_mode_16_64 3
		.amdhsa_dx10_clamp 1
		.amdhsa_ieee_mode 1
		.amdhsa_fp16_overflow 0
		.amdhsa_tg_split 0
		.amdhsa_exception_fp_ieee_invalid_op 0
		.amdhsa_exception_fp_denorm_src 0
		.amdhsa_exception_fp_ieee_div_zero 0
		.amdhsa_exception_fp_ieee_overflow 0
		.amdhsa_exception_fp_ieee_underflow 0
		.amdhsa_exception_fp_ieee_inexact 0
		.amdhsa_exception_int_div_zero 0
	.end_amdhsa_kernel
	.section	.text._ZN9rocsolver6v33100L8copy_matI19rocblas_complex_numIdEdLb0EPS3_TnNSt9enable_ifIX18rocblas_is_complexIT_EEiE4typeELi0EEEvNS0_17copymat_directionEiiT2_iilPT0_13rocblas_fill_17rocblas_diagonal_,"axG",@progbits,_ZN9rocsolver6v33100L8copy_matI19rocblas_complex_numIdEdLb0EPS3_TnNSt9enable_ifIX18rocblas_is_complexIT_EEiE4typeELi0EEEvNS0_17copymat_directionEiiT2_iilPT0_13rocblas_fill_17rocblas_diagonal_,comdat
.Lfunc_end193:
	.size	_ZN9rocsolver6v33100L8copy_matI19rocblas_complex_numIdEdLb0EPS3_TnNSt9enable_ifIX18rocblas_is_complexIT_EEiE4typeELi0EEEvNS0_17copymat_directionEiiT2_iilPT0_13rocblas_fill_17rocblas_diagonal_, .Lfunc_end193-_ZN9rocsolver6v33100L8copy_matI19rocblas_complex_numIdEdLb0EPS3_TnNSt9enable_ifIX18rocblas_is_complexIT_EEiE4typeELi0EEEvNS0_17copymat_directionEiiT2_iilPT0_13rocblas_fill_17rocblas_diagonal_
                                        ; -- End function
	.section	.AMDGPU.csdata,"",@progbits
; Kernel info:
; codeLenInByte = 576
; NumSgprs: 28
; NumVgprs: 8
; NumAgprs: 0
; TotalNumVgprs: 8
; ScratchSize: 0
; MemoryBound: 0
; FloatMode: 240
; IeeeMode: 1
; LDSByteSize: 0 bytes/workgroup (compile time only)
; SGPRBlocks: 3
; VGPRBlocks: 0
; NumSGPRsForWavesPerEU: 28
; NumVGPRsForWavesPerEU: 8
; AccumOffset: 8
; Occupancy: 8
; WaveLimiterHint : 0
; COMPUTE_PGM_RSRC2:SCRATCH_EN: 0
; COMPUTE_PGM_RSRC2:USER_SGPR: 6
; COMPUTE_PGM_RSRC2:TRAP_HANDLER: 0
; COMPUTE_PGM_RSRC2:TGID_X_EN: 1
; COMPUTE_PGM_RSRC2:TGID_Y_EN: 1
; COMPUTE_PGM_RSRC2:TGID_Z_EN: 1
; COMPUTE_PGM_RSRC2:TIDIG_COMP_CNT: 1
; COMPUTE_PGM_RSRC3_GFX90A:ACCUM_OFFSET: 1
; COMPUTE_PGM_RSRC3_GFX90A:TG_SPLIT: 0
	.section	.text._ZN9rocsolver6v33100L8set_zeroI19rocblas_complex_numIdEPS3_EEviiT0_iil13rocblas_fill_,"axG",@progbits,_ZN9rocsolver6v33100L8set_zeroI19rocblas_complex_numIdEPS3_EEviiT0_iil13rocblas_fill_,comdat
	.globl	_ZN9rocsolver6v33100L8set_zeroI19rocblas_complex_numIdEPS3_EEviiT0_iil13rocblas_fill_ ; -- Begin function _ZN9rocsolver6v33100L8set_zeroI19rocblas_complex_numIdEPS3_EEviiT0_iil13rocblas_fill_
	.p2align	8
	.type	_ZN9rocsolver6v33100L8set_zeroI19rocblas_complex_numIdEPS3_EEviiT0_iil13rocblas_fill_,@function
_ZN9rocsolver6v33100L8set_zeroI19rocblas_complex_numIdEPS3_EEviiT0_iil13rocblas_fill_: ; @_ZN9rocsolver6v33100L8set_zeroI19rocblas_complex_numIdEPS3_EEviiT0_iil13rocblas_fill_
; %bb.0:
	s_load_dword s2, s[4:5], 0x34
	s_load_dwordx2 s[0:1], s[4:5], 0x0
	v_and_b32_e32 v1, 0x3ff, v0
	v_bfe_u32 v0, v0, 10, 10
	s_waitcnt lgkmcnt(0)
	s_lshr_b32 s3, s2, 16
	s_and_b32 s2, s2, 0xffff
	s_mul_i32 s6, s6, s2
	s_mul_i32 s7, s7, s3
	v_add_u32_e32 v2, s6, v1
	v_add_u32_e32 v0, s7, v0
	v_cmp_gt_u32_e32 vcc, s0, v2
	v_cmp_gt_u32_e64 s[0:1], s1, v0
	s_and_b64 s[0:1], vcc, s[0:1]
	s_and_saveexec_b64 s[2:3], s[0:1]
	s_cbranch_execz .LBB194_12
; %bb.1:
	s_load_dword s6, s[4:5], 0x20
	s_waitcnt lgkmcnt(0)
	s_cmpk_lt_i32 s6, 0x7a
	s_cbranch_scc1 .LBB194_4
; %bb.2:
	s_cmpk_gt_i32 s6, 0x7a
	s_cbranch_scc0 .LBB194_5
; %bb.3:
	s_cmpk_eq_i32 s6, 0x7b
	s_cselect_b64 s[0:1], -1, 0
	s_cbranch_execz .LBB194_6
	s_branch .LBB194_7
.LBB194_4:
	s_mov_b64 s[0:1], 0
	s_cbranch_execnz .LBB194_8
	s_branch .LBB194_10
.LBB194_5:
	s_mov_b64 s[0:1], 0
.LBB194_6:
	v_cmp_gt_u32_e32 vcc, v0, v2
	s_andn2_b64 s[0:1], s[0:1], exec
	s_and_b64 s[2:3], vcc, exec
	s_or_b64 s[0:1], s[0:1], s[2:3]
.LBB194_7:
	s_branch .LBB194_10
.LBB194_8:
	s_cmpk_eq_i32 s6, 0x79
	s_cbranch_scc0 .LBB194_10
; %bb.9:
	v_cmp_gt_u32_e32 vcc, v2, v0
	s_andn2_b64 s[0:1], s[0:1], exec
	s_and_b64 s[2:3], vcc, exec
	s_or_b64 s[0:1], s[0:1], s[2:3]
.LBB194_10:
	s_and_b64 exec, exec, s[0:1]
	s_cbranch_execz .LBB194_12
; %bb.11:
	s_load_dwordx4 s[0:3], s[4:5], 0x8
	s_load_dwordx2 s[6:7], s[4:5], 0x18
	s_waitcnt lgkmcnt(0)
	s_ashr_i32 s5, s2, 31
	s_mov_b32 s4, s2
	s_mul_i32 s2, s8, s7
	s_mul_hi_u32 s7, s8, s6
	s_add_i32 s7, s7, s2
	s_mul_i32 s6, s8, s6
	s_lshl_b64 s[6:7], s[6:7], 4
	s_add_u32 s2, s0, s6
	s_addc_u32 s6, s1, s7
	s_lshl_b64 s[0:1], s[4:5], 4
	s_add_u32 s2, s2, s0
	s_addc_u32 s4, s6, s1
	v_mad_u64_u32 v[0:1], s[0:1], v0, s3, v[2:3]
	v_mov_b32_e32 v1, 0
	v_lshlrev_b64 v[2:3], 4, v[0:1]
	v_mov_b32_e32 v0, s4
	v_add_co_u32_e32 v4, vcc, s2, v2
	v_addc_co_u32_e32 v5, vcc, v0, v3, vcc
	v_mov_b32_e32 v0, v1
	v_mov_b32_e32 v2, v1
	;; [unrolled: 1-line block ×3, first 2 shown]
	global_store_dwordx4 v[4:5], v[0:3], off
.LBB194_12:
	s_endpgm
	.section	.rodata,"a",@progbits
	.p2align	6, 0x0
	.amdhsa_kernel _ZN9rocsolver6v33100L8set_zeroI19rocblas_complex_numIdEPS3_EEviiT0_iil13rocblas_fill_
		.amdhsa_group_segment_fixed_size 0
		.amdhsa_private_segment_fixed_size 0
		.amdhsa_kernarg_size 296
		.amdhsa_user_sgpr_count 6
		.amdhsa_user_sgpr_private_segment_buffer 1
		.amdhsa_user_sgpr_dispatch_ptr 0
		.amdhsa_user_sgpr_queue_ptr 0
		.amdhsa_user_sgpr_kernarg_segment_ptr 1
		.amdhsa_user_sgpr_dispatch_id 0
		.amdhsa_user_sgpr_flat_scratch_init 0
		.amdhsa_user_sgpr_kernarg_preload_length 0
		.amdhsa_user_sgpr_kernarg_preload_offset 0
		.amdhsa_user_sgpr_private_segment_size 0
		.amdhsa_uses_dynamic_stack 0
		.amdhsa_system_sgpr_private_segment_wavefront_offset 0
		.amdhsa_system_sgpr_workgroup_id_x 1
		.amdhsa_system_sgpr_workgroup_id_y 1
		.amdhsa_system_sgpr_workgroup_id_z 1
		.amdhsa_system_sgpr_workgroup_info 0
		.amdhsa_system_vgpr_workitem_id 1
		.amdhsa_next_free_vgpr 6
		.amdhsa_next_free_sgpr 9
		.amdhsa_accum_offset 8
		.amdhsa_reserve_vcc 1
		.amdhsa_reserve_flat_scratch 0
		.amdhsa_float_round_mode_32 0
		.amdhsa_float_round_mode_16_64 0
		.amdhsa_float_denorm_mode_32 3
		.amdhsa_float_denorm_mode_16_64 3
		.amdhsa_dx10_clamp 1
		.amdhsa_ieee_mode 1
		.amdhsa_fp16_overflow 0
		.amdhsa_tg_split 0
		.amdhsa_exception_fp_ieee_invalid_op 0
		.amdhsa_exception_fp_denorm_src 0
		.amdhsa_exception_fp_ieee_div_zero 0
		.amdhsa_exception_fp_ieee_overflow 0
		.amdhsa_exception_fp_ieee_underflow 0
		.amdhsa_exception_fp_ieee_inexact 0
		.amdhsa_exception_int_div_zero 0
	.end_amdhsa_kernel
	.section	.text._ZN9rocsolver6v33100L8set_zeroI19rocblas_complex_numIdEPS3_EEviiT0_iil13rocblas_fill_,"axG",@progbits,_ZN9rocsolver6v33100L8set_zeroI19rocblas_complex_numIdEPS3_EEviiT0_iil13rocblas_fill_,comdat
.Lfunc_end194:
	.size	_ZN9rocsolver6v33100L8set_zeroI19rocblas_complex_numIdEPS3_EEviiT0_iil13rocblas_fill_, .Lfunc_end194-_ZN9rocsolver6v33100L8set_zeroI19rocblas_complex_numIdEPS3_EEviiT0_iil13rocblas_fill_
                                        ; -- End function
	.section	.AMDGPU.csdata,"",@progbits
; Kernel info:
; codeLenInByte = 324
; NumSgprs: 13
; NumVgprs: 6
; NumAgprs: 0
; TotalNumVgprs: 6
; ScratchSize: 0
; MemoryBound: 0
; FloatMode: 240
; IeeeMode: 1
; LDSByteSize: 0 bytes/workgroup (compile time only)
; SGPRBlocks: 1
; VGPRBlocks: 0
; NumSGPRsForWavesPerEU: 13
; NumVGPRsForWavesPerEU: 6
; AccumOffset: 8
; Occupancy: 8
; WaveLimiterHint : 0
; COMPUTE_PGM_RSRC2:SCRATCH_EN: 0
; COMPUTE_PGM_RSRC2:USER_SGPR: 6
; COMPUTE_PGM_RSRC2:TRAP_HANDLER: 0
; COMPUTE_PGM_RSRC2:TGID_X_EN: 1
; COMPUTE_PGM_RSRC2:TGID_Y_EN: 1
; COMPUTE_PGM_RSRC2:TGID_Z_EN: 1
; COMPUTE_PGM_RSRC2:TIDIG_COMP_CNT: 1
; COMPUTE_PGM_RSRC3_GFX90A:ACCUM_OFFSET: 1
; COMPUTE_PGM_RSRC3_GFX90A:TG_SPLIT: 0
	.section	.text._ZN9rocsolver6v33100L8copy_matI19rocblas_complex_numIdEdLb1EPS3_TnNSt9enable_ifIX18rocblas_is_complexIT_EEiE4typeELi0EEEvNS0_17copymat_directionEiiT2_iilPT0_13rocblas_fill_17rocblas_diagonal_,"axG",@progbits,_ZN9rocsolver6v33100L8copy_matI19rocblas_complex_numIdEdLb1EPS3_TnNSt9enable_ifIX18rocblas_is_complexIT_EEiE4typeELi0EEEvNS0_17copymat_directionEiiT2_iilPT0_13rocblas_fill_17rocblas_diagonal_,comdat
	.globl	_ZN9rocsolver6v33100L8copy_matI19rocblas_complex_numIdEdLb1EPS3_TnNSt9enable_ifIX18rocblas_is_complexIT_EEiE4typeELi0EEEvNS0_17copymat_directionEiiT2_iilPT0_13rocblas_fill_17rocblas_diagonal_ ; -- Begin function _ZN9rocsolver6v33100L8copy_matI19rocblas_complex_numIdEdLb1EPS3_TnNSt9enable_ifIX18rocblas_is_complexIT_EEiE4typeELi0EEEvNS0_17copymat_directionEiiT2_iilPT0_13rocblas_fill_17rocblas_diagonal_
	.p2align	8
	.type	_ZN9rocsolver6v33100L8copy_matI19rocblas_complex_numIdEdLb1EPS3_TnNSt9enable_ifIX18rocblas_is_complexIT_EEiE4typeELi0EEEvNS0_17copymat_directionEiiT2_iilPT0_13rocblas_fill_17rocblas_diagonal_,@function
_ZN9rocsolver6v33100L8copy_matI19rocblas_complex_numIdEdLb1EPS3_TnNSt9enable_ifIX18rocblas_is_complexIT_EEiE4typeELi0EEEvNS0_17copymat_directionEiiT2_iilPT0_13rocblas_fill_17rocblas_diagonal_: ; @_ZN9rocsolver6v33100L8copy_matI19rocblas_complex_numIdEdLb1EPS3_TnNSt9enable_ifIX18rocblas_is_complexIT_EEiE4typeELi0EEEvNS0_17copymat_directionEiiT2_iilPT0_13rocblas_fill_17rocblas_diagonal_
; %bb.0:
	s_load_dwordx4 s[12:15], s[4:5], 0x0
	s_load_dword s0, s[4:5], 0x44
	v_bfe_u32 v1, v0, 10, 10
	v_and_b32_e32 v0, 0x3ff, v0
	s_waitcnt lgkmcnt(0)
	s_lshr_b32 s1, s0, 16
	s_and_b32 s0, s0, 0xffff
	s_mul_i32 s7, s7, s1
	s_mul_i32 s6, s6, s0
	v_add_u32_e32 v1, s7, v1
	v_add_u32_e32 v0, s6, v0
	v_cmp_gt_u32_e32 vcc, s13, v0
	v_cmp_gt_u32_e64 s[0:1], s14, v1
	s_and_b64 s[0:1], s[0:1], vcc
	s_and_saveexec_b64 s[2:3], s[0:1]
	s_cbranch_execz .LBB195_16
; %bb.1:
	s_load_dwordx2 s[2:3], s[4:5], 0x30
	s_mov_b32 s9, s13
	s_waitcnt lgkmcnt(0)
	s_cmpk_lt_i32 s2, 0x7a
	s_cbranch_scc1 .LBB195_4
; %bb.2:
	s_cmpk_gt_i32 s2, 0x7a
	s_cbranch_scc0 .LBB195_5
; %bb.3:
	s_cmpk_lg_i32 s2, 0x7b
	s_mov_b64 s[6:7], -1
	s_cselect_b64 s[10:11], -1, 0
	s_cbranch_execz .LBB195_6
	s_branch .LBB195_7
.LBB195_4:
	s_mov_b64 s[10:11], 0
	s_mov_b64 s[6:7], 0
	s_cbranch_execnz .LBB195_8
	s_branch .LBB195_10
.LBB195_5:
	s_mov_b64 s[6:7], 0
	s_mov_b64 s[10:11], 0
.LBB195_6:
	v_cmp_gt_u32_e32 vcc, v0, v1
	v_cmp_le_u32_e64 s[0:1], v0, v1
	s_andn2_b64 s[6:7], s[6:7], exec
	s_and_b64 s[16:17], vcc, exec
	s_andn2_b64 s[10:11], s[10:11], exec
	s_and_b64 s[0:1], s[0:1], exec
	s_or_b64 s[6:7], s[6:7], s[16:17]
	s_or_b64 s[10:11], s[10:11], s[0:1]
.LBB195_7:
	s_branch .LBB195_10
.LBB195_8:
	s_cmpk_eq_i32 s2, 0x79
	s_mov_b64 s[10:11], -1
	s_cbranch_scc0 .LBB195_10
; %bb.9:
	v_cmp_gt_u32_e32 vcc, v1, v0
	v_cmp_le_u32_e64 s[0:1], v1, v0
	s_andn2_b64 s[6:7], s[6:7], exec
	s_and_b64 s[10:11], vcc, exec
	s_or_b64 s[6:7], s[6:7], s[10:11]
	s_orn2_b64 s[10:11], s[0:1], exec
.LBB195_10:
	s_and_saveexec_b64 s[0:1], s[10:11]
; %bb.11:
	s_cmpk_eq_i32 s3, 0x83
	s_cselect_b64 s[2:3], -1, 0
	v_cmp_eq_u32_e32 vcc, v0, v1
	s_and_b64 s[2:3], s[2:3], vcc
	s_andn2_b64 s[6:7], s[6:7], exec
	s_and_b64 s[2:3], s[2:3], exec
	s_or_b64 s[6:7], s[6:7], s[2:3]
; %bb.12:
	s_or_b64 exec, exec, s[0:1]
	s_and_b64 exec, exec, s[6:7]
	s_cbranch_execz .LBB195_16
; %bb.13:
	s_load_dwordx8 s[0:7], s[4:5], 0x10
	s_ashr_i32 s15, s13, 31
	s_ashr_i32 s16, s14, 31
	s_mul_i32 s15, s15, s8
	s_waitcnt lgkmcnt(0)
	s_ashr_i32 s11, s2, 31
	s_mov_b32 s10, s2
	s_mul_i32 s2, s8, s5
	s_mul_hi_u32 s5, s8, s4
	s_add_i32 s5, s5, s2
	s_mul_i32 s4, s8, s4
	s_lshl_b64 s[4:5], s[4:5], 4
	s_add_u32 s2, s0, s4
	s_addc_u32 s4, s1, s5
	s_lshl_b64 s[0:1], s[10:11], 4
	s_add_u32 s2, s2, s0
	s_mul_hi_u32 s0, s13, s8
	s_mul_i32 s5, s13, s8
	s_addc_u32 s4, s4, s1
	s_add_i32 s0, s0, s15
	s_mul_i32 s1, s5, s16
	s_mul_hi_u32 s8, s5, s14
	s_add_i32 s1, s8, s1
	s_mul_i32 s0, s0, s14
	s_add_i32 s1, s1, s0
	s_mul_i32 s0, s5, s14
	s_lshl_b64 s[0:1], s[0:1], 3
	s_add_u32 s5, s6, s0
	s_addc_u32 s6, s7, s1
	s_cmp_lg_u32 s12, 0
	s_cbranch_scc0 .LBB195_17
; %bb.14:
	v_mad_u64_u32 v[2:3], s[0:1], v1, s9, v[0:1]
	v_mov_b32_e32 v3, 0
	v_lshlrev_b64 v[4:5], 3, v[2:3]
	v_mov_b32_e32 v2, s6
	v_add_co_u32_e32 v4, vcc, s5, v4
	v_addc_co_u32_e32 v5, vcc, v2, v5, vcc
	global_load_dwordx2 v[4:5], v[4:5], off
	v_mad_u64_u32 v[6:7], s[0:1], v1, s3, v[0:1]
	v_mov_b32_e32 v7, v3
	v_lshlrev_b64 v[2:3], 4, v[6:7]
	v_mov_b32_e32 v8, s4
	v_add_co_u32_e32 v2, vcc, s2, v2
	v_addc_co_u32_e32 v3, vcc, v8, v3, vcc
	s_waitcnt vmcnt(0)
	global_store_dwordx2 v[2:3], v[4:5], off
	s_cbranch_execnz .LBB195_16
.LBB195_15:
	v_mad_u64_u32 v[2:3], s[0:1], v1, s3, v[0:1]
	v_mov_b32_e32 v3, 0
	v_lshlrev_b64 v[4:5], 4, v[2:3]
	v_mov_b32_e32 v2, s4
	v_add_co_u32_e32 v4, vcc, s2, v4
	v_addc_co_u32_e32 v5, vcc, v2, v5, vcc
	global_load_dwordx2 v[4:5], v[4:5], off
	v_mad_u64_u32 v[0:1], s[0:1], v1, s9, v[0:1]
	v_mov_b32_e32 v1, v3
	v_lshlrev_b64 v[0:1], 3, v[0:1]
	v_mov_b32_e32 v2, s6
	v_add_co_u32_e32 v0, vcc, s5, v0
	v_addc_co_u32_e32 v1, vcc, v2, v1, vcc
	s_waitcnt vmcnt(0)
	global_store_dwordx2 v[0:1], v[4:5], off
.LBB195_16:
	s_endpgm
.LBB195_17:
	s_branch .LBB195_15
	.section	.rodata,"a",@progbits
	.p2align	6, 0x0
	.amdhsa_kernel _ZN9rocsolver6v33100L8copy_matI19rocblas_complex_numIdEdLb1EPS3_TnNSt9enable_ifIX18rocblas_is_complexIT_EEiE4typeELi0EEEvNS0_17copymat_directionEiiT2_iilPT0_13rocblas_fill_17rocblas_diagonal_
		.amdhsa_group_segment_fixed_size 0
		.amdhsa_private_segment_fixed_size 0
		.amdhsa_kernarg_size 312
		.amdhsa_user_sgpr_count 6
		.amdhsa_user_sgpr_private_segment_buffer 1
		.amdhsa_user_sgpr_dispatch_ptr 0
		.amdhsa_user_sgpr_queue_ptr 0
		.amdhsa_user_sgpr_kernarg_segment_ptr 1
		.amdhsa_user_sgpr_dispatch_id 0
		.amdhsa_user_sgpr_flat_scratch_init 0
		.amdhsa_user_sgpr_kernarg_preload_length 0
		.amdhsa_user_sgpr_kernarg_preload_offset 0
		.amdhsa_user_sgpr_private_segment_size 0
		.amdhsa_uses_dynamic_stack 0
		.amdhsa_system_sgpr_private_segment_wavefront_offset 0
		.amdhsa_system_sgpr_workgroup_id_x 1
		.amdhsa_system_sgpr_workgroup_id_y 1
		.amdhsa_system_sgpr_workgroup_id_z 1
		.amdhsa_system_sgpr_workgroup_info 0
		.amdhsa_system_vgpr_workitem_id 1
		.amdhsa_next_free_vgpr 9
		.amdhsa_next_free_sgpr 18
		.amdhsa_accum_offset 12
		.amdhsa_reserve_vcc 1
		.amdhsa_reserve_flat_scratch 0
		.amdhsa_float_round_mode_32 0
		.amdhsa_float_round_mode_16_64 0
		.amdhsa_float_denorm_mode_32 3
		.amdhsa_float_denorm_mode_16_64 3
		.amdhsa_dx10_clamp 1
		.amdhsa_ieee_mode 1
		.amdhsa_fp16_overflow 0
		.amdhsa_tg_split 0
		.amdhsa_exception_fp_ieee_invalid_op 0
		.amdhsa_exception_fp_denorm_src 0
		.amdhsa_exception_fp_ieee_div_zero 0
		.amdhsa_exception_fp_ieee_overflow 0
		.amdhsa_exception_fp_ieee_underflow 0
		.amdhsa_exception_fp_ieee_inexact 0
		.amdhsa_exception_int_div_zero 0
	.end_amdhsa_kernel
	.section	.text._ZN9rocsolver6v33100L8copy_matI19rocblas_complex_numIdEdLb1EPS3_TnNSt9enable_ifIX18rocblas_is_complexIT_EEiE4typeELi0EEEvNS0_17copymat_directionEiiT2_iilPT0_13rocblas_fill_17rocblas_diagonal_,"axG",@progbits,_ZN9rocsolver6v33100L8copy_matI19rocblas_complex_numIdEdLb1EPS3_TnNSt9enable_ifIX18rocblas_is_complexIT_EEiE4typeELi0EEEvNS0_17copymat_directionEiiT2_iilPT0_13rocblas_fill_17rocblas_diagonal_,comdat
.Lfunc_end195:
	.size	_ZN9rocsolver6v33100L8copy_matI19rocblas_complex_numIdEdLb1EPS3_TnNSt9enable_ifIX18rocblas_is_complexIT_EEiE4typeELi0EEEvNS0_17copymat_directionEiiT2_iilPT0_13rocblas_fill_17rocblas_diagonal_, .Lfunc_end195-_ZN9rocsolver6v33100L8copy_matI19rocblas_complex_numIdEdLb1EPS3_TnNSt9enable_ifIX18rocblas_is_complexIT_EEiE4typeELi0EEEvNS0_17copymat_directionEiiT2_iilPT0_13rocblas_fill_17rocblas_diagonal_
                                        ; -- End function
	.section	.AMDGPU.csdata,"",@progbits
; Kernel info:
; codeLenInByte = 596
; NumSgprs: 22
; NumVgprs: 9
; NumAgprs: 0
; TotalNumVgprs: 9
; ScratchSize: 0
; MemoryBound: 0
; FloatMode: 240
; IeeeMode: 1
; LDSByteSize: 0 bytes/workgroup (compile time only)
; SGPRBlocks: 2
; VGPRBlocks: 1
; NumSGPRsForWavesPerEU: 22
; NumVGPRsForWavesPerEU: 9
; AccumOffset: 12
; Occupancy: 8
; WaveLimiterHint : 0
; COMPUTE_PGM_RSRC2:SCRATCH_EN: 0
; COMPUTE_PGM_RSRC2:USER_SGPR: 6
; COMPUTE_PGM_RSRC2:TRAP_HANDLER: 0
; COMPUTE_PGM_RSRC2:TGID_X_EN: 1
; COMPUTE_PGM_RSRC2:TGID_Y_EN: 1
; COMPUTE_PGM_RSRC2:TGID_Z_EN: 1
; COMPUTE_PGM_RSRC2:TIDIG_COMP_CNT: 1
; COMPUTE_PGM_RSRC3_GFX90A:ACCUM_OFFSET: 2
; COMPUTE_PGM_RSRC3_GFX90A:TG_SPLIT: 0
	.section	.text._ZN9rocsolver6v33100L11stedc_copyCI19rocblas_complex_numIdEPS3_S4_EEviT0_iilT1_iil,"axG",@progbits,_ZN9rocsolver6v33100L11stedc_copyCI19rocblas_complex_numIdEPS3_S4_EEviT0_iilT1_iil,comdat
	.globl	_ZN9rocsolver6v33100L11stedc_copyCI19rocblas_complex_numIdEPS3_S4_EEviT0_iilT1_iil ; -- Begin function _ZN9rocsolver6v33100L11stedc_copyCI19rocblas_complex_numIdEPS3_S4_EEviT0_iilT1_iil
	.p2align	8
	.type	_ZN9rocsolver6v33100L11stedc_copyCI19rocblas_complex_numIdEPS3_S4_EEviT0_iilT1_iil,@function
_ZN9rocsolver6v33100L11stedc_copyCI19rocblas_complex_numIdEPS3_S4_EEviT0_iilT1_iil: ; @_ZN9rocsolver6v33100L11stedc_copyCI19rocblas_complex_numIdEPS3_S4_EEviT0_iilT1_iil
; %bb.0:
	s_load_dword s6, s[4:5], 0x44
	s_load_dword s41, s[4:5], 0x0
	s_add_u32 s0, s0, s10
	s_addc_u32 s1, s1, 0
	s_waitcnt lgkmcnt(0)
	s_and_b32 s33, s6, 0xffff
	s_lshl_b32 s40, s33, 4
	v_cvt_f32_u32_e32 v1, s40
	s_sub_i32 s10, 0, s40
	s_add_i32 s6, s41, -1
	s_ashr_i32 s7, s6, 31
	v_rcp_iflag_f32_e32 v1, v1
	s_abs_i32 s6, s6
	v_mul_f32_e32 v1, 0x4f7ffffe, v1
	v_cvt_u32_f32_e32 v1, v1
	v_readfirstlane_b32 s11, v1
	s_mul_i32 s10, s10, s11
	s_mul_hi_u32 s10, s11, s10
	s_add_i32 s11, s11, s10
	s_mul_hi_u32 s10, s6, s11
	s_mul_i32 s11, s10, s40
	s_sub_i32 s6, s6, s11
	s_add_i32 s12, s10, 1
	s_sub_i32 s11, s6, s40
	s_cmp_ge_u32 s6, s40
	s_cselect_b32 s10, s12, s10
	s_cselect_b32 s6, s11, s6
	s_add_i32 s11, s10, 1
	s_cmp_ge_u32 s6, s40
	s_cselect_b32 s6, s11, s10
	s_xor_b32 s6, s6, s7
	s_sub_i32 s6, s6, s7
	s_cmp_lt_i32 s6, 0
	s_cbranch_scc1 .LBB196_67
; %bb.1:
	s_load_dwordx8 s[12:19], s[4:5], 0x8
	s_load_dwordx4 s[20:23], s[4:5], 0x28
	s_ashr_i32 s7, s9, 31
	v_mov_b32_e32 v1, 0
	v_add_u32_e32 v32, 16, v1
	s_waitcnt lgkmcnt(0)
	s_mul_i32 s10, s9, s17
	s_mul_hi_u32 s11, s9, s16
	s_add_i32 s10, s11, s10
	s_mul_i32 s11, s7, s16
	s_add_i32 s11, s10, s11
	s_mul_i32 s10, s9, s16
	s_ashr_i32 s5, s14, 31
	s_lshl_b64 s[10:11], s[10:11], 4
	s_mov_b32 s4, s14
	s_add_u32 s10, s12, s10
	s_addc_u32 s11, s13, s11
	s_lshl_b64 s[4:5], s[4:5], 4
	s_add_u32 s12, s10, s4
	s_addc_u32 s13, s11, s5
	s_mul_i32 s10, s9, s23
	s_mul_hi_u32 s11, s9, s22
	s_add_i32 s10, s11, s10
	s_mul_i32 s7, s7, s22
	s_add_i32 s11, s10, s7
	s_mul_i32 s10, s9, s22
	s_ashr_i32 s5, s20, 31
	s_lshl_b64 s[10:11], s[10:11], 4
	s_mov_b32 s4, s20
	s_add_u32 s7, s18, s10
	s_addc_u32 s9, s19, s11
	s_lshl_b64 s[4:5], s[4:5], 4
	s_add_u32 s7, s7, s4
	s_mul_i32 s4, s8, s15
	s_addc_u32 s9, s9, s5
	s_ashr_i32 s5, s4, 31
	s_lshl_b64 s[4:5], s[4:5], 4
	s_add_u32 s42, s12, s4
	s_mul_i32 s4, s8, s21
	s_addc_u32 s43, s13, s5
	s_ashr_i32 s5, s4, 31
	s_lshl_b64 s[4:5], s[4:5], 4
	s_add_u32 s44, s7, s4
	s_addc_u32 s45, s9, s5
	v_add_u32_e32 v33, 32, v1
	v_add_u32_e32 v34, 48, v1
	v_add_u32_e32 v35, 64, v1
	v_add_u32_e32 v36, 0x50, v1
	v_add_u32_e32 v37, 0x60, v1
	v_add_u32_e32 v38, 0x70, v1
	v_add_u32_e32 v39, 0x80, v1
	v_add_u32_e32 v40, 0x90, v1
	v_add_u32_e32 v41, 0xa0, v1
	v_add_u32_e32 v42, 0xb0, v1
	v_add_u32_e32 v43, 0xc0, v1
	v_add_u32_e32 v44, 0xd0, v1
	v_add_u32_e32 v45, 0xe0, v1
	v_add_u32_e32 v46, 0xf0, v1
	s_add_i32 s46, s6, 1
	s_lshl_b32 s47, s33, 1
	s_mul_i32 s48, s33, 3
	s_lshl_b32 s49, s33, 2
	s_mul_i32 s50, s33, 5
	s_mul_i32 s51, s33, 6
	;; [unrolled: 1-line block ×3, first 2 shown]
	s_lshl_b32 s53, s33, 3
	s_mul_i32 s54, s33, 9
	s_mul_i32 s55, s33, 10
	;; [unrolled: 1-line block ×7, first 2 shown]
	s_branch .LBB196_3
.LBB196_2:                              ;   in Loop: Header=BB196_3 Depth=1
	s_or_b64 exec, exec, s[4:5]
	s_add_i32 s46, s46, -1
	s_cmp_eq_u32 s46, 0
	v_add_u32_e32 v0, s40, v0
	s_cbranch_scc1 .LBB196_67
.LBB196_3:                              ; =>This Inner Loop Header: Depth=1
	v_cmp_gt_i32_e64 s[34:35], s41, v0
	v_ashrrev_i32_e32 v1, 31, v0
	s_and_saveexec_b64 s[4:5], s[34:35]
	s_cbranch_execz .LBB196_5
; %bb.4:                                ;   in Loop: Header=BB196_3 Depth=1
	v_lshlrev_b64 v[2:3], 4, v[0:1]
	v_mov_b32_e32 v4, s43
	v_add_co_u32_e32 v2, vcc, s42, v2
	v_addc_co_u32_e32 v3, vcc, v4, v3, vcc
	global_load_dwordx4 v[2:5], v[2:3], off
	s_waitcnt vmcnt(0)
	buffer_store_dword v5, off, s[0:3], 0 offset:12
	buffer_store_dword v4, off, s[0:3], 0 offset:8
	buffer_store_dword v3, off, s[0:3], 0 offset:4
	buffer_store_dword v2, off, s[0:3], 0
.LBB196_5:                              ;   in Loop: Header=BB196_3 Depth=1
	s_or_b64 exec, exec, s[4:5]
	v_add_u32_e32 v30, s33, v0
	v_cmp_gt_i32_e64 s[30:31], s41, v30
	v_ashrrev_i32_e32 v31, 31, v30
	s_and_saveexec_b64 s[4:5], s[30:31]
	s_cbranch_execz .LBB196_7
; %bb.6:                                ;   in Loop: Header=BB196_3 Depth=1
	v_lshlrev_b64 v[2:3], 4, v[30:31]
	v_mov_b32_e32 v4, s43
	v_add_co_u32_e32 v2, vcc, s42, v2
	v_addc_co_u32_e32 v3, vcc, v4, v3, vcc
	global_load_dwordx4 v[2:5], v[2:3], off
	s_waitcnt vmcnt(0)
	buffer_store_dword v5, v32, s[0:3], 0 offen offset:12
	buffer_store_dword v4, v32, s[0:3], 0 offen offset:8
	;; [unrolled: 1-line block ×3, first 2 shown]
	buffer_store_dword v2, v32, s[0:3], 0 offen
.LBB196_7:                              ;   in Loop: Header=BB196_3 Depth=1
	s_or_b64 exec, exec, s[4:5]
	v_add_u32_e32 v28, s47, v0
	v_add_u32_e32 v2, s33, v30
	v_cmp_gt_i32_e64 s[28:29], s41, v2
	v_ashrrev_i32_e32 v29, 31, v28
	s_and_saveexec_b64 s[4:5], s[28:29]
	s_cbranch_execz .LBB196_9
; %bb.8:                                ;   in Loop: Header=BB196_3 Depth=1
	v_lshlrev_b64 v[4:5], 4, v[28:29]
	v_mov_b32_e32 v3, s43
	v_add_co_u32_e32 v4, vcc, s42, v4
	v_addc_co_u32_e32 v5, vcc, v3, v5, vcc
	global_load_dwordx4 v[4:7], v[4:5], off
	s_waitcnt vmcnt(0)
	buffer_store_dword v7, v33, s[0:3], 0 offen offset:12
	buffer_store_dword v6, v33, s[0:3], 0 offen offset:8
	;; [unrolled: 1-line block ×3, first 2 shown]
	buffer_store_dword v4, v33, s[0:3], 0 offen
.LBB196_9:                              ;   in Loop: Header=BB196_3 Depth=1
	s_or_b64 exec, exec, s[4:5]
	v_add_u32_e32 v26, s48, v0
	v_add_u32_e32 v2, s33, v2
	v_cmp_gt_i32_e64 s[26:27], s41, v2
	v_ashrrev_i32_e32 v27, 31, v26
	s_and_saveexec_b64 s[4:5], s[26:27]
	s_cbranch_execz .LBB196_11
; %bb.10:                               ;   in Loop: Header=BB196_3 Depth=1
	v_lshlrev_b64 v[4:5], 4, v[26:27]
	v_mov_b32_e32 v3, s43
	v_add_co_u32_e32 v4, vcc, s42, v4
	v_addc_co_u32_e32 v5, vcc, v3, v5, vcc
	global_load_dwordx4 v[4:7], v[4:5], off
	s_waitcnt vmcnt(0)
	buffer_store_dword v7, v34, s[0:3], 0 offen offset:12
	buffer_store_dword v6, v34, s[0:3], 0 offen offset:8
	buffer_store_dword v5, v34, s[0:3], 0 offen offset:4
	buffer_store_dword v4, v34, s[0:3], 0 offen
.LBB196_11:                             ;   in Loop: Header=BB196_3 Depth=1
	s_or_b64 exec, exec, s[4:5]
	v_add_u32_e32 v24, s49, v0
	v_add_u32_e32 v2, s33, v2
	v_cmp_gt_i32_e64 s[24:25], s41, v2
	v_ashrrev_i32_e32 v25, 31, v24
	s_and_saveexec_b64 s[4:5], s[24:25]
	s_cbranch_execz .LBB196_13
; %bb.12:                               ;   in Loop: Header=BB196_3 Depth=1
	v_lshlrev_b64 v[4:5], 4, v[24:25]
	v_mov_b32_e32 v3, s43
	v_add_co_u32_e32 v4, vcc, s42, v4
	v_addc_co_u32_e32 v5, vcc, v3, v5, vcc
	global_load_dwordx4 v[4:7], v[4:5], off
	s_waitcnt vmcnt(0)
	buffer_store_dword v7, v35, s[0:3], 0 offen offset:12
	buffer_store_dword v6, v35, s[0:3], 0 offen offset:8
	buffer_store_dword v5, v35, s[0:3], 0 offen offset:4
	buffer_store_dword v4, v35, s[0:3], 0 offen
.LBB196_13:                             ;   in Loop: Header=BB196_3 Depth=1
	s_or_b64 exec, exec, s[4:5]
	v_add_u32_e32 v22, s50, v0
	v_add_u32_e32 v2, s33, v2
	v_cmp_gt_i32_e64 s[22:23], s41, v2
	v_ashrrev_i32_e32 v23, 31, v22
	s_and_saveexec_b64 s[4:5], s[22:23]
	s_cbranch_execz .LBB196_15
; %bb.14:                               ;   in Loop: Header=BB196_3 Depth=1
	v_lshlrev_b64 v[4:5], 4, v[22:23]
	v_mov_b32_e32 v3, s43
	v_add_co_u32_e32 v4, vcc, s42, v4
	v_addc_co_u32_e32 v5, vcc, v3, v5, vcc
	global_load_dwordx4 v[4:7], v[4:5], off
	s_waitcnt vmcnt(0)
	buffer_store_dword v7, v36, s[0:3], 0 offen offset:12
	buffer_store_dword v6, v36, s[0:3], 0 offen offset:8
	buffer_store_dword v5, v36, s[0:3], 0 offen offset:4
	buffer_store_dword v4, v36, s[0:3], 0 offen
.LBB196_15:                             ;   in Loop: Header=BB196_3 Depth=1
	s_or_b64 exec, exec, s[4:5]
	v_add_u32_e32 v20, s51, v0
	v_add_u32_e32 v2, s33, v2
	v_cmp_gt_i32_e64 s[20:21], s41, v2
	v_ashrrev_i32_e32 v21, 31, v20
	s_and_saveexec_b64 s[4:5], s[20:21]
	s_cbranch_execz .LBB196_17
; %bb.16:                               ;   in Loop: Header=BB196_3 Depth=1
	v_lshlrev_b64 v[4:5], 4, v[20:21]
	v_mov_b32_e32 v3, s43
	v_add_co_u32_e32 v4, vcc, s42, v4
	v_addc_co_u32_e32 v5, vcc, v3, v5, vcc
	global_load_dwordx4 v[4:7], v[4:5], off
	s_waitcnt vmcnt(0)
	buffer_store_dword v7, v37, s[0:3], 0 offen offset:12
	buffer_store_dword v6, v37, s[0:3], 0 offen offset:8
	buffer_store_dword v5, v37, s[0:3], 0 offen offset:4
	buffer_store_dword v4, v37, s[0:3], 0 offen
.LBB196_17:                             ;   in Loop: Header=BB196_3 Depth=1
	s_or_b64 exec, exec, s[4:5]
	v_add_u32_e32 v18, s52, v0
	v_add_u32_e32 v2, s33, v2
	v_cmp_gt_i32_e64 s[18:19], s41, v2
	v_ashrrev_i32_e32 v19, 31, v18
	s_and_saveexec_b64 s[4:5], s[18:19]
	s_cbranch_execz .LBB196_19
; %bb.18:                               ;   in Loop: Header=BB196_3 Depth=1
	v_lshlrev_b64 v[4:5], 4, v[18:19]
	v_mov_b32_e32 v3, s43
	v_add_co_u32_e32 v4, vcc, s42, v4
	v_addc_co_u32_e32 v5, vcc, v3, v5, vcc
	global_load_dwordx4 v[4:7], v[4:5], off
	s_waitcnt vmcnt(0)
	buffer_store_dword v7, v38, s[0:3], 0 offen offset:12
	buffer_store_dword v6, v38, s[0:3], 0 offen offset:8
	buffer_store_dword v5, v38, s[0:3], 0 offen offset:4
	buffer_store_dword v4, v38, s[0:3], 0 offen
.LBB196_19:                             ;   in Loop: Header=BB196_3 Depth=1
	s_or_b64 exec, exec, s[4:5]
	v_add_u32_e32 v16, s53, v0
	v_add_u32_e32 v2, s33, v2
	v_cmp_gt_i32_e64 s[16:17], s41, v2
	v_ashrrev_i32_e32 v17, 31, v16
	s_and_saveexec_b64 s[4:5], s[16:17]
	s_cbranch_execz .LBB196_21
; %bb.20:                               ;   in Loop: Header=BB196_3 Depth=1
	v_lshlrev_b64 v[4:5], 4, v[16:17]
	v_mov_b32_e32 v3, s43
	v_add_co_u32_e32 v4, vcc, s42, v4
	v_addc_co_u32_e32 v5, vcc, v3, v5, vcc
	global_load_dwordx4 v[4:7], v[4:5], off
	s_waitcnt vmcnt(0)
	buffer_store_dword v7, v39, s[0:3], 0 offen offset:12
	buffer_store_dword v6, v39, s[0:3], 0 offen offset:8
	buffer_store_dword v5, v39, s[0:3], 0 offen offset:4
	buffer_store_dword v4, v39, s[0:3], 0 offen
.LBB196_21:                             ;   in Loop: Header=BB196_3 Depth=1
	s_or_b64 exec, exec, s[4:5]
	v_add_u32_e32 v14, s54, v0
	v_add_u32_e32 v2, s33, v2
	v_cmp_gt_i32_e64 s[14:15], s41, v2
	v_ashrrev_i32_e32 v15, 31, v14
	s_and_saveexec_b64 s[4:5], s[14:15]
	s_cbranch_execz .LBB196_23
; %bb.22:                               ;   in Loop: Header=BB196_3 Depth=1
	v_lshlrev_b64 v[4:5], 4, v[14:15]
	v_mov_b32_e32 v3, s43
	v_add_co_u32_e32 v4, vcc, s42, v4
	v_addc_co_u32_e32 v5, vcc, v3, v5, vcc
	global_load_dwordx4 v[4:7], v[4:5], off
	s_waitcnt vmcnt(0)
	buffer_store_dword v7, v40, s[0:3], 0 offen offset:12
	buffer_store_dword v6, v40, s[0:3], 0 offen offset:8
	buffer_store_dword v5, v40, s[0:3], 0 offen offset:4
	buffer_store_dword v4, v40, s[0:3], 0 offen
.LBB196_23:                             ;   in Loop: Header=BB196_3 Depth=1
	s_or_b64 exec, exec, s[4:5]
	v_add_u32_e32 v12, s55, v0
	v_add_u32_e32 v2, s33, v2
	v_cmp_gt_i32_e64 s[12:13], s41, v2
	v_ashrrev_i32_e32 v13, 31, v12
	s_and_saveexec_b64 s[4:5], s[12:13]
	s_cbranch_execz .LBB196_25
; %bb.24:                               ;   in Loop: Header=BB196_3 Depth=1
	v_lshlrev_b64 v[4:5], 4, v[12:13]
	v_mov_b32_e32 v3, s43
	v_add_co_u32_e32 v4, vcc, s42, v4
	v_addc_co_u32_e32 v5, vcc, v3, v5, vcc
	global_load_dwordx4 v[4:7], v[4:5], off
	s_waitcnt vmcnt(0)
	buffer_store_dword v7, v41, s[0:3], 0 offen offset:12
	buffer_store_dword v6, v41, s[0:3], 0 offen offset:8
	buffer_store_dword v5, v41, s[0:3], 0 offen offset:4
	buffer_store_dword v4, v41, s[0:3], 0 offen
.LBB196_25:                             ;   in Loop: Header=BB196_3 Depth=1
	s_or_b64 exec, exec, s[4:5]
	v_add_u32_e32 v10, s56, v0
	v_add_u32_e32 v2, s33, v2
	v_cmp_gt_i32_e64 s[10:11], s41, v2
	v_ashrrev_i32_e32 v11, 31, v10
	s_and_saveexec_b64 s[4:5], s[10:11]
	s_cbranch_execz .LBB196_27
; %bb.26:                               ;   in Loop: Header=BB196_3 Depth=1
	v_lshlrev_b64 v[4:5], 4, v[10:11]
	v_mov_b32_e32 v3, s43
	v_add_co_u32_e32 v4, vcc, s42, v4
	v_addc_co_u32_e32 v5, vcc, v3, v5, vcc
	global_load_dwordx4 v[4:7], v[4:5], off
	s_waitcnt vmcnt(0)
	buffer_store_dword v7, v42, s[0:3], 0 offen offset:12
	buffer_store_dword v6, v42, s[0:3], 0 offen offset:8
	buffer_store_dword v5, v42, s[0:3], 0 offen offset:4
	buffer_store_dword v4, v42, s[0:3], 0 offen
.LBB196_27:                             ;   in Loop: Header=BB196_3 Depth=1
	s_or_b64 exec, exec, s[4:5]
	v_add_u32_e32 v8, s57, v0
	v_add_u32_e32 v2, s33, v2
	v_cmp_gt_i32_e64 s[8:9], s41, v2
	v_ashrrev_i32_e32 v9, 31, v8
	s_and_saveexec_b64 s[4:5], s[8:9]
	s_cbranch_execz .LBB196_29
; %bb.28:                               ;   in Loop: Header=BB196_3 Depth=1
	v_lshlrev_b64 v[4:5], 4, v[8:9]
	v_mov_b32_e32 v3, s43
	v_add_co_u32_e32 v4, vcc, s42, v4
	v_addc_co_u32_e32 v5, vcc, v3, v5, vcc
	global_load_dwordx4 v[4:7], v[4:5], off
	s_waitcnt vmcnt(0)
	buffer_store_dword v7, v43, s[0:3], 0 offen offset:12
	buffer_store_dword v6, v43, s[0:3], 0 offen offset:8
	buffer_store_dword v5, v43, s[0:3], 0 offen offset:4
	buffer_store_dword v4, v43, s[0:3], 0 offen
.LBB196_29:                             ;   in Loop: Header=BB196_3 Depth=1
	s_or_b64 exec, exec, s[4:5]
	v_add_u32_e32 v6, s58, v0
	v_add_u32_e32 v2, s33, v2
	v_cmp_gt_i32_e64 s[6:7], s41, v2
	v_ashrrev_i32_e32 v7, 31, v6
	s_and_saveexec_b64 s[4:5], s[6:7]
	s_cbranch_execz .LBB196_31
; %bb.30:                               ;   in Loop: Header=BB196_3 Depth=1
	v_lshlrev_b64 v[4:5], 4, v[6:7]
	v_mov_b32_e32 v3, s43
	v_add_co_u32_e32 v4, vcc, s42, v4
	v_addc_co_u32_e32 v5, vcc, v3, v5, vcc
	global_load_dwordx4 v[48:51], v[4:5], off
	s_waitcnt vmcnt(0)
	buffer_store_dword v51, v44, s[0:3], 0 offen offset:12
	buffer_store_dword v50, v44, s[0:3], 0 offen offset:8
	buffer_store_dword v49, v44, s[0:3], 0 offen offset:4
	buffer_store_dword v48, v44, s[0:3], 0 offen
.LBB196_31:                             ;   in Loop: Header=BB196_3 Depth=1
	s_or_b64 exec, exec, s[4:5]
	v_add_u32_e32 v4, s59, v0
	v_add_u32_e32 v3, s33, v2
	v_cmp_gt_i32_e64 s[4:5], s41, v3
	v_ashrrev_i32_e32 v5, 31, v4
	s_and_saveexec_b64 s[36:37], s[4:5]
	s_cbranch_execz .LBB196_33
; %bb.32:                               ;   in Loop: Header=BB196_3 Depth=1
	v_lshlrev_b64 v[48:49], 4, v[4:5]
	v_mov_b32_e32 v2, s43
	v_add_co_u32_e32 v48, vcc, s42, v48
	v_addc_co_u32_e32 v49, vcc, v2, v49, vcc
	global_load_dwordx4 v[48:51], v[48:49], off
	s_waitcnt vmcnt(0)
	buffer_store_dword v51, v45, s[0:3], 0 offen offset:12
	buffer_store_dword v50, v45, s[0:3], 0 offen offset:8
	buffer_store_dword v49, v45, s[0:3], 0 offen offset:4
	buffer_store_dword v48, v45, s[0:3], 0 offen
.LBB196_33:                             ;   in Loop: Header=BB196_3 Depth=1
	s_or_b64 exec, exec, s[36:37]
	v_add_u32_e32 v2, s60, v0
	v_add_u32_e32 v3, s33, v3
	v_cmp_gt_i32_e32 vcc, s41, v3
	v_ashrrev_i32_e32 v3, 31, v2
	s_and_saveexec_b64 s[38:39], vcc
	s_cbranch_execnz .LBB196_50
; %bb.34:                               ;   in Loop: Header=BB196_3 Depth=1
	s_or_b64 exec, exec, s[38:39]
	s_and_saveexec_b64 s[36:37], s[34:35]
	s_cbranch_execnz .LBB196_51
.LBB196_35:                             ;   in Loop: Header=BB196_3 Depth=1
	s_or_b64 exec, exec, s[36:37]
	s_and_saveexec_b64 s[34:35], s[30:31]
	s_cbranch_execnz .LBB196_52
.LBB196_36:                             ;   in Loop: Header=BB196_3 Depth=1
	s_or_b64 exec, exec, s[34:35]
	s_and_saveexec_b64 s[30:31], s[28:29]
	s_cbranch_execnz .LBB196_53
.LBB196_37:                             ;   in Loop: Header=BB196_3 Depth=1
	s_or_b64 exec, exec, s[30:31]
	s_and_saveexec_b64 s[28:29], s[26:27]
	s_cbranch_execnz .LBB196_54
.LBB196_38:                             ;   in Loop: Header=BB196_3 Depth=1
	s_or_b64 exec, exec, s[28:29]
	s_and_saveexec_b64 s[26:27], s[24:25]
	s_cbranch_execnz .LBB196_55
.LBB196_39:                             ;   in Loop: Header=BB196_3 Depth=1
	s_or_b64 exec, exec, s[26:27]
	s_and_saveexec_b64 s[24:25], s[22:23]
	s_cbranch_execnz .LBB196_56
.LBB196_40:                             ;   in Loop: Header=BB196_3 Depth=1
	s_or_b64 exec, exec, s[24:25]
	s_and_saveexec_b64 s[22:23], s[20:21]
	s_cbranch_execnz .LBB196_57
.LBB196_41:                             ;   in Loop: Header=BB196_3 Depth=1
	s_or_b64 exec, exec, s[22:23]
	s_and_saveexec_b64 s[20:21], s[18:19]
	s_cbranch_execnz .LBB196_58
.LBB196_42:                             ;   in Loop: Header=BB196_3 Depth=1
	s_or_b64 exec, exec, s[20:21]
	s_and_saveexec_b64 s[18:19], s[16:17]
	s_cbranch_execnz .LBB196_59
.LBB196_43:                             ;   in Loop: Header=BB196_3 Depth=1
	s_or_b64 exec, exec, s[18:19]
	s_and_saveexec_b64 s[16:17], s[14:15]
	s_cbranch_execnz .LBB196_60
.LBB196_44:                             ;   in Loop: Header=BB196_3 Depth=1
	s_or_b64 exec, exec, s[16:17]
	s_and_saveexec_b64 s[14:15], s[12:13]
	s_cbranch_execnz .LBB196_61
.LBB196_45:                             ;   in Loop: Header=BB196_3 Depth=1
	s_or_b64 exec, exec, s[14:15]
	s_and_saveexec_b64 s[12:13], s[10:11]
	s_cbranch_execnz .LBB196_62
.LBB196_46:                             ;   in Loop: Header=BB196_3 Depth=1
	s_or_b64 exec, exec, s[12:13]
	s_and_saveexec_b64 s[10:11], s[8:9]
	s_cbranch_execnz .LBB196_63
.LBB196_47:                             ;   in Loop: Header=BB196_3 Depth=1
	s_or_b64 exec, exec, s[10:11]
	s_and_saveexec_b64 s[8:9], s[6:7]
	s_cbranch_execnz .LBB196_64
.LBB196_48:                             ;   in Loop: Header=BB196_3 Depth=1
	s_or_b64 exec, exec, s[8:9]
	s_and_saveexec_b64 s[6:7], s[4:5]
	s_cbranch_execnz .LBB196_65
.LBB196_49:                             ;   in Loop: Header=BB196_3 Depth=1
	s_or_b64 exec, exec, s[6:7]
	s_and_saveexec_b64 s[4:5], vcc
	s_cbranch_execz .LBB196_2
	s_branch .LBB196_66
.LBB196_50:                             ;   in Loop: Header=BB196_3 Depth=1
	v_lshlrev_b64 v[48:49], 4, v[2:3]
	v_mov_b32_e32 v47, s43
	v_add_co_u32_e64 v48, s[36:37], s42, v48
	v_addc_co_u32_e64 v49, s[36:37], v47, v49, s[36:37]
	global_load_dwordx4 v[48:51], v[48:49], off
	s_waitcnt vmcnt(0)
	buffer_store_dword v51, v46, s[0:3], 0 offen offset:12
	buffer_store_dword v50, v46, s[0:3], 0 offen offset:8
	;; [unrolled: 1-line block ×3, first 2 shown]
	buffer_store_dword v48, v46, s[0:3], 0 offen
	s_or_b64 exec, exec, s[38:39]
	s_and_saveexec_b64 s[36:37], s[34:35]
	s_cbranch_execz .LBB196_35
.LBB196_51:                             ;   in Loop: Header=BB196_3 Depth=1
	buffer_load_dword v48, off, s[0:3], 0
	buffer_load_dword v49, off, s[0:3], 0 offset:4
	buffer_load_dword v50, off, s[0:3], 0 offset:8
	;; [unrolled: 1-line block ×3, first 2 shown]
	v_lshlrev_b64 v[52:53], 4, v[0:1]
	v_mov_b32_e32 v1, s45
	v_add_co_u32_e64 v52, s[34:35], s44, v52
	v_addc_co_u32_e64 v53, s[34:35], v1, v53, s[34:35]
	s_waitcnt vmcnt(0)
	global_store_dwordx4 v[52:53], v[48:51], off
	s_or_b64 exec, exec, s[36:37]
	s_and_saveexec_b64 s[34:35], s[30:31]
	s_cbranch_execz .LBB196_36
.LBB196_52:                             ;   in Loop: Header=BB196_3 Depth=1
	buffer_load_dword v48, v32, s[0:3], 0 offen
	buffer_load_dword v49, v32, s[0:3], 0 offen offset:4
	buffer_load_dword v50, v32, s[0:3], 0 offen offset:8
	;; [unrolled: 1-line block ×3, first 2 shown]
	v_lshlrev_b64 v[30:31], 4, v[30:31]
	v_mov_b32_e32 v1, s45
	v_add_co_u32_e64 v30, s[30:31], s44, v30
	v_addc_co_u32_e64 v31, s[30:31], v1, v31, s[30:31]
	s_waitcnt vmcnt(0)
	global_store_dwordx4 v[30:31], v[48:51], off
	s_or_b64 exec, exec, s[34:35]
	s_and_saveexec_b64 s[30:31], s[28:29]
	s_cbranch_execz .LBB196_37
.LBB196_53:                             ;   in Loop: Header=BB196_3 Depth=1
	buffer_load_dword v48, v33, s[0:3], 0 offen
	buffer_load_dword v49, v33, s[0:3], 0 offen offset:4
	buffer_load_dword v50, v33, s[0:3], 0 offen offset:8
	;; [unrolled: 1-line block ×3, first 2 shown]
	v_lshlrev_b64 v[28:29], 4, v[28:29]
	v_mov_b32_e32 v1, s45
	v_add_co_u32_e64 v28, s[28:29], s44, v28
	v_addc_co_u32_e64 v29, s[28:29], v1, v29, s[28:29]
	s_waitcnt vmcnt(0)
	global_store_dwordx4 v[28:29], v[48:51], off
	s_or_b64 exec, exec, s[30:31]
	s_and_saveexec_b64 s[28:29], s[26:27]
	s_cbranch_execz .LBB196_38
.LBB196_54:                             ;   in Loop: Header=BB196_3 Depth=1
	buffer_load_dword v28, v34, s[0:3], 0 offen
	buffer_load_dword v29, v34, s[0:3], 0 offen offset:4
	buffer_load_dword v30, v34, s[0:3], 0 offen offset:8
	;; [unrolled: 1-line block ×3, first 2 shown]
	v_lshlrev_b64 v[26:27], 4, v[26:27]
	v_mov_b32_e32 v1, s45
	v_add_co_u32_e64 v26, s[26:27], s44, v26
	v_addc_co_u32_e64 v27, s[26:27], v1, v27, s[26:27]
	s_waitcnt vmcnt(0)
	global_store_dwordx4 v[26:27], v[28:31], off
	s_or_b64 exec, exec, s[28:29]
	s_and_saveexec_b64 s[26:27], s[24:25]
	s_cbranch_execz .LBB196_39
.LBB196_55:                             ;   in Loop: Header=BB196_3 Depth=1
	buffer_load_dword v26, v35, s[0:3], 0 offen
	buffer_load_dword v27, v35, s[0:3], 0 offen offset:4
	buffer_load_dword v28, v35, s[0:3], 0 offen offset:8
	;; [unrolled: 1-line block ×3, first 2 shown]
	v_lshlrev_b64 v[24:25], 4, v[24:25]
	v_mov_b32_e32 v1, s45
	v_add_co_u32_e64 v24, s[24:25], s44, v24
	v_addc_co_u32_e64 v25, s[24:25], v1, v25, s[24:25]
	s_waitcnt vmcnt(0)
	global_store_dwordx4 v[24:25], v[26:29], off
	s_or_b64 exec, exec, s[26:27]
	s_and_saveexec_b64 s[24:25], s[22:23]
	s_cbranch_execz .LBB196_40
.LBB196_56:                             ;   in Loop: Header=BB196_3 Depth=1
	buffer_load_dword v24, v36, s[0:3], 0 offen
	buffer_load_dword v25, v36, s[0:3], 0 offen offset:4
	buffer_load_dword v26, v36, s[0:3], 0 offen offset:8
	;; [unrolled: 1-line block ×3, first 2 shown]
	v_lshlrev_b64 v[22:23], 4, v[22:23]
	v_mov_b32_e32 v1, s45
	v_add_co_u32_e64 v22, s[22:23], s44, v22
	v_addc_co_u32_e64 v23, s[22:23], v1, v23, s[22:23]
	s_waitcnt vmcnt(0)
	global_store_dwordx4 v[22:23], v[24:27], off
	s_or_b64 exec, exec, s[24:25]
	s_and_saveexec_b64 s[22:23], s[20:21]
	s_cbranch_execz .LBB196_41
.LBB196_57:                             ;   in Loop: Header=BB196_3 Depth=1
	buffer_load_dword v22, v37, s[0:3], 0 offen
	buffer_load_dword v23, v37, s[0:3], 0 offen offset:4
	buffer_load_dword v24, v37, s[0:3], 0 offen offset:8
	;; [unrolled: 1-line block ×3, first 2 shown]
	v_lshlrev_b64 v[20:21], 4, v[20:21]
	v_mov_b32_e32 v1, s45
	v_add_co_u32_e64 v20, s[20:21], s44, v20
	v_addc_co_u32_e64 v21, s[20:21], v1, v21, s[20:21]
	s_waitcnt vmcnt(0)
	global_store_dwordx4 v[20:21], v[22:25], off
	s_or_b64 exec, exec, s[22:23]
	s_and_saveexec_b64 s[20:21], s[18:19]
	s_cbranch_execz .LBB196_42
.LBB196_58:                             ;   in Loop: Header=BB196_3 Depth=1
	buffer_load_dword v20, v38, s[0:3], 0 offen
	buffer_load_dword v21, v38, s[0:3], 0 offen offset:4
	buffer_load_dword v22, v38, s[0:3], 0 offen offset:8
	;; [unrolled: 1-line block ×3, first 2 shown]
	v_lshlrev_b64 v[18:19], 4, v[18:19]
	v_mov_b32_e32 v1, s45
	v_add_co_u32_e64 v18, s[18:19], s44, v18
	v_addc_co_u32_e64 v19, s[18:19], v1, v19, s[18:19]
	s_waitcnt vmcnt(0)
	global_store_dwordx4 v[18:19], v[20:23], off
	s_or_b64 exec, exec, s[20:21]
	s_and_saveexec_b64 s[18:19], s[16:17]
	s_cbranch_execz .LBB196_43
.LBB196_59:                             ;   in Loop: Header=BB196_3 Depth=1
	buffer_load_dword v18, v39, s[0:3], 0 offen
	buffer_load_dword v19, v39, s[0:3], 0 offen offset:4
	buffer_load_dword v20, v39, s[0:3], 0 offen offset:8
	;; [unrolled: 1-line block ×3, first 2 shown]
	v_lshlrev_b64 v[16:17], 4, v[16:17]
	v_mov_b32_e32 v1, s45
	v_add_co_u32_e64 v16, s[16:17], s44, v16
	v_addc_co_u32_e64 v17, s[16:17], v1, v17, s[16:17]
	s_waitcnt vmcnt(0)
	global_store_dwordx4 v[16:17], v[18:21], off
	s_or_b64 exec, exec, s[18:19]
	s_and_saveexec_b64 s[16:17], s[14:15]
	s_cbranch_execz .LBB196_44
.LBB196_60:                             ;   in Loop: Header=BB196_3 Depth=1
	buffer_load_dword v16, v40, s[0:3], 0 offen
	buffer_load_dword v17, v40, s[0:3], 0 offen offset:4
	buffer_load_dword v18, v40, s[0:3], 0 offen offset:8
	buffer_load_dword v19, v40, s[0:3], 0 offen offset:12
	v_lshlrev_b64 v[14:15], 4, v[14:15]
	v_mov_b32_e32 v1, s45
	v_add_co_u32_e64 v14, s[14:15], s44, v14
	v_addc_co_u32_e64 v15, s[14:15], v1, v15, s[14:15]
	s_waitcnt vmcnt(0)
	global_store_dwordx4 v[14:15], v[16:19], off
	s_or_b64 exec, exec, s[16:17]
	s_and_saveexec_b64 s[14:15], s[12:13]
	s_cbranch_execz .LBB196_45
.LBB196_61:                             ;   in Loop: Header=BB196_3 Depth=1
	buffer_load_dword v14, v41, s[0:3], 0 offen
	buffer_load_dword v15, v41, s[0:3], 0 offen offset:4
	buffer_load_dword v16, v41, s[0:3], 0 offen offset:8
	;; [unrolled: 1-line block ×3, first 2 shown]
	v_lshlrev_b64 v[12:13], 4, v[12:13]
	v_mov_b32_e32 v1, s45
	v_add_co_u32_e64 v12, s[12:13], s44, v12
	v_addc_co_u32_e64 v13, s[12:13], v1, v13, s[12:13]
	s_waitcnt vmcnt(0)
	global_store_dwordx4 v[12:13], v[14:17], off
	s_or_b64 exec, exec, s[14:15]
	s_and_saveexec_b64 s[12:13], s[10:11]
	s_cbranch_execz .LBB196_46
.LBB196_62:                             ;   in Loop: Header=BB196_3 Depth=1
	buffer_load_dword v12, v42, s[0:3], 0 offen
	buffer_load_dword v13, v42, s[0:3], 0 offen offset:4
	buffer_load_dword v14, v42, s[0:3], 0 offen offset:8
	;; [unrolled: 1-line block ×3, first 2 shown]
	v_lshlrev_b64 v[10:11], 4, v[10:11]
	v_mov_b32_e32 v1, s45
	v_add_co_u32_e64 v10, s[10:11], s44, v10
	v_addc_co_u32_e64 v11, s[10:11], v1, v11, s[10:11]
	s_waitcnt vmcnt(0)
	global_store_dwordx4 v[10:11], v[12:15], off
	s_or_b64 exec, exec, s[12:13]
	s_and_saveexec_b64 s[10:11], s[8:9]
	s_cbranch_execz .LBB196_47
.LBB196_63:                             ;   in Loop: Header=BB196_3 Depth=1
	buffer_load_dword v10, v43, s[0:3], 0 offen
	buffer_load_dword v11, v43, s[0:3], 0 offen offset:4
	buffer_load_dword v12, v43, s[0:3], 0 offen offset:8
	;; [unrolled: 1-line block ×3, first 2 shown]
	v_lshlrev_b64 v[8:9], 4, v[8:9]
	v_mov_b32_e32 v1, s45
	v_add_co_u32_e64 v8, s[8:9], s44, v8
	v_addc_co_u32_e64 v9, s[8:9], v1, v9, s[8:9]
	s_waitcnt vmcnt(0)
	global_store_dwordx4 v[8:9], v[10:13], off
	s_or_b64 exec, exec, s[10:11]
	s_and_saveexec_b64 s[8:9], s[6:7]
	s_cbranch_execz .LBB196_48
.LBB196_64:                             ;   in Loop: Header=BB196_3 Depth=1
	buffer_load_dword v8, v44, s[0:3], 0 offen
	buffer_load_dword v9, v44, s[0:3], 0 offen offset:4
	buffer_load_dword v10, v44, s[0:3], 0 offen offset:8
	;; [unrolled: 1-line block ×3, first 2 shown]
	v_lshlrev_b64 v[6:7], 4, v[6:7]
	v_mov_b32_e32 v1, s45
	v_add_co_u32_e64 v6, s[6:7], s44, v6
	v_addc_co_u32_e64 v7, s[6:7], v1, v7, s[6:7]
	s_waitcnt vmcnt(0)
	global_store_dwordx4 v[6:7], v[8:11], off
	s_or_b64 exec, exec, s[8:9]
	s_and_saveexec_b64 s[6:7], s[4:5]
	s_cbranch_execz .LBB196_49
.LBB196_65:                             ;   in Loop: Header=BB196_3 Depth=1
	buffer_load_dword v6, v45, s[0:3], 0 offen
	buffer_load_dword v7, v45, s[0:3], 0 offen offset:4
	buffer_load_dword v8, v45, s[0:3], 0 offen offset:8
	;; [unrolled: 1-line block ×3, first 2 shown]
	v_lshlrev_b64 v[4:5], 4, v[4:5]
	v_mov_b32_e32 v1, s45
	v_add_co_u32_e64 v4, s[4:5], s44, v4
	v_addc_co_u32_e64 v5, s[4:5], v1, v5, s[4:5]
	s_waitcnt vmcnt(0)
	global_store_dwordx4 v[4:5], v[6:9], off
	s_or_b64 exec, exec, s[6:7]
	s_and_saveexec_b64 s[4:5], vcc
	s_cbranch_execz .LBB196_2
.LBB196_66:                             ;   in Loop: Header=BB196_3 Depth=1
	buffer_load_dword v4, v46, s[0:3], 0 offen
	buffer_load_dword v5, v46, s[0:3], 0 offen offset:4
	buffer_load_dword v6, v46, s[0:3], 0 offen offset:8
	;; [unrolled: 1-line block ×3, first 2 shown]
	v_lshlrev_b64 v[2:3], 4, v[2:3]
	v_mov_b32_e32 v1, s45
	v_add_co_u32_e32 v2, vcc, s44, v2
	v_addc_co_u32_e32 v3, vcc, v1, v3, vcc
	s_waitcnt vmcnt(0)
	global_store_dwordx4 v[2:3], v[4:7], off
	s_branch .LBB196_2
.LBB196_67:
	s_endpgm
	.section	.rodata,"a",@progbits
	.p2align	6, 0x0
	.amdhsa_kernel _ZN9rocsolver6v33100L11stedc_copyCI19rocblas_complex_numIdEPS3_S4_EEviT0_iilT1_iil
		.amdhsa_group_segment_fixed_size 0
		.amdhsa_private_segment_fixed_size 272
		.amdhsa_kernarg_size 312
		.amdhsa_user_sgpr_count 8
		.amdhsa_user_sgpr_private_segment_buffer 1
		.amdhsa_user_sgpr_dispatch_ptr 0
		.amdhsa_user_sgpr_queue_ptr 0
		.amdhsa_user_sgpr_kernarg_segment_ptr 1
		.amdhsa_user_sgpr_dispatch_id 0
		.amdhsa_user_sgpr_flat_scratch_init 1
		.amdhsa_user_sgpr_kernarg_preload_length 0
		.amdhsa_user_sgpr_kernarg_preload_offset 0
		.amdhsa_user_sgpr_private_segment_size 0
		.amdhsa_uses_dynamic_stack 0
		.amdhsa_system_sgpr_private_segment_wavefront_offset 1
		.amdhsa_system_sgpr_workgroup_id_x 1
		.amdhsa_system_sgpr_workgroup_id_y 1
		.amdhsa_system_sgpr_workgroup_id_z 0
		.amdhsa_system_sgpr_workgroup_info 0
		.amdhsa_system_vgpr_workitem_id 0
		.amdhsa_next_free_vgpr 54
		.amdhsa_next_free_sgpr 61
		.amdhsa_accum_offset 56
		.amdhsa_reserve_vcc 1
		.amdhsa_reserve_flat_scratch 0
		.amdhsa_float_round_mode_32 0
		.amdhsa_float_round_mode_16_64 0
		.amdhsa_float_denorm_mode_32 3
		.amdhsa_float_denorm_mode_16_64 3
		.amdhsa_dx10_clamp 1
		.amdhsa_ieee_mode 1
		.amdhsa_fp16_overflow 0
		.amdhsa_tg_split 0
		.amdhsa_exception_fp_ieee_invalid_op 0
		.amdhsa_exception_fp_denorm_src 0
		.amdhsa_exception_fp_ieee_div_zero 0
		.amdhsa_exception_fp_ieee_overflow 0
		.amdhsa_exception_fp_ieee_underflow 0
		.amdhsa_exception_fp_ieee_inexact 0
		.amdhsa_exception_int_div_zero 0
	.end_amdhsa_kernel
	.section	.text._ZN9rocsolver6v33100L11stedc_copyCI19rocblas_complex_numIdEPS3_S4_EEviT0_iilT1_iil,"axG",@progbits,_ZN9rocsolver6v33100L11stedc_copyCI19rocblas_complex_numIdEPS3_S4_EEviT0_iilT1_iil,comdat
.Lfunc_end196:
	.size	_ZN9rocsolver6v33100L11stedc_copyCI19rocblas_complex_numIdEPS3_S4_EEviT0_iilT1_iil, .Lfunc_end196-_ZN9rocsolver6v33100L11stedc_copyCI19rocblas_complex_numIdEPS3_S4_EEviT0_iilT1_iil
                                        ; -- End function
	.section	.AMDGPU.csdata,"",@progbits
; Kernel info:
; codeLenInByte = 3584
; NumSgprs: 65
; NumVgprs: 54
; NumAgprs: 0
; TotalNumVgprs: 54
; ScratchSize: 272
; MemoryBound: 0
; FloatMode: 240
; IeeeMode: 1
; LDSByteSize: 0 bytes/workgroup (compile time only)
; SGPRBlocks: 8
; VGPRBlocks: 6
; NumSGPRsForWavesPerEU: 65
; NumVGPRsForWavesPerEU: 54
; AccumOffset: 56
; Occupancy: 8
; WaveLimiterHint : 0
; COMPUTE_PGM_RSRC2:SCRATCH_EN: 1
; COMPUTE_PGM_RSRC2:USER_SGPR: 8
; COMPUTE_PGM_RSRC2:TRAP_HANDLER: 0
; COMPUTE_PGM_RSRC2:TGID_X_EN: 1
; COMPUTE_PGM_RSRC2:TGID_Y_EN: 1
; COMPUTE_PGM_RSRC2:TGID_Z_EN: 0
; COMPUTE_PGM_RSRC2:TIDIG_COMP_CNT: 0
; COMPUTE_PGM_RSRC3_GFX90A:ACCUM_OFFSET: 13
; COMPUTE_PGM_RSRC3_GFX90A:TG_SPLIT: 0
	.section	.text._ZN9rocsolver6v33100L10stedc_sortI19rocblas_complex_numIdEdPS3_S4_EEviPT0_lS6_lT1_iilT2_iil,"axG",@progbits,_ZN9rocsolver6v33100L10stedc_sortI19rocblas_complex_numIdEdPS3_S4_EEviPT0_lS6_lT1_iilT2_iil,comdat
	.globl	_ZN9rocsolver6v33100L10stedc_sortI19rocblas_complex_numIdEdPS3_S4_EEviPT0_lS6_lT1_iilT2_iil ; -- Begin function _ZN9rocsolver6v33100L10stedc_sortI19rocblas_complex_numIdEdPS3_S4_EEviPT0_lS6_lT1_iilT2_iil
	.p2align	8
	.type	_ZN9rocsolver6v33100L10stedc_sortI19rocblas_complex_numIdEdPS3_S4_EEviPT0_lS6_lT1_iilT2_iil,@function
_ZN9rocsolver6v33100L10stedc_sortI19rocblas_complex_numIdEdPS3_S4_EEviPT0_lS6_lT1_iilT2_iil: ; @_ZN9rocsolver6v33100L10stedc_sortI19rocblas_complex_numIdEdPS3_S4_EEviPT0_lS6_lT1_iilT2_iil
; %bb.0:
	s_load_dwordx8 s[40:47], s[6:7], 0x8
	s_add_u32 s0, s0, s12
	s_addc_u32 s1, s1, 0
	s_ashr_i32 s72, s11, 31
	s_load_dword s12, s[6:7], 0x64
	s_waitcnt lgkmcnt(0)
	s_mul_i32 s8, s11, s43
	s_mul_hi_u32 s9, s11, s42
	s_add_i32 s8, s9, s8
	s_mul_i32 s9, s72, s42
	s_add_i32 s9, s8, s9
	s_mul_i32 s8, s11, s42
	s_lshl_b64 s[8:9], s[8:9], 3
	s_add_u32 s73, s40, s8
	s_mov_b32 s33, s11
	s_addc_u32 s74, s41, s9
	s_ashr_i32 s11, s10, 31
	s_lshl_b64 s[50:51], s[10:11], 3
	s_add_u32 s8, s73, s50
	s_addc_u32 s9, s74, s51
	s_and_b32 s58, s12, 0xffff
	s_lshl_b32 s59, s58, 4
	v_cvt_f32_u32_e32 v1, s59
	s_load_dword s60, s[6:7], 0x0
	s_load_dwordx2 s[48:49], s[6:7], 0x28
	s_sub_i32 s11, 0, s59
	s_load_dwordx2 s[52:53], s[8:9], 0x0
	v_rcp_iflag_f32_e32 v1, v1
	s_waitcnt lgkmcnt(0)
	s_add_i32 s8, s60, -1
	s_ashr_i32 s9, s8, 31
	s_abs_i32 s8, s8
	v_mul_f32_e32 v1, 0x4f7ffffe, v1
	v_cvt_u32_f32_e32 v1, v1
	v_and_b32_e32 v34, 0x3ff, v0
	v_mov_b32_e32 v35, 0
	s_mul_i32 s61, s58, 3
	v_readfirstlane_b32 s12, v1
	s_mul_i32 s11, s11, s12
	s_mul_hi_u32 s11, s12, s11
	s_add_i32 s12, s12, s11
	s_mul_hi_u32 s11, s8, s12
	s_mul_i32 s12, s11, s59
	s_sub_i32 s8, s8, s12
	s_add_i32 s12, s11, 1
	s_sub_i32 s13, s8, s59
	s_cmp_ge_u32 s8, s59
	s_cselect_b32 s11, s12, s11
	s_cselect_b32 s8, s13, s8
	s_add_i32 s12, s11, 1
	s_cmp_ge_u32 s8, s59
	s_cselect_b32 s8, s12, s11
	s_xor_b32 s8, s8, s9
	s_sub_i32 s11, s8, s9
	s_cmp_gt_i32 s11, -1
	s_cselect_b64 s[54:55], -1, 0
	s_cmp_lt_i32 s11, 0
	s_mul_i32 s62, s58, 5
	s_mul_i32 s63, s58, 6
	;; [unrolled: 1-line block ×10, first 2 shown]
	s_cbranch_scc1 .LBB197_67
; %bb.1:
	s_add_i32 s75, s11, 1
	s_lshl_b32 s76, s58, 1
	s_lshl_b32 s77, s58, 2
	;; [unrolled: 1-line block ×3, first 2 shown]
	v_mov_b32_e32 v1, 0
	v_mov_b32_e32 v36, v34
	;; [unrolled: 1-line block ×4, first 2 shown]
                                        ; implicit-def: $vgpr4_vgpr5
                                        ; implicit-def: $vgpr8_vgpr9
                                        ; implicit-def: $vgpr12_vgpr13
                                        ; implicit-def: $vgpr16_vgpr17
                                        ; implicit-def: $vgpr20_vgpr21
                                        ; implicit-def: $vgpr24_vgpr25
                                        ; implicit-def: $vgpr28_vgpr29
                                        ; implicit-def: $vgpr32_vgpr33
	s_branch .LBB197_3
.LBB197_2:                              ;   in Loop: Header=BB197_3 Depth=1
	s_or_b64 exec, exec, s[12:13]
	s_add_i32 s75, s75, -1
	s_cmp_eq_u32 s75, 0
	v_add_u32_e32 v36, s59, v36
	s_cbranch_scc1 .LBB197_68
.LBB197_3:                              ; =>This Inner Loop Header: Depth=1
	v_cmp_gt_i32_e64 s[40:41], s60, v36
	s_and_saveexec_b64 s[8:9], s[40:41]
	s_cbranch_execz .LBB197_5
; %bb.4:                                ;   in Loop: Header=BB197_3 Depth=1
	v_ashrrev_i32_e32 v37, 31, v36
	s_waitcnt vmcnt(0)
	v_lshlrev_b64 v[30:31], 3, v[36:37]
	v_mov_b32_e32 v37, s74
	v_add_co_u32_e32 v30, vcc, s73, v30
	v_addc_co_u32_e32 v31, vcc, v37, v31, vcc
	global_load_dwordx2 v[30:31], v[30:31], off
.LBB197_5:                              ;   in Loop: Header=BB197_3 Depth=1
	s_or_b64 exec, exec, s[8:9]
	v_add_u32_e32 v66, s58, v36
	v_cmp_gt_i32_e64 s[38:39], s60, v66
	s_and_saveexec_b64 s[8:9], s[38:39]
	s_cbranch_execz .LBB197_7
; %bb.6:                                ;   in Loop: Header=BB197_3 Depth=1
	v_ashrrev_i32_e32 v67, 31, v66
	s_waitcnt vmcnt(0)
	v_lshlrev_b64 v[32:33], 3, v[66:67]
	v_mov_b32_e32 v37, s74
	v_add_co_u32_e32 v32, vcc, s73, v32
	v_addc_co_u32_e32 v33, vcc, v37, v33, vcc
	global_load_dwordx2 v[32:33], v[32:33], off
.LBB197_7:                              ;   in Loop: Header=BB197_3 Depth=1
	s_or_b64 exec, exec, s[8:9]
	v_add_u32_e32 v64, s76, v36
	;; [unrolled: 14-line block ×3, first 2 shown]
	v_cmp_gt_i32_e64 s[34:35], s60, v62
	s_and_saveexec_b64 s[8:9], s[34:35]
	s_cbranch_execz .LBB197_11
; %bb.10:                               ;   in Loop: Header=BB197_3 Depth=1
	v_ashrrev_i32_e32 v63, 31, v62
	s_waitcnt vmcnt(0)
	v_lshlrev_b64 v[28:29], 3, v[62:63]
	v_mov_b32_e32 v37, s74
	v_add_co_u32_e32 v28, vcc, s73, v28
	v_addc_co_u32_e32 v29, vcc, v37, v29, vcc
	global_load_dwordx2 v[28:29], v[28:29], off
.LBB197_11:                             ;   in Loop: Header=BB197_3 Depth=1
	s_or_b64 exec, exec, s[8:9]
	v_add_u32_e32 v60, s77, v36
	v_cmp_gt_i32_e64 s[30:31], s60, v60
	s_and_saveexec_b64 s[8:9], s[30:31]
	s_cbranch_execz .LBB197_13
; %bb.12:                               ;   in Loop: Header=BB197_3 Depth=1
	v_ashrrev_i32_e32 v61, 31, v60
	s_waitcnt vmcnt(0)
	v_lshlrev_b64 v[22:23], 3, v[60:61]
	v_mov_b32_e32 v37, s74
	v_add_co_u32_e32 v22, vcc, s73, v22
	v_addc_co_u32_e32 v23, vcc, v37, v23, vcc
	global_load_dwordx2 v[22:23], v[22:23], off
.LBB197_13:                             ;   in Loop: Header=BB197_3 Depth=1
	s_or_b64 exec, exec, s[8:9]
	v_add_u32_e32 v58, s62, v36
	v_cmp_gt_i32_e64 s[28:29], s60, v58
	s_and_saveexec_b64 s[8:9], s[28:29]
	s_cbranch_execz .LBB197_15
; %bb.14:                               ;   in Loop: Header=BB197_3 Depth=1
	v_ashrrev_i32_e32 v59, 31, v58
	s_waitcnt vmcnt(0)
	v_lshlrev_b64 v[24:25], 3, v[58:59]
	v_mov_b32_e32 v37, s74
	v_add_co_u32_e32 v24, vcc, s73, v24
	v_addc_co_u32_e32 v25, vcc, v37, v25, vcc
	global_load_dwordx2 v[24:25], v[24:25], off
.LBB197_15:                             ;   in Loop: Header=BB197_3 Depth=1
	s_or_b64 exec, exec, s[8:9]
	v_add_u32_e32 v56, s63, v36
	v_cmp_gt_i32_e64 s[26:27], s60, v56
	s_and_saveexec_b64 s[8:9], s[26:27]
	s_cbranch_execz .LBB197_17
; %bb.16:                               ;   in Loop: Header=BB197_3 Depth=1
	v_ashrrev_i32_e32 v57, 31, v56
	s_waitcnt vmcnt(0)
	v_lshlrev_b64 v[18:19], 3, v[56:57]
	v_mov_b32_e32 v37, s74
	v_add_co_u32_e32 v18, vcc, s73, v18
	v_addc_co_u32_e32 v19, vcc, v37, v19, vcc
	global_load_dwordx2 v[18:19], v[18:19], off
.LBB197_17:                             ;   in Loop: Header=BB197_3 Depth=1
	s_or_b64 exec, exec, s[8:9]
	v_add_u32_e32 v54, s64, v36
	v_cmp_gt_i32_e64 s[24:25], s60, v54
	s_and_saveexec_b64 s[8:9], s[24:25]
	s_cbranch_execz .LBB197_19
; %bb.18:                               ;   in Loop: Header=BB197_3 Depth=1
	v_ashrrev_i32_e32 v55, 31, v54
	s_waitcnt vmcnt(0)
	v_lshlrev_b64 v[20:21], 3, v[54:55]
	v_mov_b32_e32 v37, s74
	v_add_co_u32_e32 v20, vcc, s73, v20
	v_addc_co_u32_e32 v21, vcc, v37, v21, vcc
	global_load_dwordx2 v[20:21], v[20:21], off
.LBB197_19:                             ;   in Loop: Header=BB197_3 Depth=1
	s_or_b64 exec, exec, s[8:9]
	v_add_u32_e32 v52, s78, v36
	v_cmp_gt_i32_e64 s[22:23], s60, v52
	s_and_saveexec_b64 s[8:9], s[22:23]
	s_cbranch_execz .LBB197_21
; %bb.20:                               ;   in Loop: Header=BB197_3 Depth=1
	v_ashrrev_i32_e32 v53, 31, v52
	s_waitcnt vmcnt(0)
	v_lshlrev_b64 v[14:15], 3, v[52:53]
	v_mov_b32_e32 v37, s74
	v_add_co_u32_e32 v14, vcc, s73, v14
	v_addc_co_u32_e32 v15, vcc, v37, v15, vcc
	global_load_dwordx2 v[14:15], v[14:15], off
.LBB197_21:                             ;   in Loop: Header=BB197_3 Depth=1
	s_or_b64 exec, exec, s[8:9]
	v_add_u32_e32 v50, s65, v36
	v_cmp_gt_i32_e64 s[20:21], s60, v50
	s_and_saveexec_b64 s[8:9], s[20:21]
	s_cbranch_execz .LBB197_23
; %bb.22:                               ;   in Loop: Header=BB197_3 Depth=1
	v_ashrrev_i32_e32 v51, 31, v50
	s_waitcnt vmcnt(0)
	v_lshlrev_b64 v[16:17], 3, v[50:51]
	v_mov_b32_e32 v37, s74
	v_add_co_u32_e32 v16, vcc, s73, v16
	v_addc_co_u32_e32 v17, vcc, v37, v17, vcc
	global_load_dwordx2 v[16:17], v[16:17], off
.LBB197_23:                             ;   in Loop: Header=BB197_3 Depth=1
	s_or_b64 exec, exec, s[8:9]
	v_add_u32_e32 v48, s66, v36
	v_cmp_gt_i32_e64 s[18:19], s60, v48
	s_and_saveexec_b64 s[8:9], s[18:19]
	s_cbranch_execz .LBB197_25
; %bb.24:                               ;   in Loop: Header=BB197_3 Depth=1
	v_ashrrev_i32_e32 v49, 31, v48
	s_waitcnt vmcnt(0)
	v_lshlrev_b64 v[10:11], 3, v[48:49]
	v_mov_b32_e32 v37, s74
	v_add_co_u32_e32 v10, vcc, s73, v10
	v_addc_co_u32_e32 v11, vcc, v37, v11, vcc
	global_load_dwordx2 v[10:11], v[10:11], off
.LBB197_25:                             ;   in Loop: Header=BB197_3 Depth=1
	s_or_b64 exec, exec, s[8:9]
	v_add_u32_e32 v46, s67, v36
	v_cmp_gt_i32_e64 s[16:17], s60, v46
	s_and_saveexec_b64 s[8:9], s[16:17]
	s_cbranch_execz .LBB197_27
; %bb.26:                               ;   in Loop: Header=BB197_3 Depth=1
	v_ashrrev_i32_e32 v47, 31, v46
	s_waitcnt vmcnt(0)
	v_lshlrev_b64 v[12:13], 3, v[46:47]
	v_mov_b32_e32 v37, s74
	v_add_co_u32_e32 v12, vcc, s73, v12
	v_addc_co_u32_e32 v13, vcc, v37, v13, vcc
	global_load_dwordx2 v[12:13], v[12:13], off
.LBB197_27:                             ;   in Loop: Header=BB197_3 Depth=1
	s_or_b64 exec, exec, s[8:9]
	v_add_u32_e32 v44, s68, v36
	v_cmp_gt_i32_e64 s[14:15], s60, v44
	s_and_saveexec_b64 s[8:9], s[14:15]
	s_cbranch_execz .LBB197_29
; %bb.28:                               ;   in Loop: Header=BB197_3 Depth=1
	v_ashrrev_i32_e32 v45, 31, v44
	s_waitcnt vmcnt(0)
	v_lshlrev_b64 v[6:7], 3, v[44:45]
	v_mov_b32_e32 v37, s74
	v_add_co_u32_e32 v6, vcc, s73, v6
	v_addc_co_u32_e32 v7, vcc, v37, v7, vcc
	global_load_dwordx2 v[6:7], v[6:7], off
.LBB197_29:                             ;   in Loop: Header=BB197_3 Depth=1
	s_or_b64 exec, exec, s[8:9]
	v_add_u32_e32 v42, s69, v36
	v_cmp_gt_i32_e64 s[12:13], s60, v42
	s_and_saveexec_b64 s[8:9], s[12:13]
	s_cbranch_execz .LBB197_31
; %bb.30:                               ;   in Loop: Header=BB197_3 Depth=1
	v_ashrrev_i32_e32 v43, 31, v42
	s_waitcnt vmcnt(0)
	v_lshlrev_b64 v[8:9], 3, v[42:43]
	v_mov_b32_e32 v37, s74
	v_add_co_u32_e32 v8, vcc, s73, v8
	v_addc_co_u32_e32 v9, vcc, v37, v9, vcc
	global_load_dwordx2 v[8:9], v[8:9], off
.LBB197_31:                             ;   in Loop: Header=BB197_3 Depth=1
	s_or_b64 exec, exec, s[8:9]
	v_add_u32_e32 v40, s70, v36
	v_cmp_gt_i32_e64 s[8:9], s60, v40
	s_and_saveexec_b64 s[42:43], s[8:9]
	s_cbranch_execz .LBB197_33
; %bb.32:                               ;   in Loop: Header=BB197_3 Depth=1
	v_ashrrev_i32_e32 v41, 31, v40
	s_waitcnt vmcnt(0)
	v_lshlrev_b64 v[2:3], 3, v[40:41]
	v_mov_b32_e32 v37, s74
	v_add_co_u32_e32 v2, vcc, s73, v2
	v_addc_co_u32_e32 v3, vcc, v37, v3, vcc
	global_load_dwordx2 v[2:3], v[2:3], off
.LBB197_33:                             ;   in Loop: Header=BB197_3 Depth=1
	s_or_b64 exec, exec, s[42:43]
	v_add_u32_e32 v38, s71, v36
	v_cmp_gt_i32_e32 vcc, s60, v38
	s_and_saveexec_b64 s[56:57], vcc
	s_cbranch_execnz .LBB197_50
; %bb.34:                               ;   in Loop: Header=BB197_3 Depth=1
	s_or_b64 exec, exec, s[56:57]
	s_and_saveexec_b64 s[56:57], s[40:41]
	s_cbranch_execnz .LBB197_51
.LBB197_35:                             ;   in Loop: Header=BB197_3 Depth=1
	s_or_b64 exec, exec, s[56:57]
	s_and_saveexec_b64 s[42:43], s[38:39]
	s_cbranch_execnz .LBB197_52
.LBB197_36:                             ;   in Loop: Header=BB197_3 Depth=1
	s_or_b64 exec, exec, s[42:43]
	s_and_saveexec_b64 s[40:41], s[36:37]
	s_cbranch_execnz .LBB197_53
.LBB197_37:                             ;   in Loop: Header=BB197_3 Depth=1
	s_or_b64 exec, exec, s[40:41]
	s_and_saveexec_b64 s[38:39], s[34:35]
	s_cbranch_execnz .LBB197_54
.LBB197_38:                             ;   in Loop: Header=BB197_3 Depth=1
	s_or_b64 exec, exec, s[38:39]
	s_and_saveexec_b64 s[36:37], s[30:31]
	s_cbranch_execnz .LBB197_55
.LBB197_39:                             ;   in Loop: Header=BB197_3 Depth=1
	s_or_b64 exec, exec, s[36:37]
	s_and_saveexec_b64 s[34:35], s[28:29]
	s_cbranch_execnz .LBB197_56
.LBB197_40:                             ;   in Loop: Header=BB197_3 Depth=1
	s_or_b64 exec, exec, s[34:35]
	s_and_saveexec_b64 s[30:31], s[26:27]
	s_cbranch_execnz .LBB197_57
.LBB197_41:                             ;   in Loop: Header=BB197_3 Depth=1
	s_or_b64 exec, exec, s[30:31]
	s_and_saveexec_b64 s[28:29], s[24:25]
	s_cbranch_execnz .LBB197_58
.LBB197_42:                             ;   in Loop: Header=BB197_3 Depth=1
	s_or_b64 exec, exec, s[28:29]
	s_and_saveexec_b64 s[26:27], s[22:23]
	s_cbranch_execnz .LBB197_59
.LBB197_43:                             ;   in Loop: Header=BB197_3 Depth=1
	s_or_b64 exec, exec, s[26:27]
	s_and_saveexec_b64 s[24:25], s[20:21]
	s_cbranch_execnz .LBB197_60
.LBB197_44:                             ;   in Loop: Header=BB197_3 Depth=1
	s_or_b64 exec, exec, s[24:25]
	s_and_saveexec_b64 s[22:23], s[18:19]
	s_cbranch_execnz .LBB197_61
.LBB197_45:                             ;   in Loop: Header=BB197_3 Depth=1
	s_or_b64 exec, exec, s[22:23]
	s_and_saveexec_b64 s[20:21], s[16:17]
	s_cbranch_execnz .LBB197_62
.LBB197_46:                             ;   in Loop: Header=BB197_3 Depth=1
	s_or_b64 exec, exec, s[20:21]
	s_and_saveexec_b64 s[18:19], s[14:15]
	s_cbranch_execnz .LBB197_63
.LBB197_47:                             ;   in Loop: Header=BB197_3 Depth=1
	s_or_b64 exec, exec, s[18:19]
	s_and_saveexec_b64 s[16:17], s[12:13]
	s_cbranch_execnz .LBB197_64
.LBB197_48:                             ;   in Loop: Header=BB197_3 Depth=1
	s_or_b64 exec, exec, s[16:17]
	s_and_saveexec_b64 s[14:15], s[8:9]
	s_cbranch_execnz .LBB197_65
.LBB197_49:                             ;   in Loop: Header=BB197_3 Depth=1
	s_or_b64 exec, exec, s[14:15]
	s_and_saveexec_b64 s[12:13], vcc
	s_cbranch_execz .LBB197_2
	s_branch .LBB197_66
.LBB197_50:                             ;   in Loop: Header=BB197_3 Depth=1
	v_ashrrev_i32_e32 v39, 31, v38
	s_waitcnt vmcnt(0)
	v_lshlrev_b64 v[4:5], 3, v[38:39]
	v_mov_b32_e32 v37, s74
	v_add_co_u32_e64 v4, s[42:43], s73, v4
	v_addc_co_u32_e64 v5, s[42:43], v37, v5, s[42:43]
	global_load_dwordx2 v[4:5], v[4:5], off
	s_or_b64 exec, exec, s[56:57]
	s_and_saveexec_b64 s[56:57], s[40:41]
	s_cbranch_execz .LBB197_35
.LBB197_51:                             ;   in Loop: Header=BB197_3 Depth=1
	s_waitcnt vmcnt(0)
	v_cmp_u_f64_e64 s[40:41], v[30:31], v[30:31]
	v_addc_co_u32_e64 v1, s[40:41], 0, v1, s[40:41]
	v_cmp_gt_f64_e64 s[40:41], s[52:53], v[30:31]
	v_addc_co_u32_e64 v35, s[40:41], 0, v35, s[40:41]
	v_cmp_eq_f64_e64 s[40:41], s[52:53], v[30:31]
	v_cmp_gt_i32_e64 s[42:43], s10, v36
	s_and_b64 s[40:41], s[42:43], s[40:41]
	v_addc_co_u32_e64 v68, s[40:41], 0, v68, s[40:41]
	s_or_b64 exec, exec, s[56:57]
	s_and_saveexec_b64 s[42:43], s[38:39]
	s_cbranch_execz .LBB197_36
.LBB197_52:                             ;   in Loop: Header=BB197_3 Depth=1
	s_waitcnt vmcnt(0)
	v_cmp_u_f64_e64 s[38:39], v[32:33], v[32:33]
	v_addc_co_u32_e64 v1, s[38:39], 0, v1, s[38:39]
	v_cmp_gt_f64_e64 s[38:39], s[52:53], v[32:33]
	v_addc_co_u32_e64 v35, s[38:39], 0, v35, s[38:39]
	v_cmp_eq_f64_e64 s[38:39], s[52:53], v[32:33]
	v_cmp_gt_i32_e64 s[40:41], s10, v66
	s_and_b64 s[38:39], s[40:41], s[38:39]
	v_addc_co_u32_e64 v68, s[38:39], 0, v68, s[38:39]
	s_or_b64 exec, exec, s[42:43]
	s_and_saveexec_b64 s[40:41], s[36:37]
	s_cbranch_execz .LBB197_37
.LBB197_53:                             ;   in Loop: Header=BB197_3 Depth=1
	s_waitcnt vmcnt(0)
	v_cmp_u_f64_e64 s[36:37], v[26:27], v[26:27]
	v_addc_co_u32_e64 v1, s[36:37], 0, v1, s[36:37]
	v_cmp_gt_f64_e64 s[36:37], s[52:53], v[26:27]
	v_addc_co_u32_e64 v35, s[36:37], 0, v35, s[36:37]
	v_cmp_eq_f64_e64 s[36:37], s[52:53], v[26:27]
	v_cmp_gt_i32_e64 s[38:39], s10, v64
	s_and_b64 s[36:37], s[38:39], s[36:37]
	v_addc_co_u32_e64 v68, s[36:37], 0, v68, s[36:37]
	s_or_b64 exec, exec, s[40:41]
	s_and_saveexec_b64 s[38:39], s[34:35]
	s_cbranch_execz .LBB197_38
.LBB197_54:                             ;   in Loop: Header=BB197_3 Depth=1
	s_waitcnt vmcnt(0)
	v_cmp_u_f64_e64 s[34:35], v[28:29], v[28:29]
	v_addc_co_u32_e64 v1, s[34:35], 0, v1, s[34:35]
	v_cmp_gt_f64_e64 s[34:35], s[52:53], v[28:29]
	v_addc_co_u32_e64 v35, s[34:35], 0, v35, s[34:35]
	v_cmp_eq_f64_e64 s[34:35], s[52:53], v[28:29]
	v_cmp_gt_i32_e64 s[36:37], s10, v62
	s_and_b64 s[34:35], s[36:37], s[34:35]
	v_addc_co_u32_e64 v68, s[34:35], 0, v68, s[34:35]
	s_or_b64 exec, exec, s[38:39]
	s_and_saveexec_b64 s[36:37], s[30:31]
	s_cbranch_execz .LBB197_39
.LBB197_55:                             ;   in Loop: Header=BB197_3 Depth=1
	s_waitcnt vmcnt(0)
	v_cmp_u_f64_e64 s[30:31], v[22:23], v[22:23]
	v_addc_co_u32_e64 v1, s[30:31], 0, v1, s[30:31]
	v_cmp_gt_f64_e64 s[30:31], s[52:53], v[22:23]
	v_addc_co_u32_e64 v35, s[30:31], 0, v35, s[30:31]
	v_cmp_eq_f64_e64 s[30:31], s[52:53], v[22:23]
	v_cmp_gt_i32_e64 s[34:35], s10, v60
	s_and_b64 s[30:31], s[34:35], s[30:31]
	v_addc_co_u32_e64 v68, s[30:31], 0, v68, s[30:31]
	s_or_b64 exec, exec, s[36:37]
	s_and_saveexec_b64 s[34:35], s[28:29]
	s_cbranch_execz .LBB197_40
.LBB197_56:                             ;   in Loop: Header=BB197_3 Depth=1
	s_waitcnt vmcnt(0)
	v_cmp_u_f64_e64 s[28:29], v[24:25], v[24:25]
	v_addc_co_u32_e64 v1, s[28:29], 0, v1, s[28:29]
	v_cmp_gt_f64_e64 s[28:29], s[52:53], v[24:25]
	v_addc_co_u32_e64 v35, s[28:29], 0, v35, s[28:29]
	v_cmp_eq_f64_e64 s[28:29], s[52:53], v[24:25]
	v_cmp_gt_i32_e64 s[30:31], s10, v58
	s_and_b64 s[28:29], s[30:31], s[28:29]
	v_addc_co_u32_e64 v68, s[28:29], 0, v68, s[28:29]
	s_or_b64 exec, exec, s[34:35]
	s_and_saveexec_b64 s[30:31], s[26:27]
	s_cbranch_execz .LBB197_41
.LBB197_57:                             ;   in Loop: Header=BB197_3 Depth=1
	s_waitcnt vmcnt(0)
	v_cmp_u_f64_e64 s[26:27], v[18:19], v[18:19]
	v_addc_co_u32_e64 v1, s[26:27], 0, v1, s[26:27]
	v_cmp_gt_f64_e64 s[26:27], s[52:53], v[18:19]
	v_addc_co_u32_e64 v35, s[26:27], 0, v35, s[26:27]
	v_cmp_eq_f64_e64 s[26:27], s[52:53], v[18:19]
	v_cmp_gt_i32_e64 s[28:29], s10, v56
	s_and_b64 s[26:27], s[28:29], s[26:27]
	v_addc_co_u32_e64 v68, s[26:27], 0, v68, s[26:27]
	s_or_b64 exec, exec, s[30:31]
	s_and_saveexec_b64 s[28:29], s[24:25]
	s_cbranch_execz .LBB197_42
.LBB197_58:                             ;   in Loop: Header=BB197_3 Depth=1
	s_waitcnt vmcnt(0)
	v_cmp_u_f64_e64 s[24:25], v[20:21], v[20:21]
	v_addc_co_u32_e64 v1, s[24:25], 0, v1, s[24:25]
	v_cmp_gt_f64_e64 s[24:25], s[52:53], v[20:21]
	v_addc_co_u32_e64 v35, s[24:25], 0, v35, s[24:25]
	v_cmp_eq_f64_e64 s[24:25], s[52:53], v[20:21]
	v_cmp_gt_i32_e64 s[26:27], s10, v54
	s_and_b64 s[24:25], s[26:27], s[24:25]
	v_addc_co_u32_e64 v68, s[24:25], 0, v68, s[24:25]
	s_or_b64 exec, exec, s[28:29]
	s_and_saveexec_b64 s[26:27], s[22:23]
	s_cbranch_execz .LBB197_43
.LBB197_59:                             ;   in Loop: Header=BB197_3 Depth=1
	s_waitcnt vmcnt(0)
	v_cmp_u_f64_e64 s[22:23], v[14:15], v[14:15]
	v_addc_co_u32_e64 v1, s[22:23], 0, v1, s[22:23]
	v_cmp_gt_f64_e64 s[22:23], s[52:53], v[14:15]
	v_addc_co_u32_e64 v35, s[22:23], 0, v35, s[22:23]
	v_cmp_eq_f64_e64 s[22:23], s[52:53], v[14:15]
	v_cmp_gt_i32_e64 s[24:25], s10, v52
	s_and_b64 s[22:23], s[24:25], s[22:23]
	v_addc_co_u32_e64 v68, s[22:23], 0, v68, s[22:23]
	s_or_b64 exec, exec, s[26:27]
	s_and_saveexec_b64 s[24:25], s[20:21]
	s_cbranch_execz .LBB197_44
.LBB197_60:                             ;   in Loop: Header=BB197_3 Depth=1
	s_waitcnt vmcnt(0)
	v_cmp_u_f64_e64 s[20:21], v[16:17], v[16:17]
	v_addc_co_u32_e64 v1, s[20:21], 0, v1, s[20:21]
	v_cmp_gt_f64_e64 s[20:21], s[52:53], v[16:17]
	v_addc_co_u32_e64 v35, s[20:21], 0, v35, s[20:21]
	v_cmp_eq_f64_e64 s[20:21], s[52:53], v[16:17]
	v_cmp_gt_i32_e64 s[22:23], s10, v50
	s_and_b64 s[20:21], s[22:23], s[20:21]
	v_addc_co_u32_e64 v68, s[20:21], 0, v68, s[20:21]
	s_or_b64 exec, exec, s[24:25]
	s_and_saveexec_b64 s[22:23], s[18:19]
	s_cbranch_execz .LBB197_45
.LBB197_61:                             ;   in Loop: Header=BB197_3 Depth=1
	s_waitcnt vmcnt(0)
	v_cmp_u_f64_e64 s[18:19], v[10:11], v[10:11]
	v_addc_co_u32_e64 v1, s[18:19], 0, v1, s[18:19]
	v_cmp_gt_f64_e64 s[18:19], s[52:53], v[10:11]
	v_addc_co_u32_e64 v35, s[18:19], 0, v35, s[18:19]
	v_cmp_eq_f64_e64 s[18:19], s[52:53], v[10:11]
	v_cmp_gt_i32_e64 s[20:21], s10, v48
	s_and_b64 s[18:19], s[20:21], s[18:19]
	v_addc_co_u32_e64 v68, s[18:19], 0, v68, s[18:19]
	s_or_b64 exec, exec, s[22:23]
	s_and_saveexec_b64 s[20:21], s[16:17]
	s_cbranch_execz .LBB197_46
.LBB197_62:                             ;   in Loop: Header=BB197_3 Depth=1
	s_waitcnt vmcnt(0)
	v_cmp_u_f64_e64 s[16:17], v[12:13], v[12:13]
	v_addc_co_u32_e64 v1, s[16:17], 0, v1, s[16:17]
	v_cmp_gt_f64_e64 s[16:17], s[52:53], v[12:13]
	v_addc_co_u32_e64 v35, s[16:17], 0, v35, s[16:17]
	v_cmp_eq_f64_e64 s[16:17], s[52:53], v[12:13]
	v_cmp_gt_i32_e64 s[18:19], s10, v46
	s_and_b64 s[16:17], s[18:19], s[16:17]
	v_addc_co_u32_e64 v68, s[16:17], 0, v68, s[16:17]
	s_or_b64 exec, exec, s[20:21]
	s_and_saveexec_b64 s[18:19], s[14:15]
	s_cbranch_execz .LBB197_47
.LBB197_63:                             ;   in Loop: Header=BB197_3 Depth=1
	s_waitcnt vmcnt(0)
	v_cmp_u_f64_e64 s[14:15], v[6:7], v[6:7]
	v_addc_co_u32_e64 v1, s[14:15], 0, v1, s[14:15]
	v_cmp_gt_f64_e64 s[14:15], s[52:53], v[6:7]
	v_addc_co_u32_e64 v35, s[14:15], 0, v35, s[14:15]
	v_cmp_eq_f64_e64 s[14:15], s[52:53], v[6:7]
	v_cmp_gt_i32_e64 s[16:17], s10, v44
	s_and_b64 s[14:15], s[16:17], s[14:15]
	v_addc_co_u32_e64 v68, s[14:15], 0, v68, s[14:15]
	s_or_b64 exec, exec, s[18:19]
	s_and_saveexec_b64 s[16:17], s[12:13]
	s_cbranch_execz .LBB197_48
.LBB197_64:                             ;   in Loop: Header=BB197_3 Depth=1
	s_waitcnt vmcnt(0)
	v_cmp_u_f64_e64 s[12:13], v[8:9], v[8:9]
	v_addc_co_u32_e64 v1, s[12:13], 0, v1, s[12:13]
	v_cmp_gt_f64_e64 s[12:13], s[52:53], v[8:9]
	v_addc_co_u32_e64 v35, s[12:13], 0, v35, s[12:13]
	v_cmp_eq_f64_e64 s[12:13], s[52:53], v[8:9]
	v_cmp_gt_i32_e64 s[14:15], s10, v42
	s_and_b64 s[12:13], s[14:15], s[12:13]
	v_addc_co_u32_e64 v68, s[12:13], 0, v68, s[12:13]
	s_or_b64 exec, exec, s[16:17]
	s_and_saveexec_b64 s[14:15], s[8:9]
	s_cbranch_execz .LBB197_49
.LBB197_65:                             ;   in Loop: Header=BB197_3 Depth=1
	s_waitcnt vmcnt(0)
	v_cmp_u_f64_e64 s[8:9], v[2:3], v[2:3]
	v_addc_co_u32_e64 v1, s[8:9], 0, v1, s[8:9]
	v_cmp_gt_f64_e64 s[8:9], s[52:53], v[2:3]
	v_addc_co_u32_e64 v35, s[8:9], 0, v35, s[8:9]
	v_cmp_eq_f64_e64 s[8:9], s[52:53], v[2:3]
	v_cmp_gt_i32_e64 s[12:13], s10, v40
	s_and_b64 s[8:9], s[12:13], s[8:9]
	v_addc_co_u32_e64 v68, s[8:9], 0, v68, s[8:9]
	s_or_b64 exec, exec, s[14:15]
	s_and_saveexec_b64 s[12:13], vcc
	s_cbranch_execz .LBB197_2
.LBB197_66:                             ;   in Loop: Header=BB197_3 Depth=1
	s_waitcnt vmcnt(0)
	v_cmp_u_f64_e32 vcc, v[4:5], v[4:5]
	v_addc_co_u32_e32 v1, vcc, 0, v1, vcc
	v_cmp_gt_f64_e32 vcc, s[52:53], v[4:5]
	v_addc_co_u32_e32 v35, vcc, 0, v35, vcc
	v_cmp_eq_f64_e32 vcc, s[52:53], v[4:5]
	v_cmp_gt_i32_e64 s[8:9], s10, v38
	s_and_b64 vcc, s[8:9], vcc
	v_addc_co_u32_e32 v68, vcc, 0, v68, vcc
	s_branch .LBB197_2
.LBB197_67:
	s_mov_b64 s[8:9], -1
                                        ; implicit-def: $vgpr30_vgpr31
                                        ; implicit-def: $vgpr26_vgpr27
                                        ; implicit-def: $vgpr22_vgpr23
                                        ; implicit-def: $vgpr18_vgpr19
                                        ; implicit-def: $vgpr14_vgpr15
                                        ; implicit-def: $vgpr10_vgpr11
                                        ; implicit-def: $vgpr6_vgpr7
                                        ; implicit-def: $vgpr2_vgpr3
	v_lshlrev_b32_e32 v1, 2, v34
	s_cmp_lt_u32 s58, 2
	ds_write_b32 v1, v35
	s_cbranch_scc0 .LBB197_69
	s_branch .LBB197_73
.LBB197_68:
	v_add_u32_e32 v35, v35, v68
	v_cmp_eq_u32_e64 s[8:9], 0, v1
	v_lshlrev_b32_e32 v1, 2, v34
	s_cmp_lt_u32 s58, 2
	ds_write_b32 v1, v35
	s_cbranch_scc1 .LBB197_73
.LBB197_69:
	s_mov_b32 s14, s58
	s_branch .LBB197_71
.LBB197_70:                             ;   in Loop: Header=BB197_71 Depth=1
	s_or_b64 exec, exec, s[12:13]
	s_cmp_lt_u32 s14, 4
	s_mov_b32 s14, s15
	s_cbranch_scc1 .LBB197_73
.LBB197_71:                             ; =>This Inner Loop Header: Depth=1
	s_lshr_b32 s15, s14, 1
	v_cmp_gt_u32_e32 vcc, s15, v34
	s_waitcnt lgkmcnt(0)
	s_barrier
	s_and_saveexec_b64 s[12:13], vcc
	s_cbranch_execz .LBB197_70
; %bb.72:                               ;   in Loop: Header=BB197_71 Depth=1
	v_lshl_add_u32 v36, s15, 2, v1
	ds_read_b32 v36, v36
	s_waitcnt lgkmcnt(0)
	v_add_u32_e32 v35, v36, v35
	ds_write_b32 v1, v35
	s_branch .LBB197_70
.LBB197_73:
	v_mov_b32_e32 v1, 0
	s_xor_b64 s[12:13], s[8:9], -1
	s_mul_i32 s8, s33, s47
	s_mul_hi_u32 s9, s33, s46
	s_waitcnt lgkmcnt(0)
	s_barrier
	ds_read_b32 v35, v1
	s_add_i32 s8, s9, s8
	s_mul_i32 s9, s72, s46
	s_add_i32 s9, s8, s9
	s_mul_i32 s8, s33, s46
	s_lshl_b64 s[8:9], s[8:9], 3
	s_add_u32 s16, s44, s8
	s_addc_u32 s17, s45, s9
	s_waitcnt lgkmcnt(0)
	v_readfirstlane_b32 s8, v35
	v_cmp_eq_u32_e32 vcc, 0, v34
	s_and_saveexec_b64 s[14:15], vcc
	s_cbranch_execnz .LBB197_76
; %bb.74:
	s_or_b64 exec, exec, s[14:15]
	s_and_saveexec_b64 s[14:15], s[12:13]
	s_cbranch_execnz .LBB197_77
.LBB197_75:
	s_or_b64 exec, exec, s[14:15]
	s_andn2_b64 vcc, exec, s[54:55]
	s_cbranch_vccz .LBB197_78
	s_branch .LBB197_144
.LBB197_76:
	s_ashr_i32 s9, s8, 31
	s_lshl_b64 s[18:19], s[8:9], 3
	s_add_u32 s18, s16, s18
	s_addc_u32 s19, s17, s19
	v_pk_mov_b32 v[36:37], s[52:53], s[52:53] op_sel:[0,1]
	global_store_dwordx2 v1, v[36:37], s[18:19]
	s_or_b64 exec, exec, s[14:15]
	s_and_saveexec_b64 s[14:15], s[12:13]
	s_cbranch_execz .LBB197_75
.LBB197_77:
	s_add_u32 s12, s16, s50
	s_addc_u32 s13, s17, s51
	v_mov_b32_e32 v36, 0
	v_mov_b32_e32 v37, 0x7ff80000
	global_store_dwordx2 v36, v[36:37], s[12:13]
	s_or_b64 exec, exec, s[14:15]
	s_andn2_b64 vcc, exec, s[54:55]
	s_cbranch_vccnz .LBB197_144
.LBB197_78:
	s_load_dwordx2 s[20:21], s[6:7], 0x30
	s_load_dwordx8 s[12:19], s[6:7], 0x38
	v_bfe_u32 v35, v0, 10, 10
	s_load_dwordx2 s[4:5], s[4:5], 0x4
	v_bfe_u32 v0, v0, 20, 10
	s_waitcnt lgkmcnt(0)
	s_ashr_i32 s7, s20, 31
	s_mul_i32 s9, s33, s13
	s_mul_hi_u32 s13, s33, s12
	s_add_i32 s9, s13, s9
	s_mul_i32 s13, s72, s12
	s_add_i32 s13, s9, s13
	s_mul_i32 s12, s33, s12
	s_lshl_b64 s[12:13], s[12:13], 4
	s_mov_b32 s6, s20
	s_add_u32 s9, s48, s12
	s_addc_u32 s12, s49, s13
	s_lshl_b64 s[6:7], s[6:7], 4
	s_add_u32 s9, s9, s6
	s_addc_u32 s20, s12, s7
	s_mul_i32 s12, s33, s19
	s_mul_hi_u32 s13, s33, s18
	s_add_i32 s12, s13, s12
	s_mul_i32 s13, s72, s18
	s_add_i32 s13, s12, s13
	s_mul_i32 s12, s33, s18
	s_ashr_i32 s7, s16, 31
	s_lshl_b64 s[12:13], s[12:13], 4
	s_mov_b32 s6, s16
	s_add_u32 s12, s14, s12
	s_addc_u32 s13, s15, s13
	s_lshl_b64 s[6:7], s[6:7], 4
	s_add_u32 s12, s12, s6
	s_mul_i32 s6, s10, s21
	s_addc_u32 s13, s13, s7
	s_ashr_i32 s7, s6, 31
	s_lshl_b64 s[6:7], s[6:7], 4
	s_add_u32 s33, s9, s6
	s_mul_i32 s6, s8, s17
	s_addc_u32 s40, s20, s7
	s_ashr_i32 s7, s6, 31
	s_lshl_b64 s[6:7], s[6:7], 4
	s_add_u32 s41, s12, s6
	s_addc_u32 s42, s13, s7
	s_lshr_b32 s4, s4, 16
	s_mul_i32 s4, s4, s5
	v_mul_lo_u32 v1, s4, v34
	v_mul_u32_u24_e32 v35, s5, v35
	v_add3_u32 v0, v1, v35, v0
	v_mov_b32_e32 v1, 0x800
	v_lshl_add_u32 v64, v0, 4, v1
	s_add_i32 s43, s11, 1
	s_lshl_b32 s44, s58, 1
	s_lshl_b32 s45, s58, 2
	;; [unrolled: 1-line block ×3, first 2 shown]
	s_branch .LBB197_80
.LBB197_79:                             ;   in Loop: Header=BB197_80 Depth=1
	s_or_b64 exec, exec, s[4:5]
	s_add_i32 s43, s43, -1
	s_cmp_eq_u32 s43, 0
	v_add_u32_e32 v34, s59, v34
	s_cbranch_scc1 .LBB197_144
.LBB197_80:                             ; =>This Inner Loop Header: Depth=1
	v_cmp_gt_i32_e32 vcc, s60, v34
	v_ashrrev_i32_e32 v35, 31, v34
	s_and_saveexec_b64 s[6:7], vcc
	s_cbranch_execz .LBB197_82
; %bb.81:                               ;   in Loop: Header=BB197_80 Depth=1
	v_lshlrev_b64 v[0:1], 4, v[34:35]
	s_waitcnt vmcnt(0)
	v_mov_b32_e32 v30, s40
	v_add_co_u32_e64 v0, s[4:5], s33, v0
	v_addc_co_u32_e64 v1, s[4:5], v30, v1, s[4:5]
	global_load_dwordx4 v[30:33], v[0:1], off
.LBB197_82:                             ;   in Loop: Header=BB197_80 Depth=1
	s_or_b64 exec, exec, s[6:7]
	v_add_u32_e32 v0, s58, v34
	v_cmp_gt_i32_e64 s[4:5], s60, v0
	v_ashrrev_i32_e32 v1, 31, v0
	s_and_saveexec_b64 s[8:9], s[4:5]
	s_cbranch_execz .LBB197_84
; %bb.83:                               ;   in Loop: Header=BB197_80 Depth=1
	s_waitcnt vmcnt(0)
	v_lshlrev_b64 v[26:27], 4, v[0:1]
	v_mov_b32_e32 v28, s40
	v_add_co_u32_e64 v26, s[6:7], s33, v26
	v_addc_co_u32_e64 v27, s[6:7], v28, v27, s[6:7]
	global_load_dwordx4 v[26:29], v[26:27], off
.LBB197_84:                             ;   in Loop: Header=BB197_80 Depth=1
	s_or_b64 exec, exec, s[8:9]
	v_add_u32_e32 v36, s44, v34
	v_add_u32_e32 v39, s58, v0
	v_cmp_gt_i32_e64 s[6:7], s60, v39
	v_ashrrev_i32_e32 v37, 31, v36
	s_and_saveexec_b64 s[10:11], s[6:7]
	s_cbranch_execz .LBB197_86
; %bb.85:                               ;   in Loop: Header=BB197_80 Depth=1
	s_waitcnt vmcnt(0)
	v_lshlrev_b64 v[22:23], 4, v[36:37]
	v_mov_b32_e32 v24, s40
	v_add_co_u32_e64 v22, s[8:9], s33, v22
	v_addc_co_u32_e64 v23, s[8:9], v24, v23, s[8:9]
	global_load_dwordx4 v[22:25], v[22:23], off
.LBB197_86:                             ;   in Loop: Header=BB197_80 Depth=1
	s_or_b64 exec, exec, s[10:11]
	v_add_u32_e32 v38, s61, v34
	;; [unrolled: 15-line block ×7, first 2 shown]
	v_add_u32_e32 v44, s58, v44
	v_cmp_gt_i32_e64 s[28:29], s60, v44
	v_ashrrev_i32_e32 v63, 31, v62
	s_and_saveexec_b64 s[20:21], s[28:29]
	s_cbranch_execz .LBB197_98
; %bb.97:                               ;   in Loop: Header=BB197_80 Depth=1
	v_lshlrev_b64 v[48:49], 4, v[62:63]
	v_mov_b32_e32 v45, s40
	v_add_co_u32_e64 v48, s[16:17], s33, v48
	v_addc_co_u32_e64 v49, s[16:17], v45, v49, s[16:17]
	global_load_dwordx4 v[48:51], v[48:49], off
	s_waitcnt vmcnt(0)
	ds_write2_b64 v64, v[48:49], v[50:51] offset1:1
.LBB197_98:                             ;   in Loop: Header=BB197_80 Depth=1
	s_or_b64 exec, exec, s[20:21]
	v_add_u32_e32 v60, s65, v34
	v_add_u32_e32 v44, s58, v44
	v_cmp_gt_i32_e64 s[34:35], s60, v44
	v_ashrrev_i32_e32 v61, 31, v60
	s_and_saveexec_b64 s[20:21], s[34:35]
	s_cbranch_execz .LBB197_100
; %bb.99:                               ;   in Loop: Header=BB197_80 Depth=1
	v_lshlrev_b64 v[48:49], 4, v[60:61]
	v_mov_b32_e32 v45, s40
	v_add_co_u32_e64 v48, s[16:17], s33, v48
	v_addc_co_u32_e64 v49, s[16:17], v45, v49, s[16:17]
	global_load_dwordx4 v[48:51], v[48:49], off
	s_waitcnt vmcnt(0)
	buffer_store_dword v51, off, s[0:3], 0 offset:12
	buffer_store_dword v50, off, s[0:3], 0 offset:8
	;; [unrolled: 1-line block ×3, first 2 shown]
	buffer_store_dword v48, off, s[0:3], 0
.LBB197_100:                            ;   in Loop: Header=BB197_80 Depth=1
	s_or_b64 exec, exec, s[20:21]
	v_add_u32_e32 v58, s66, v34
	v_add_u32_e32 v44, s58, v44
	v_cmp_gt_i32_e64 s[30:31], s60, v44
	v_ashrrev_i32_e32 v59, 31, v58
	s_and_saveexec_b64 s[20:21], s[30:31]
	s_cbranch_execz .LBB197_102
; %bb.101:                              ;   in Loop: Header=BB197_80 Depth=1
	v_lshlrev_b64 v[48:49], 4, v[58:59]
	v_mov_b32_e32 v45, s40
	v_add_co_u32_e64 v48, s[16:17], s33, v48
	v_addc_co_u32_e64 v49, s[16:17], v45, v49, s[16:17]
	global_load_dwordx4 v[48:51], v[48:49], off
	s_waitcnt vmcnt(0)
	buffer_store_dword v51, off, s[0:3], 0 offset:28
	buffer_store_dword v50, off, s[0:3], 0 offset:24
	buffer_store_dword v49, off, s[0:3], 0 offset:20
	buffer_store_dword v48, off, s[0:3], 0 offset:16
.LBB197_102:                            ;   in Loop: Header=BB197_80 Depth=1
	s_or_b64 exec, exec, s[20:21]
	v_add_u32_e32 v54, s67, v34
	v_add_u32_e32 v44, s58, v44
	v_cmp_gt_i32_e64 s[26:27], s60, v44
	v_ashrrev_i32_e32 v55, 31, v54
	s_and_saveexec_b64 s[20:21], s[26:27]
	s_cbranch_execz .LBB197_104
; %bb.103:                              ;   in Loop: Header=BB197_80 Depth=1
	v_lshlrev_b64 v[48:49], 4, v[54:55]
	v_mov_b32_e32 v45, s40
	v_add_co_u32_e64 v48, s[16:17], s33, v48
	v_addc_co_u32_e64 v49, s[16:17], v45, v49, s[16:17]
	global_load_dwordx4 v[48:51], v[48:49], off
	s_waitcnt vmcnt(0)
	buffer_store_dword v51, off, s[0:3], 0 offset:44
	buffer_store_dword v50, off, s[0:3], 0 offset:40
	buffer_store_dword v49, off, s[0:3], 0 offset:36
	buffer_store_dword v48, off, s[0:3], 0 offset:32
.LBB197_104:                            ;   in Loop: Header=BB197_80 Depth=1
	;; [unrolled: 19-line block ×5, first 2 shown]
	s_or_b64 exec, exec, s[36:37]
	v_add_u32_e32 v44, s71, v34
	v_add_u32_e32 v45, s58, v45
	v_cmp_gt_i32_e64 s[16:17], s60, v45
	v_ashrrev_i32_e32 v45, 31, v44
	s_and_saveexec_b64 s[38:39], s[16:17]
	s_cbranch_execnz .LBB197_127
; %bb.111:                              ;   in Loop: Header=BB197_80 Depth=1
	s_or_b64 exec, exec, s[38:39]
	s_and_saveexec_b64 s[36:37], vcc
	s_cbranch_execnz .LBB197_128
.LBB197_112:                            ;   in Loop: Header=BB197_80 Depth=1
	s_or_b64 exec, exec, s[36:37]
	s_and_saveexec_b64 s[36:37], s[4:5]
	s_cbranch_execnz .LBB197_129
.LBB197_113:                            ;   in Loop: Header=BB197_80 Depth=1
	s_or_b64 exec, exec, s[36:37]
	s_and_saveexec_b64 s[4:5], s[6:7]
	s_cbranch_execnz .LBB197_130
.LBB197_114:                            ;   in Loop: Header=BB197_80 Depth=1
	s_or_b64 exec, exec, s[4:5]
	s_and_saveexec_b64 s[4:5], s[8:9]
	s_cbranch_execnz .LBB197_131
.LBB197_115:                            ;   in Loop: Header=BB197_80 Depth=1
	s_or_b64 exec, exec, s[4:5]
	s_and_saveexec_b64 s[4:5], s[10:11]
	s_cbranch_execnz .LBB197_132
.LBB197_116:                            ;   in Loop: Header=BB197_80 Depth=1
	s_or_b64 exec, exec, s[4:5]
	s_and_saveexec_b64 s[4:5], s[12:13]
	s_cbranch_execnz .LBB197_133
.LBB197_117:                            ;   in Loop: Header=BB197_80 Depth=1
	s_or_b64 exec, exec, s[4:5]
	s_and_saveexec_b64 s[4:5], s[14:15]
	s_cbranch_execnz .LBB197_134
.LBB197_118:                            ;   in Loop: Header=BB197_80 Depth=1
	s_or_b64 exec, exec, s[4:5]
	s_and_saveexec_b64 s[4:5], s[18:19]
	s_cbranch_execnz .LBB197_135
.LBB197_119:                            ;   in Loop: Header=BB197_80 Depth=1
	s_or_b64 exec, exec, s[4:5]
	s_and_saveexec_b64 s[4:5], s[28:29]
	s_cbranch_execnz .LBB197_136
.LBB197_120:                            ;   in Loop: Header=BB197_80 Depth=1
	s_or_b64 exec, exec, s[4:5]
	s_and_saveexec_b64 s[4:5], s[34:35]
	s_cbranch_execnz .LBB197_137
.LBB197_121:                            ;   in Loop: Header=BB197_80 Depth=1
	s_or_b64 exec, exec, s[4:5]
	s_and_saveexec_b64 s[4:5], s[30:31]
	s_cbranch_execnz .LBB197_138
.LBB197_122:                            ;   in Loop: Header=BB197_80 Depth=1
	s_or_b64 exec, exec, s[4:5]
	s_and_saveexec_b64 s[4:5], s[26:27]
	s_cbranch_execnz .LBB197_139
.LBB197_123:                            ;   in Loop: Header=BB197_80 Depth=1
	s_or_b64 exec, exec, s[4:5]
	s_and_saveexec_b64 s[4:5], s[24:25]
	s_cbranch_execnz .LBB197_140
.LBB197_124:                            ;   in Loop: Header=BB197_80 Depth=1
	s_or_b64 exec, exec, s[4:5]
	s_and_saveexec_b64 s[4:5], s[22:23]
	s_cbranch_execnz .LBB197_141
.LBB197_125:                            ;   in Loop: Header=BB197_80 Depth=1
	s_or_b64 exec, exec, s[4:5]
	s_and_saveexec_b64 s[4:5], s[20:21]
	s_cbranch_execnz .LBB197_142
.LBB197_126:                            ;   in Loop: Header=BB197_80 Depth=1
	s_or_b64 exec, exec, s[4:5]
	s_and_saveexec_b64 s[4:5], s[16:17]
	s_cbranch_execz .LBB197_79
	s_branch .LBB197_143
.LBB197_127:                            ;   in Loop: Header=BB197_80 Depth=1
	v_lshlrev_b64 v[66:67], 4, v[44:45]
	v_mov_b32_e32 v65, s40
	v_add_co_u32_e64 v66, s[36:37], s33, v66
	v_addc_co_u32_e64 v67, s[36:37], v65, v67, s[36:37]
	global_load_dwordx4 v[66:69], v[66:67], off
	s_waitcnt vmcnt(0)
	buffer_store_dword v69, off, s[0:3], 0 offset:108
	buffer_store_dword v68, off, s[0:3], 0 offset:104
	buffer_store_dword v67, off, s[0:3], 0 offset:100
	buffer_store_dword v66, off, s[0:3], 0 offset:96
	s_or_b64 exec, exec, s[38:39]
	s_and_saveexec_b64 s[36:37], vcc
	s_cbranch_execz .LBB197_112
.LBB197_128:                            ;   in Loop: Header=BB197_80 Depth=1
	v_lshlrev_b64 v[66:67], 4, v[34:35]
	v_mov_b32_e32 v35, s42
	v_add_co_u32_e32 v66, vcc, s41, v66
	v_addc_co_u32_e32 v67, vcc, v35, v67, vcc
	s_waitcnt vmcnt(0)
	global_store_dwordx4 v[66:67], v[30:33], off
	s_or_b64 exec, exec, s[36:37]
	s_and_saveexec_b64 s[36:37], s[4:5]
	s_cbranch_execz .LBB197_113
.LBB197_129:                            ;   in Loop: Header=BB197_80 Depth=1
	v_lshlrev_b64 v[0:1], 4, v[0:1]
	v_mov_b32_e32 v35, s42
	v_add_co_u32_e32 v0, vcc, s41, v0
	v_addc_co_u32_e32 v1, vcc, v35, v1, vcc
	s_waitcnt vmcnt(0)
	global_store_dwordx4 v[0:1], v[26:29], off
	s_or_b64 exec, exec, s[36:37]
	s_and_saveexec_b64 s[4:5], s[6:7]
	s_cbranch_execz .LBB197_114
.LBB197_130:                            ;   in Loop: Header=BB197_80 Depth=1
	v_lshlrev_b64 v[0:1], 4, v[36:37]
	v_mov_b32_e32 v35, s42
	v_add_co_u32_e32 v0, vcc, s41, v0
	v_addc_co_u32_e32 v1, vcc, v35, v1, vcc
	s_waitcnt vmcnt(0)
	global_store_dwordx4 v[0:1], v[22:25], off
	s_or_b64 exec, exec, s[4:5]
	s_and_saveexec_b64 s[4:5], s[8:9]
	s_cbranch_execz .LBB197_115
.LBB197_131:                            ;   in Loop: Header=BB197_80 Depth=1
	v_lshlrev_b64 v[0:1], 4, v[38:39]
	v_mov_b32_e32 v35, s42
	v_add_co_u32_e32 v0, vcc, s41, v0
	v_addc_co_u32_e32 v1, vcc, v35, v1, vcc
	s_waitcnt vmcnt(0)
	global_store_dwordx4 v[0:1], v[18:21], off
	s_or_b64 exec, exec, s[4:5]
	s_and_saveexec_b64 s[4:5], s[10:11]
	s_cbranch_execz .LBB197_116
.LBB197_132:                            ;   in Loop: Header=BB197_80 Depth=1
	v_lshlrev_b64 v[0:1], 4, v[40:41]
	v_mov_b32_e32 v35, s42
	v_add_co_u32_e32 v0, vcc, s41, v0
	v_addc_co_u32_e32 v1, vcc, v35, v1, vcc
	s_waitcnt vmcnt(0)
	global_store_dwordx4 v[0:1], v[14:17], off
	s_or_b64 exec, exec, s[4:5]
	s_and_saveexec_b64 s[4:5], s[12:13]
	s_cbranch_execz .LBB197_117
.LBB197_133:                            ;   in Loop: Header=BB197_80 Depth=1
	v_lshlrev_b64 v[0:1], 4, v[42:43]
	v_mov_b32_e32 v35, s42
	v_add_co_u32_e32 v0, vcc, s41, v0
	v_addc_co_u32_e32 v1, vcc, v35, v1, vcc
	s_waitcnt vmcnt(0)
	global_store_dwordx4 v[0:1], v[10:13], off
	s_or_b64 exec, exec, s[4:5]
	s_and_saveexec_b64 s[4:5], s[14:15]
	s_cbranch_execz .LBB197_118
.LBB197_134:                            ;   in Loop: Header=BB197_80 Depth=1
	v_lshlrev_b64 v[0:1], 4, v[46:47]
	v_mov_b32_e32 v35, s42
	v_add_co_u32_e32 v0, vcc, s41, v0
	v_addc_co_u32_e32 v1, vcc, v35, v1, vcc
	s_waitcnt vmcnt(0)
	global_store_dwordx4 v[0:1], v[6:9], off
	s_or_b64 exec, exec, s[4:5]
	s_and_saveexec_b64 s[4:5], s[18:19]
	s_cbranch_execz .LBB197_119
.LBB197_135:                            ;   in Loop: Header=BB197_80 Depth=1
	v_lshlrev_b64 v[0:1], 4, v[56:57]
	v_mov_b32_e32 v35, s42
	v_add_co_u32_e32 v0, vcc, s41, v0
	v_addc_co_u32_e32 v1, vcc, v35, v1, vcc
	s_waitcnt vmcnt(0)
	global_store_dwordx4 v[0:1], v[2:5], off
	s_or_b64 exec, exec, s[4:5]
	s_and_saveexec_b64 s[4:5], s[28:29]
	s_cbranch_execz .LBB197_120
.LBB197_136:                            ;   in Loop: Header=BB197_80 Depth=1
	ds_read2_b64 v[36:39], v64 offset1:1
	v_lshlrev_b64 v[0:1], 4, v[62:63]
	v_mov_b32_e32 v35, s42
	v_add_co_u32_e32 v0, vcc, s41, v0
	v_addc_co_u32_e32 v1, vcc, v35, v1, vcc
	s_waitcnt lgkmcnt(0)
	global_store_dwordx4 v[0:1], v[36:39], off
	s_or_b64 exec, exec, s[4:5]
	s_and_saveexec_b64 s[4:5], s[34:35]
	s_cbranch_execz .LBB197_121
.LBB197_137:                            ;   in Loop: Header=BB197_80 Depth=1
	buffer_load_dword v36, off, s[0:3], 0
	buffer_load_dword v37, off, s[0:3], 0 offset:4
	buffer_load_dword v38, off, s[0:3], 0 offset:8
	;; [unrolled: 1-line block ×3, first 2 shown]
	v_lshlrev_b64 v[0:1], 4, v[60:61]
	v_mov_b32_e32 v35, s42
	v_add_co_u32_e32 v0, vcc, s41, v0
	v_addc_co_u32_e32 v1, vcc, v35, v1, vcc
	s_waitcnt vmcnt(0)
	global_store_dwordx4 v[0:1], v[36:39], off
	s_or_b64 exec, exec, s[4:5]
	s_and_saveexec_b64 s[4:5], s[30:31]
	s_cbranch_execz .LBB197_122
.LBB197_138:                            ;   in Loop: Header=BB197_80 Depth=1
	buffer_load_dword v36, off, s[0:3], 0 offset:16
	buffer_load_dword v37, off, s[0:3], 0 offset:20
	;; [unrolled: 1-line block ×4, first 2 shown]
	v_lshlrev_b64 v[0:1], 4, v[58:59]
	v_mov_b32_e32 v35, s42
	v_add_co_u32_e32 v0, vcc, s41, v0
	v_addc_co_u32_e32 v1, vcc, v35, v1, vcc
	s_waitcnt vmcnt(0)
	global_store_dwordx4 v[0:1], v[36:39], off
	s_or_b64 exec, exec, s[4:5]
	s_and_saveexec_b64 s[4:5], s[26:27]
	s_cbranch_execz .LBB197_123
.LBB197_139:                            ;   in Loop: Header=BB197_80 Depth=1
	buffer_load_dword v36, off, s[0:3], 0 offset:32
	buffer_load_dword v37, off, s[0:3], 0 offset:36
	buffer_load_dword v38, off, s[0:3], 0 offset:40
	buffer_load_dword v39, off, s[0:3], 0 offset:44
	v_lshlrev_b64 v[0:1], 4, v[54:55]
	v_mov_b32_e32 v35, s42
	v_add_co_u32_e32 v0, vcc, s41, v0
	v_addc_co_u32_e32 v1, vcc, v35, v1, vcc
	s_waitcnt vmcnt(0)
	global_store_dwordx4 v[0:1], v[36:39], off
	s_or_b64 exec, exec, s[4:5]
	s_and_saveexec_b64 s[4:5], s[24:25]
	s_cbranch_execz .LBB197_124
.LBB197_140:                            ;   in Loop: Header=BB197_80 Depth=1
	buffer_load_dword v36, off, s[0:3], 0 offset:48
	buffer_load_dword v37, off, s[0:3], 0 offset:52
	;; [unrolled: 1-line block ×4, first 2 shown]
	v_lshlrev_b64 v[0:1], 4, v[52:53]
	v_mov_b32_e32 v35, s42
	v_add_co_u32_e32 v0, vcc, s41, v0
	v_addc_co_u32_e32 v1, vcc, v35, v1, vcc
	s_waitcnt vmcnt(0)
	global_store_dwordx4 v[0:1], v[36:39], off
	s_or_b64 exec, exec, s[4:5]
	s_and_saveexec_b64 s[4:5], s[22:23]
	s_cbranch_execz .LBB197_125
.LBB197_141:                            ;   in Loop: Header=BB197_80 Depth=1
	buffer_load_dword v36, off, s[0:3], 0 offset:64
	buffer_load_dword v37, off, s[0:3], 0 offset:68
	;; [unrolled: 1-line block ×4, first 2 shown]
	v_lshlrev_b64 v[0:1], 4, v[50:51]
	v_mov_b32_e32 v35, s42
	v_add_co_u32_e32 v0, vcc, s41, v0
	v_addc_co_u32_e32 v1, vcc, v35, v1, vcc
	s_waitcnt vmcnt(0)
	global_store_dwordx4 v[0:1], v[36:39], off
	s_or_b64 exec, exec, s[4:5]
	s_and_saveexec_b64 s[4:5], s[20:21]
	s_cbranch_execz .LBB197_126
.LBB197_142:                            ;   in Loop: Header=BB197_80 Depth=1
	buffer_load_dword v36, off, s[0:3], 0 offset:80
	buffer_load_dword v37, off, s[0:3], 0 offset:84
	;; [unrolled: 1-line block ×4, first 2 shown]
	v_lshlrev_b64 v[0:1], 4, v[48:49]
	v_mov_b32_e32 v35, s42
	v_add_co_u32_e32 v0, vcc, s41, v0
	v_addc_co_u32_e32 v1, vcc, v35, v1, vcc
	s_waitcnt vmcnt(0)
	global_store_dwordx4 v[0:1], v[36:39], off
	s_or_b64 exec, exec, s[4:5]
	s_and_saveexec_b64 s[4:5], s[16:17]
	s_cbranch_execz .LBB197_79
.LBB197_143:                            ;   in Loop: Header=BB197_80 Depth=1
	buffer_load_dword v36, off, s[0:3], 0 offset:96
	buffer_load_dword v37, off, s[0:3], 0 offset:100
	buffer_load_dword v38, off, s[0:3], 0 offset:104
	buffer_load_dword v39, off, s[0:3], 0 offset:108
	v_lshlrev_b64 v[0:1], 4, v[44:45]
	v_mov_b32_e32 v35, s42
	v_add_co_u32_e32 v0, vcc, s41, v0
	v_addc_co_u32_e32 v1, vcc, v35, v1, vcc
	s_waitcnt vmcnt(0)
	global_store_dwordx4 v[0:1], v[36:39], off
	s_branch .LBB197_79
.LBB197_144:
	s_endpgm
	.section	.rodata,"a",@progbits
	.p2align	6, 0x0
	.amdhsa_kernel _ZN9rocsolver6v33100L10stedc_sortI19rocblas_complex_numIdEdPS3_S4_EEviPT0_lS6_lT1_iilT2_iil
		.amdhsa_group_segment_fixed_size 10240
		.amdhsa_private_segment_fixed_size 128
		.amdhsa_kernarg_size 344
		.amdhsa_user_sgpr_count 10
		.amdhsa_user_sgpr_private_segment_buffer 1
		.amdhsa_user_sgpr_dispatch_ptr 1
		.amdhsa_user_sgpr_queue_ptr 0
		.amdhsa_user_sgpr_kernarg_segment_ptr 1
		.amdhsa_user_sgpr_dispatch_id 0
		.amdhsa_user_sgpr_flat_scratch_init 1
		.amdhsa_user_sgpr_kernarg_preload_length 0
		.amdhsa_user_sgpr_kernarg_preload_offset 0
		.amdhsa_user_sgpr_private_segment_size 0
		.amdhsa_uses_dynamic_stack 0
		.amdhsa_system_sgpr_private_segment_wavefront_offset 1
		.amdhsa_system_sgpr_workgroup_id_x 1
		.amdhsa_system_sgpr_workgroup_id_y 1
		.amdhsa_system_sgpr_workgroup_id_z 0
		.amdhsa_system_sgpr_workgroup_info 0
		.amdhsa_system_vgpr_workitem_id 2
		.amdhsa_next_free_vgpr 70
		.amdhsa_next_free_sgpr 79
		.amdhsa_accum_offset 72
		.amdhsa_reserve_vcc 1
		.amdhsa_reserve_flat_scratch 0
		.amdhsa_float_round_mode_32 0
		.amdhsa_float_round_mode_16_64 0
		.amdhsa_float_denorm_mode_32 3
		.amdhsa_float_denorm_mode_16_64 3
		.amdhsa_dx10_clamp 1
		.amdhsa_ieee_mode 1
		.amdhsa_fp16_overflow 0
		.amdhsa_tg_split 0
		.amdhsa_exception_fp_ieee_invalid_op 0
		.amdhsa_exception_fp_denorm_src 0
		.amdhsa_exception_fp_ieee_div_zero 0
		.amdhsa_exception_fp_ieee_overflow 0
		.amdhsa_exception_fp_ieee_underflow 0
		.amdhsa_exception_fp_ieee_inexact 0
		.amdhsa_exception_int_div_zero 0
	.end_amdhsa_kernel
	.section	.text._ZN9rocsolver6v33100L10stedc_sortI19rocblas_complex_numIdEdPS3_S4_EEviPT0_lS6_lT1_iilT2_iil,"axG",@progbits,_ZN9rocsolver6v33100L10stedc_sortI19rocblas_complex_numIdEdPS3_S4_EEviPT0_lS6_lT1_iilT2_iil,comdat
.Lfunc_end197:
	.size	_ZN9rocsolver6v33100L10stedc_sortI19rocblas_complex_numIdEdPS3_S4_EEviPT0_lS6_lT1_iilT2_iil, .Lfunc_end197-_ZN9rocsolver6v33100L10stedc_sortI19rocblas_complex_numIdEdPS3_S4_EEviPT0_lS6_lT1_iilT2_iil
                                        ; -- End function
	.section	.AMDGPU.csdata,"",@progbits
; Kernel info:
; codeLenInByte = 5828
; NumSgprs: 83
; NumVgprs: 70
; NumAgprs: 0
; TotalNumVgprs: 70
; ScratchSize: 128
; MemoryBound: 1
; FloatMode: 240
; IeeeMode: 1
; LDSByteSize: 10240 bytes/workgroup (compile time only)
; SGPRBlocks: 10
; VGPRBlocks: 8
; NumSGPRsForWavesPerEU: 83
; NumVGPRsForWavesPerEU: 70
; AccumOffset: 72
; Occupancy: 7
; WaveLimiterHint : 0
; COMPUTE_PGM_RSRC2:SCRATCH_EN: 1
; COMPUTE_PGM_RSRC2:USER_SGPR: 10
; COMPUTE_PGM_RSRC2:TRAP_HANDLER: 0
; COMPUTE_PGM_RSRC2:TGID_X_EN: 1
; COMPUTE_PGM_RSRC2:TGID_Y_EN: 1
; COMPUTE_PGM_RSRC2:TGID_Z_EN: 0
; COMPUTE_PGM_RSRC2:TIDIG_COMP_CNT: 2
; COMPUTE_PGM_RSRC3_GFX90A:ACCUM_OFFSET: 17
; COMPUTE_PGM_RSRC3_GFX90A:TG_SPLIT: 0
	.section	.text._ZN9rocsolver6v33100L13conj_in_placeI19rocblas_complex_numIdEiPS3_TnNSt9enable_ifIX18rocblas_is_complexIT_EEiE4typeELi0EEEvT0_S9_T1_lS9_l,"axG",@progbits,_ZN9rocsolver6v33100L13conj_in_placeI19rocblas_complex_numIdEiPS3_TnNSt9enable_ifIX18rocblas_is_complexIT_EEiE4typeELi0EEEvT0_S9_T1_lS9_l,comdat
	.globl	_ZN9rocsolver6v33100L13conj_in_placeI19rocblas_complex_numIdEiPS3_TnNSt9enable_ifIX18rocblas_is_complexIT_EEiE4typeELi0EEEvT0_S9_T1_lS9_l ; -- Begin function _ZN9rocsolver6v33100L13conj_in_placeI19rocblas_complex_numIdEiPS3_TnNSt9enable_ifIX18rocblas_is_complexIT_EEiE4typeELi0EEEvT0_S9_T1_lS9_l
	.p2align	8
	.type	_ZN9rocsolver6v33100L13conj_in_placeI19rocblas_complex_numIdEiPS3_TnNSt9enable_ifIX18rocblas_is_complexIT_EEiE4typeELi0EEEvT0_S9_T1_lS9_l,@function
_ZN9rocsolver6v33100L13conj_in_placeI19rocblas_complex_numIdEiPS3_TnNSt9enable_ifIX18rocblas_is_complexIT_EEiE4typeELi0EEEvT0_S9_T1_lS9_l: ; @_ZN9rocsolver6v33100L13conj_in_placeI19rocblas_complex_numIdEiPS3_TnNSt9enable_ifIX18rocblas_is_complexIT_EEiE4typeELi0EEEvT0_S9_T1_lS9_l
; %bb.0:
	s_load_dword s2, s[4:5], 0x34
	s_load_dwordx2 s[0:1], s[4:5], 0x0
	v_and_b32_e32 v1, 0x3ff, v0
	v_bfe_u32 v0, v0, 10, 10
	s_waitcnt lgkmcnt(0)
	s_lshr_b32 s3, s2, 16
	s_and_b32 s2, s2, 0xffff
	s_mul_i32 s6, s6, s2
	s_mul_i32 s7, s7, s3
	v_add_u32_e32 v2, s6, v1
	v_add_u32_e32 v0, s7, v0
	v_cmp_gt_i32_e32 vcc, s0, v2
	v_cmp_gt_i32_e64 s[0:1], s1, v0
	s_and_b64 s[0:1], vcc, s[0:1]
	s_and_saveexec_b64 s[2:3], s[0:1]
	s_cbranch_execz .LBB198_2
; %bb.1:
	s_load_dwordx2 s[6:7], s[4:5], 0x20
	s_load_dwordx4 s[0:3], s[4:5], 0x8
	s_load_dword s9, s[4:5], 0x18
	s_ashr_i32 s4, s8, 31
	v_ashrrev_i32_e32 v3, 31, v2
	s_waitcnt lgkmcnt(0)
	s_mul_i32 s5, s8, s7
	s_mul_hi_u32 s7, s8, s6
	s_add_i32 s5, s7, s5
	s_mul_i32 s4, s4, s6
	s_add_i32 s5, s5, s4
	s_mul_i32 s4, s8, s6
	s_lshl_b64 s[4:5], s[4:5], 4
	s_add_u32 s4, s0, s4
	s_addc_u32 s5, s1, s5
	s_lshl_b64 s[0:1], s[2:3], 4
	s_add_u32 s2, s4, s0
	s_addc_u32 s3, s5, s1
	v_mad_i64_i32 v[0:1], s[0:1], v0, s9, 0
	v_lshlrev_b64 v[4:5], 4, v[0:1]
	v_mov_b32_e32 v1, s3
	v_add_co_u32_e32 v6, vcc, s2, v4
	v_addc_co_u32_e32 v1, vcc, v1, v5, vcc
	v_lshlrev_b64 v[4:5], 4, v[2:3]
	v_add_co_u32_e32 v4, vcc, v6, v4
	v_addc_co_u32_e32 v5, vcc, v1, v5, vcc
	global_load_dwordx4 v[4:7], v[4:5], off
	v_add_u32_e32 v0, v0, v2
	v_ashrrev_i32_e32 v1, 31, v0
	v_lshlrev_b64 v[0:1], 4, v[0:1]
	v_mov_b32_e32 v2, s3
	v_add_co_u32_e32 v0, vcc, s2, v0
	v_addc_co_u32_e32 v1, vcc, v2, v1, vcc
	s_waitcnt vmcnt(0)
	v_xor_b32_e32 v7, 0x80000000, v7
	global_store_dwordx4 v[0:1], v[4:7], off
.LBB198_2:
	s_endpgm
	.section	.rodata,"a",@progbits
	.p2align	6, 0x0
	.amdhsa_kernel _ZN9rocsolver6v33100L13conj_in_placeI19rocblas_complex_numIdEiPS3_TnNSt9enable_ifIX18rocblas_is_complexIT_EEiE4typeELi0EEEvT0_S9_T1_lS9_l
		.amdhsa_group_segment_fixed_size 0
		.amdhsa_private_segment_fixed_size 0
		.amdhsa_kernarg_size 296
		.amdhsa_user_sgpr_count 6
		.amdhsa_user_sgpr_private_segment_buffer 1
		.amdhsa_user_sgpr_dispatch_ptr 0
		.amdhsa_user_sgpr_queue_ptr 0
		.amdhsa_user_sgpr_kernarg_segment_ptr 1
		.amdhsa_user_sgpr_dispatch_id 0
		.amdhsa_user_sgpr_flat_scratch_init 0
		.amdhsa_user_sgpr_kernarg_preload_length 0
		.amdhsa_user_sgpr_kernarg_preload_offset 0
		.amdhsa_user_sgpr_private_segment_size 0
		.amdhsa_uses_dynamic_stack 0
		.amdhsa_system_sgpr_private_segment_wavefront_offset 0
		.amdhsa_system_sgpr_workgroup_id_x 1
		.amdhsa_system_sgpr_workgroup_id_y 1
		.amdhsa_system_sgpr_workgroup_id_z 1
		.amdhsa_system_sgpr_workgroup_info 0
		.amdhsa_system_vgpr_workitem_id 1
		.amdhsa_next_free_vgpr 8
		.amdhsa_next_free_sgpr 10
		.amdhsa_accum_offset 8
		.amdhsa_reserve_vcc 1
		.amdhsa_reserve_flat_scratch 0
		.amdhsa_float_round_mode_32 0
		.amdhsa_float_round_mode_16_64 0
		.amdhsa_float_denorm_mode_32 3
		.amdhsa_float_denorm_mode_16_64 3
		.amdhsa_dx10_clamp 1
		.amdhsa_ieee_mode 1
		.amdhsa_fp16_overflow 0
		.amdhsa_tg_split 0
		.amdhsa_exception_fp_ieee_invalid_op 0
		.amdhsa_exception_fp_denorm_src 0
		.amdhsa_exception_fp_ieee_div_zero 0
		.amdhsa_exception_fp_ieee_overflow 0
		.amdhsa_exception_fp_ieee_underflow 0
		.amdhsa_exception_fp_ieee_inexact 0
		.amdhsa_exception_int_div_zero 0
	.end_amdhsa_kernel
	.section	.text._ZN9rocsolver6v33100L13conj_in_placeI19rocblas_complex_numIdEiPS3_TnNSt9enable_ifIX18rocblas_is_complexIT_EEiE4typeELi0EEEvT0_S9_T1_lS9_l,"axG",@progbits,_ZN9rocsolver6v33100L13conj_in_placeI19rocblas_complex_numIdEiPS3_TnNSt9enable_ifIX18rocblas_is_complexIT_EEiE4typeELi0EEEvT0_S9_T1_lS9_l,comdat
.Lfunc_end198:
	.size	_ZN9rocsolver6v33100L13conj_in_placeI19rocblas_complex_numIdEiPS3_TnNSt9enable_ifIX18rocblas_is_complexIT_EEiE4typeELi0EEEvT0_S9_T1_lS9_l, .Lfunc_end198-_ZN9rocsolver6v33100L13conj_in_placeI19rocblas_complex_numIdEiPS3_TnNSt9enable_ifIX18rocblas_is_complexIT_EEiE4typeELi0EEEvT0_S9_T1_lS9_l
                                        ; -- End function
	.section	.AMDGPU.csdata,"",@progbits
; Kernel info:
; codeLenInByte = 276
; NumSgprs: 14
; NumVgprs: 8
; NumAgprs: 0
; TotalNumVgprs: 8
; ScratchSize: 0
; MemoryBound: 0
; FloatMode: 240
; IeeeMode: 1
; LDSByteSize: 0 bytes/workgroup (compile time only)
; SGPRBlocks: 1
; VGPRBlocks: 0
; NumSGPRsForWavesPerEU: 14
; NumVGPRsForWavesPerEU: 8
; AccumOffset: 8
; Occupancy: 8
; WaveLimiterHint : 0
; COMPUTE_PGM_RSRC2:SCRATCH_EN: 0
; COMPUTE_PGM_RSRC2:USER_SGPR: 6
; COMPUTE_PGM_RSRC2:TRAP_HANDLER: 0
; COMPUTE_PGM_RSRC2:TGID_X_EN: 1
; COMPUTE_PGM_RSRC2:TGID_Y_EN: 1
; COMPUTE_PGM_RSRC2:TGID_Z_EN: 1
; COMPUTE_PGM_RSRC2:TIDIG_COMP_CNT: 1
; COMPUTE_PGM_RSRC3_GFX90A:ACCUM_OFFSET: 1
; COMPUTE_PGM_RSRC3_GFX90A:TG_SPLIT: 0
	.section	.text._ZN9rocsolver6v33100L8set_diagI19rocblas_complex_numIdEiS3_PS3_TnNSt9enable_ifIXoont18rocblas_is_complexIT_E18rocblas_is_complexIT1_EEiE4typeELi0EEEvPS7_llT2_lT0_lSC_b,"axG",@progbits,_ZN9rocsolver6v33100L8set_diagI19rocblas_complex_numIdEiS3_PS3_TnNSt9enable_ifIXoont18rocblas_is_complexIT_E18rocblas_is_complexIT1_EEiE4typeELi0EEEvPS7_llT2_lT0_lSC_b,comdat
	.globl	_ZN9rocsolver6v33100L8set_diagI19rocblas_complex_numIdEiS3_PS3_TnNSt9enable_ifIXoont18rocblas_is_complexIT_E18rocblas_is_complexIT1_EEiE4typeELi0EEEvPS7_llT2_lT0_lSC_b ; -- Begin function _ZN9rocsolver6v33100L8set_diagI19rocblas_complex_numIdEiS3_PS3_TnNSt9enable_ifIXoont18rocblas_is_complexIT_E18rocblas_is_complexIT1_EEiE4typeELi0EEEvPS7_llT2_lT0_lSC_b
	.p2align	8
	.type	_ZN9rocsolver6v33100L8set_diagI19rocblas_complex_numIdEiS3_PS3_TnNSt9enable_ifIXoont18rocblas_is_complexIT_E18rocblas_is_complexIT1_EEiE4typeELi0EEEvPS7_llT2_lT0_lSC_b,@function
_ZN9rocsolver6v33100L8set_diagI19rocblas_complex_numIdEiS3_PS3_TnNSt9enable_ifIXoont18rocblas_is_complexIT_E18rocblas_is_complexIT1_EEiE4typeELi0EEEvPS7_llT2_lT0_lSC_b: ; @_ZN9rocsolver6v33100L8set_diagI19rocblas_complex_numIdEiS3_PS3_TnNSt9enable_ifIXoont18rocblas_is_complexIT_E18rocblas_is_complexIT1_EEiE4typeELi0EEEvPS7_llT2_lT0_lSC_b
; %bb.0:
	s_load_dword s2, s[4:5], 0x4c
	s_load_dwordx2 s[0:1], s[4:5], 0x38
	v_bfe_u32 v0, v0, 10, 10
	s_waitcnt lgkmcnt(0)
	s_lshr_b32 s2, s2, 16
	s_mul_i32 s7, s7, s2
	v_add_u32_e32 v0, s7, v0
	v_cmp_gt_i32_e32 vcc, s0, v0
	s_and_saveexec_b64 s[2:3], vcc
	s_cbranch_execz .LBB199_5
; %bb.1:
	s_load_dwordx2 s[2:3], s[4:5], 0x20
	s_load_dword s7, s[4:5], 0x28
	s_load_dwordx2 s[16:17], s[4:5], 0x30
	s_load_dwordx8 s[8:15], s[4:5], 0x0
	s_bitcmp1_b32 s1, 0
	s_cselect_b64 s[0:1], -1, 0
	s_ashr_i32 s18, s6, 31
	s_waitcnt lgkmcnt(0)
	s_mul_i32 s4, s6, s17
	s_mul_hi_u32 s5, s6, s16
	s_add_i32 s4, s5, s4
	s_mul_i32 s5, s18, s16
	s_add_i32 s5, s4, s5
	s_mul_i32 s4, s6, s16
	s_lshl_b64 s[4:5], s[4:5], 4
	s_add_u32 s4, s14, s4
	s_addc_u32 s5, s15, s5
	s_lshl_b64 s[2:3], s[2:3], 4
	s_add_u32 s4, s4, s2
	s_addc_u32 s5, s5, s3
	v_mad_u64_u32 v[2:3], s[2:3], v0, s7, v[0:1]
	v_ashrrev_i32_e32 v3, 31, v2
	v_lshlrev_b64 v[2:3], 4, v[2:3]
	v_mov_b32_e32 v1, s5
	v_add_co_u32_e32 v4, vcc, s4, v2
	v_addc_co_u32_e32 v5, vcc, v1, v3, vcc
	global_load_dwordx4 v[6:9], v[4:5], off
	s_mul_i32 s3, s6, s13
	s_mul_hi_u32 s4, s6, s12
	s_mul_i32 s18, s18, s12
	s_add_i32 s3, s4, s3
	s_mul_i32 s2, s6, s12
	s_add_i32 s3, s3, s18
	s_lshl_b64 s[2:3], s[2:3], 4
	s_add_u32 s4, s8, s2
	s_addc_u32 s5, s9, s3
	s_lshl_b64 s[2:3], s[10:11], 4
	v_ashrrev_i32_e32 v1, 31, v0
	s_add_u32 s2, s4, s2
	v_lshlrev_b64 v[0:1], 4, v[0:1]
	s_addc_u32 s3, s5, s3
	s_and_b64 vcc, exec, s[0:1]
	v_mov_b32_e32 v2, s3
	v_add_co_u32_e64 v0, s[0:1], s2, v0
	v_addc_co_u32_e64 v1, s[0:1], v2, v1, s[0:1]
	s_waitcnt vmcnt(0)
	global_store_dwordx4 v[0:1], v[6:9], off
	s_cbranch_vccnz .LBB199_3
; %bb.2:
	global_load_dwordx4 v[0:3], v[4:5], off
	s_branch .LBB199_4
.LBB199_3:
	v_mov_b32_e32 v0, 0
	v_pk_mov_b32 v[2:3], 0, 0
	v_mov_b32_e32 v1, 0x3ff00000
.LBB199_4:
	s_waitcnt vmcnt(0)
	global_store_dwordx4 v[4:5], v[0:3], off
.LBB199_5:
	s_endpgm
	.section	.rodata,"a",@progbits
	.p2align	6, 0x0
	.amdhsa_kernel _ZN9rocsolver6v33100L8set_diagI19rocblas_complex_numIdEiS3_PS3_TnNSt9enable_ifIXoont18rocblas_is_complexIT_E18rocblas_is_complexIT1_EEiE4typeELi0EEEvPS7_llT2_lT0_lSC_b
		.amdhsa_group_segment_fixed_size 0
		.amdhsa_private_segment_fixed_size 0
		.amdhsa_kernarg_size 320
		.amdhsa_user_sgpr_count 6
		.amdhsa_user_sgpr_private_segment_buffer 1
		.amdhsa_user_sgpr_dispatch_ptr 0
		.amdhsa_user_sgpr_queue_ptr 0
		.amdhsa_user_sgpr_kernarg_segment_ptr 1
		.amdhsa_user_sgpr_dispatch_id 0
		.amdhsa_user_sgpr_flat_scratch_init 0
		.amdhsa_user_sgpr_kernarg_preload_length 0
		.amdhsa_user_sgpr_kernarg_preload_offset 0
		.amdhsa_user_sgpr_private_segment_size 0
		.amdhsa_uses_dynamic_stack 0
		.amdhsa_system_sgpr_private_segment_wavefront_offset 0
		.amdhsa_system_sgpr_workgroup_id_x 1
		.amdhsa_system_sgpr_workgroup_id_y 1
		.amdhsa_system_sgpr_workgroup_id_z 0
		.amdhsa_system_sgpr_workgroup_info 0
		.amdhsa_system_vgpr_workitem_id 1
		.amdhsa_next_free_vgpr 10
		.amdhsa_next_free_sgpr 19
		.amdhsa_accum_offset 12
		.amdhsa_reserve_vcc 1
		.amdhsa_reserve_flat_scratch 0
		.amdhsa_float_round_mode_32 0
		.amdhsa_float_round_mode_16_64 0
		.amdhsa_float_denorm_mode_32 3
		.amdhsa_float_denorm_mode_16_64 3
		.amdhsa_dx10_clamp 1
		.amdhsa_ieee_mode 1
		.amdhsa_fp16_overflow 0
		.amdhsa_tg_split 0
		.amdhsa_exception_fp_ieee_invalid_op 0
		.amdhsa_exception_fp_denorm_src 0
		.amdhsa_exception_fp_ieee_div_zero 0
		.amdhsa_exception_fp_ieee_overflow 0
		.amdhsa_exception_fp_ieee_underflow 0
		.amdhsa_exception_fp_ieee_inexact 0
		.amdhsa_exception_int_div_zero 0
	.end_amdhsa_kernel
	.section	.text._ZN9rocsolver6v33100L8set_diagI19rocblas_complex_numIdEiS3_PS3_TnNSt9enable_ifIXoont18rocblas_is_complexIT_E18rocblas_is_complexIT1_EEiE4typeELi0EEEvPS7_llT2_lT0_lSC_b,"axG",@progbits,_ZN9rocsolver6v33100L8set_diagI19rocblas_complex_numIdEiS3_PS3_TnNSt9enable_ifIXoont18rocblas_is_complexIT_E18rocblas_is_complexIT1_EEiE4typeELi0EEEvPS7_llT2_lT0_lSC_b,comdat
.Lfunc_end199:
	.size	_ZN9rocsolver6v33100L8set_diagI19rocblas_complex_numIdEiS3_PS3_TnNSt9enable_ifIXoont18rocblas_is_complexIT_E18rocblas_is_complexIT1_EEiE4typeELi0EEEvPS7_llT2_lT0_lSC_b, .Lfunc_end199-_ZN9rocsolver6v33100L8set_diagI19rocblas_complex_numIdEiS3_PS3_TnNSt9enable_ifIXoont18rocblas_is_complexIT_E18rocblas_is_complexIT1_EEiE4typeELi0EEEvPS7_llT2_lT0_lSC_b
                                        ; -- End function
	.section	.AMDGPU.csdata,"",@progbits
; Kernel info:
; codeLenInByte = 336
; NumSgprs: 23
; NumVgprs: 10
; NumAgprs: 0
; TotalNumVgprs: 10
; ScratchSize: 0
; MemoryBound: 1
; FloatMode: 240
; IeeeMode: 1
; LDSByteSize: 0 bytes/workgroup (compile time only)
; SGPRBlocks: 2
; VGPRBlocks: 1
; NumSGPRsForWavesPerEU: 23
; NumVGPRsForWavesPerEU: 10
; AccumOffset: 12
; Occupancy: 8
; WaveLimiterHint : 0
; COMPUTE_PGM_RSRC2:SCRATCH_EN: 0
; COMPUTE_PGM_RSRC2:USER_SGPR: 6
; COMPUTE_PGM_RSRC2:TRAP_HANDLER: 0
; COMPUTE_PGM_RSRC2:TGID_X_EN: 1
; COMPUTE_PGM_RSRC2:TGID_Y_EN: 1
; COMPUTE_PGM_RSRC2:TGID_Z_EN: 0
; COMPUTE_PGM_RSRC2:TIDIG_COMP_CNT: 1
; COMPUTE_PGM_RSRC3_GFX90A:ACCUM_OFFSET: 2
; COMPUTE_PGM_RSRC3_GFX90A:TG_SPLIT: 0
	.section	.text._ZN9rocsolver6v33100L16larf_left_kernelILi1024E19rocblas_complex_numIdEiPS3_EEvT1_S5_T2_lS5_lPKT0_lS6_lS5_l,"axG",@progbits,_ZN9rocsolver6v33100L16larf_left_kernelILi1024E19rocblas_complex_numIdEiPS3_EEvT1_S5_T2_lS5_lPKT0_lS6_lS5_l,comdat
	.globl	_ZN9rocsolver6v33100L16larf_left_kernelILi1024E19rocblas_complex_numIdEiPS3_EEvT1_S5_T2_lS5_lPKT0_lS6_lS5_l ; -- Begin function _ZN9rocsolver6v33100L16larf_left_kernelILi1024E19rocblas_complex_numIdEiPS3_EEvT1_S5_T2_lS5_lPKT0_lS6_lS5_l
	.p2align	8
	.type	_ZN9rocsolver6v33100L16larf_left_kernelILi1024E19rocblas_complex_numIdEiPS3_EEvT1_S5_T2_lS5_lPKT0_lS6_lS5_l,@function
_ZN9rocsolver6v33100L16larf_left_kernelILi1024E19rocblas_complex_numIdEiPS3_EEvT1_S5_T2_lS5_lPKT0_lS6_lS5_l: ; @_ZN9rocsolver6v33100L16larf_left_kernelILi1024E19rocblas_complex_numIdEiPS3_EEvT1_S5_T2_lS5_lPKT0_lS6_lS5_l
; %bb.0:
	s_load_dword s9, s[4:5], 0x0
	s_load_dwordx8 s[12:19], s[4:5], 0x20
	s_load_dwordx2 s[2:3], s[4:5], 0x40
	s_load_dword s20, s[4:5], 0x48
	s_load_dwordx2 s[10:11], s[4:5], 0x50
	s_ashr_i32 s27, s8, 31
	v_pk_mov_b32 v[2:3], 0, 0
	s_waitcnt lgkmcnt(0)
	v_cmp_gt_i32_e64 s[0:1], s9, v0
	s_mov_b64 s[22:23], 0
	s_mul_i32 s24, s10, s27
	s_mul_hi_u32 s25, s10, s8
	s_mul_i32 s26, s11, s8
	s_mul_i32 s6, s10, s8
	s_mul_hi_i32 s11, s7, s20
	s_mul_i32 s10, s7, s20
	v_pk_mov_b32 v[4:5], v[2:3], v[2:3] op_sel:[0,1]
	s_and_saveexec_b64 s[20:21], s[0:1]
	s_cbranch_execz .LBB200_6
; %bb.1:
	s_load_dword s34, s[4:5], 0x18
	s_load_dwordx4 s[28:31], s[4:5], 0x8
	s_sub_i32 s4, 1, s9
	s_mul_hi_u32 s33, s12, s8
	s_mul_i32 s13, s13, s8
	s_waitcnt lgkmcnt(0)
	s_ashr_i32 s35, s34, 31
	s_mul_i32 s7, s4, s34
	v_cmp_lt_i64_e64 s[4:5], s[34:35], 1
	s_and_b64 s[4:5], s[4:5], exec
	s_cselect_b32 s4, s7, 0
	s_mul_i32 s7, s12, s27
	s_add_i32 s7, s33, s7
	s_ashr_i32 s5, s4, 31
	s_add_i32 s13, s7, s13
	s_mul_i32 s12, s12, s8
	s_lshl_b64 s[12:13], s[12:13], 4
	s_lshl_b64 s[30:31], s[30:31], 4
	;; [unrolled: 1-line block ×3, first 2 shown]
	s_add_u32 s4, s28, s4
	s_addc_u32 s5, s29, s5
	s_add_u32 s4, s4, s30
	s_addc_u32 s5, s5, s31
	v_mad_i64_i32 v[2:3], s[36:37], s34, v0, 0
	s_add_u32 s4, s4, s12
	v_lshl_add_u32 v1, v0, 4, 0
	v_lshlrev_b64 v[2:3], 4, v[2:3]
	s_addc_u32 s5, s5, s13
	v_add_u32_e32 v1, 0x100, v1
	v_mov_b32_e32 v4, s5
	v_add_co_u32_e32 v2, vcc, s4, v2
	s_lshl_b64 s[4:5], s[34:35], 14
	v_addc_co_u32_e32 v3, vcc, v4, v3, vcc
	v_mov_b32_e32 v4, s5
	v_mov_b32_e32 v5, v1
	;; [unrolled: 1-line block ×3, first 2 shown]
.LBB200_2:                              ; =>This Inner Loop Header: Depth=1
	global_load_dwordx4 v[8:11], v[2:3], off
	v_add_co_u32_e32 v2, vcc, s4, v2
	v_add_u32_e32 v6, 0x400, v6
	v_addc_co_u32_e32 v3, vcc, v3, v4, vcc
	v_cmp_le_i32_e32 vcc, s9, v6
	s_or_b64 s[22:23], vcc, s[22:23]
	s_waitcnt vmcnt(0)
	ds_write2_b64 v5, v[8:9], v[10:11] offset1:1
	v_add_u32_e32 v5, 0x4000, v5
	s_andn2_b64 exec, exec, s[22:23]
	s_cbranch_execnz .LBB200_2
; %bb.3:
	s_or_b64 exec, exec, s[22:23]
	s_add_i32 s4, s25, s24
	s_add_i32 s7, s4, s26
	s_lshl_b64 s[4:5], s[6:7], 4
	s_lshl_b64 s[12:13], s[10:11], 4
	s_add_u32 s7, s4, s12
	s_addc_u32 s12, s5, s13
	s_lshl_b64 s[4:5], s[2:3], 4
	s_add_u32 s4, s7, s4
	s_addc_u32 s5, s12, s5
	s_add_u32 s4, s18, s4
	v_lshlrev_b32_e32 v2, 4, v0
	s_addc_u32 s5, s19, s5
	v_mov_b32_e32 v3, s5
	v_add_co_u32_e32 v2, vcc, s4, v2
	v_addc_co_u32_e32 v3, vcc, 0, v3, vcc
	v_add_co_u32_e32 v6, vcc, 8, v2
	v_addc_co_u32_e32 v7, vcc, 0, v3, vcc
	v_pk_mov_b32 v[2:3], 0, 0
	s_mov_b64 s[4:5], 0
	v_mov_b32_e32 v8, v0
	v_pk_mov_b32 v[4:5], v[2:3], v[2:3] op_sel:[0,1]
.LBB200_4:                              ; =>This Inner Loop Header: Depth=1
	global_load_dwordx4 v[10:13], v[6:7], off offset:-8
	ds_read2_b64 v[14:17], v1 offset1:1
	v_add_co_u32_e32 v6, vcc, 0x4000, v6
	v_add_u32_e32 v8, 0x400, v8
	v_addc_co_u32_e32 v7, vcc, 0, v7, vcc
	v_cmp_le_i32_e32 vcc, s9, v8
	v_add_u32_e32 v1, 0x4000, v1
	s_or_b64 s[4:5], vcc, s[4:5]
	s_waitcnt vmcnt(0) lgkmcnt(0)
	v_mul_f64 v[18:19], v[12:13], v[16:17]
	v_mul_f64 v[12:13], v[12:13], v[14:15]
	v_fmac_f64_e32 v[18:19], v[10:11], v[14:15]
	v_fma_f64 v[10:11], v[10:11], v[16:17], -v[12:13]
	v_add_f64 v[4:5], v[4:5], v[18:19]
	v_add_f64 v[2:3], v[2:3], v[10:11]
	s_andn2_b64 exec, exec, s[4:5]
	s_cbranch_execnz .LBB200_4
; %bb.5:
	s_or_b64 exec, exec, s[4:5]
.LBB200_6:
	s_or_b64 exec, exec, s[20:21]
	v_mbcnt_lo_u32_b32 v1, -1, 0
	v_mbcnt_hi_u32_b32 v1, -1, v1
	v_and_b32_e32 v10, 63, v1
	v_cmp_ne_u32_e32 vcc, 63, v10
	v_addc_co_u32_e32 v6, vcc, 0, v1, vcc
	v_lshlrev_b32_e32 v9, 2, v6
	ds_bpermute_b32 v6, v9, v4
	ds_bpermute_b32 v7, v9, v5
	ds_bpermute_b32 v8, v9, v2
	ds_bpermute_b32 v9, v9, v3
	v_cmp_gt_u32_e32 vcc, 62, v10
	s_waitcnt lgkmcnt(2)
	v_add_f64 v[4:5], v[4:5], v[6:7]
	v_cndmask_b32_e64 v6, 0, 1, vcc
	v_lshlrev_b32_e32 v6, 1, v6
	s_waitcnt lgkmcnt(0)
	v_add_f64 v[2:3], v[2:3], v[8:9]
	v_add_lshl_u32 v9, v6, v1, 2
	ds_bpermute_b32 v6, v9, v4
	ds_bpermute_b32 v7, v9, v5
	ds_bpermute_b32 v8, v9, v2
	ds_bpermute_b32 v9, v9, v3
	v_cmp_gt_u32_e32 vcc, 60, v10
	s_waitcnt lgkmcnt(2)
	v_add_f64 v[4:5], v[4:5], v[6:7]
	v_cndmask_b32_e64 v6, 0, 1, vcc
	v_lshlrev_b32_e32 v6, 2, v6
	s_waitcnt lgkmcnt(0)
	v_add_f64 v[2:3], v[2:3], v[8:9]
	v_add_lshl_u32 v9, v6, v1, 2
	ds_bpermute_b32 v6, v9, v4
	ds_bpermute_b32 v7, v9, v5
	ds_bpermute_b32 v8, v9, v2
	ds_bpermute_b32 v9, v9, v3
	v_cmp_gt_u32_e32 vcc, 56, v10
	s_waitcnt lgkmcnt(2)
	v_add_f64 v[4:5], v[4:5], v[6:7]
	v_cndmask_b32_e64 v6, 0, 1, vcc
	v_lshlrev_b32_e32 v6, 3, v6
	s_waitcnt lgkmcnt(0)
	v_add_f64 v[2:3], v[2:3], v[8:9]
	v_add_lshl_u32 v9, v6, v1, 2
	ds_bpermute_b32 v6, v9, v4
	ds_bpermute_b32 v7, v9, v5
	ds_bpermute_b32 v8, v9, v2
	ds_bpermute_b32 v9, v9, v3
	v_cmp_gt_u32_e32 vcc, 48, v10
	s_waitcnt lgkmcnt(2)
	v_add_f64 v[4:5], v[4:5], v[6:7]
	v_cndmask_b32_e64 v6, 0, 1, vcc
	v_lshlrev_b32_e32 v6, 4, v6
	s_waitcnt lgkmcnt(0)
	v_add_f64 v[2:3], v[2:3], v[8:9]
	v_add_lshl_u32 v9, v6, v1, 2
	ds_bpermute_b32 v6, v9, v4
	ds_bpermute_b32 v7, v9, v5
	;; [unrolled: 1-line block ×4, first 2 shown]
	v_cmp_gt_u32_e32 vcc, 32, v10
	s_waitcnt lgkmcnt(2)
	v_add_f64 v[4:5], v[4:5], v[6:7]
	s_waitcnt lgkmcnt(0)
	v_add_f64 v[6:7], v[2:3], v[8:9]
	v_cndmask_b32_e64 v2, 0, 1, vcc
	v_lshlrev_b32_e32 v2, 5, v2
	v_add_lshl_u32 v1, v2, v1, 2
	ds_bpermute_b32 v2, v1, v4
	ds_bpermute_b32 v3, v1, v5
	;; [unrolled: 1-line block ×4, first 2 shown]
	v_and_b32_e32 v1, 63, v0
	v_cmp_eq_u32_e32 vcc, 0, v1
	s_waitcnt lgkmcnt(2)
	v_add_f64 v[2:3], v[4:5], v[2:3]
	s_waitcnt lgkmcnt(0)
	v_add_f64 v[4:5], v[6:7], v[8:9]
	s_and_saveexec_b64 s[4:5], vcc
	s_cbranch_execz .LBB200_8
; %bb.7:
	v_lshrrev_b32_e32 v1, 2, v0
	v_add_u32_e32 v1, 0, v1
	ds_write2_b64 v1, v[2:3], v[4:5] offset1:1
.LBB200_8:
	s_or_b64 exec, exec, s[4:5]
	v_cmp_eq_u32_e32 vcc, 0, v0
	s_waitcnt lgkmcnt(0)
	s_barrier
	s_and_saveexec_b64 s[4:5], vcc
	s_cbranch_execz .LBB200_10
; %bb.9:
	v_mov_b32_e32 v1, 0
	ds_read2_b64 v[6:9], v1 offset0:2 offset1:3
	ds_read2_b64 v[10:13], v1 offset0:4 offset1:5
	;; [unrolled: 1-line block ×4, first 2 shown]
	s_waitcnt lgkmcnt(3)
	v_add_f64 v[2:3], v[2:3], v[6:7]
	v_add_f64 v[4:5], v[4:5], v[8:9]
	s_waitcnt lgkmcnt(2)
	v_add_f64 v[2:3], v[2:3], v[10:11]
	v_add_f64 v[6:7], v[4:5], v[12:13]
	s_waitcnt lgkmcnt(1)
	v_add_f64 v[8:9], v[2:3], v[14:15]
	ds_read2_b64 v[2:5], v1 offset0:10 offset1:11
	v_add_f64 v[10:11], v[6:7], v[16:17]
	s_waitcnt lgkmcnt(1)
	v_add_f64 v[12:13], v[8:9], v[18:19]
	ds_read2_b64 v[6:9], v1 offset0:12 offset1:13
	;; [unrolled: 4-line block ×8, first 2 shown]
	v_add_f64 v[12:13], v[14:15], v[12:13]
	s_waitcnt lgkmcnt(1)
	v_add_f64 v[10:11], v[10:11], v[2:3]
	v_add_f64 v[14:15], v[12:13], v[4:5]
	ds_read2_b64 v[2:5], v1 offset0:26 offset1:27
	s_waitcnt lgkmcnt(1)
	v_add_f64 v[16:17], v[10:11], v[6:7]
	ds_read2_b64 v[10:13], v1 offset0:28 offset1:29
	v_add_f64 v[14:15], v[14:15], v[8:9]
	ds_read2_b64 v[6:9], v1 offset0:30 offset1:31
	s_waitcnt lgkmcnt(2)
	v_add_f64 v[2:3], v[16:17], v[2:3]
	v_add_f64 v[4:5], v[14:15], v[4:5]
	s_waitcnt lgkmcnt(1)
	v_add_f64 v[2:3], v[2:3], v[10:11]
	v_add_f64 v[4:5], v[4:5], v[12:13]
	;; [unrolled: 3-line block ×3, first 2 shown]
	ds_write2_b64 v1, v[2:3], v[4:5] offset1:1
.LBB200_10:
	s_or_b64 exec, exec, s[4:5]
	s_waitcnt lgkmcnt(0)
	s_barrier
	s_and_saveexec_b64 s[4:5], s[0:1]
	s_cbranch_execz .LBB200_13
; %bb.11:
	s_mul_i32 s0, s8, s17
	s_mul_hi_u32 s1, s8, s16
	s_add_i32 s0, s1, s0
	s_mul_i32 s1, s27, s16
	s_add_i32 s1, s0, s1
	s_mul_i32 s0, s8, s16
	s_lshl_b64 s[0:1], s[0:1], 4
	s_add_u32 s0, s14, s0
	s_addc_u32 s1, s15, s1
	s_load_dwordx4 s[12:15], s[0:1], 0x0
	v_mov_b32_e32 v1, 0
	s_add_i32 s0, s25, s24
	ds_read2_b64 v[4:7], v1 offset1:1
	s_add_i32 s7, s0, s26
	s_lshl_b64 s[0:1], s[6:7], 4
	s_lshl_b64 s[4:5], s[10:11], 4
	s_add_u32 s4, s0, s4
	s_addc_u32 s5, s1, s5
	s_lshl_b64 s[0:1], s[2:3], 4
	s_add_u32 s0, s4, s0
	s_waitcnt lgkmcnt(0)
	v_mul_f64 v[2:3], s[14:15], v[6:7]
	s_addc_u32 s1, s5, s1
	v_fma_f64 v[2:3], v[4:5], -s[12:13], -v[2:3]
	v_mul_f64 v[4:5], s[14:15], v[4:5]
	s_add_u32 s0, s18, s0
	v_fma_f64 v[4:5], s[12:13], v[6:7], -v[4:5]
	v_lshlrev_b32_e32 v6, 4, v0
	s_addc_u32 s1, s19, s1
	v_add_u32_e32 v1, 0, v6
	v_mov_b32_e32 v7, s1
	v_add_co_u32_e32 v6, vcc, s0, v6
	v_addc_co_u32_e32 v7, vcc, 0, v7, vcc
	v_add_co_u32_e32 v6, vcc, 8, v6
	v_add_u32_e32 v1, 0x100, v1
	v_addc_co_u32_e32 v7, vcc, 0, v7, vcc
	s_mov_b64 s[0:1], 0
.LBB200_12:                             ; =>This Inner Loop Header: Depth=1
	global_load_dwordx4 v[8:11], v[6:7], off offset:-8
	ds_read2_b64 v[12:15], v1 offset1:1
	v_add_u32_e32 v0, 0x400, v0
	v_cmp_le_i32_e32 vcc, s9, v0
	s_or_b64 s[0:1], vcc, s[0:1]
	v_add_u32_e32 v1, 0x4000, v1
	s_waitcnt lgkmcnt(0)
	v_mul_f64 v[16:17], v[4:5], v[14:15]
	v_mul_f64 v[14:15], v[2:3], v[14:15]
	v_fma_f64 v[16:17], v[2:3], v[12:13], -v[16:17]
	v_fmac_f64_e32 v[14:15], v[4:5], v[12:13]
	s_waitcnt vmcnt(0)
	v_add_f64 v[8:9], v[8:9], v[16:17]
	v_add_f64 v[10:11], v[10:11], v[14:15]
	global_store_dwordx4 v[6:7], v[8:11], off offset:-8
	v_add_co_u32_e32 v6, vcc, 0x4000, v6
	v_addc_co_u32_e32 v7, vcc, 0, v7, vcc
	s_andn2_b64 exec, exec, s[0:1]
	s_cbranch_execnz .LBB200_12
.LBB200_13:
	s_endpgm
	.section	.rodata,"a",@progbits
	.p2align	6, 0x0
	.amdhsa_kernel _ZN9rocsolver6v33100L16larf_left_kernelILi1024E19rocblas_complex_numIdEiPS3_EEvT1_S5_T2_lS5_lPKT0_lS6_lS5_l
		.amdhsa_group_segment_fixed_size 0
		.amdhsa_private_segment_fixed_size 0
		.amdhsa_kernarg_size 88
		.amdhsa_user_sgpr_count 6
		.amdhsa_user_sgpr_private_segment_buffer 1
		.amdhsa_user_sgpr_dispatch_ptr 0
		.amdhsa_user_sgpr_queue_ptr 0
		.amdhsa_user_sgpr_kernarg_segment_ptr 1
		.amdhsa_user_sgpr_dispatch_id 0
		.amdhsa_user_sgpr_flat_scratch_init 0
		.amdhsa_user_sgpr_kernarg_preload_length 0
		.amdhsa_user_sgpr_kernarg_preload_offset 0
		.amdhsa_user_sgpr_private_segment_size 0
		.amdhsa_uses_dynamic_stack 0
		.amdhsa_system_sgpr_private_segment_wavefront_offset 0
		.amdhsa_system_sgpr_workgroup_id_x 1
		.amdhsa_system_sgpr_workgroup_id_y 1
		.amdhsa_system_sgpr_workgroup_id_z 1
		.amdhsa_system_sgpr_workgroup_info 0
		.amdhsa_system_vgpr_workitem_id 0
		.amdhsa_next_free_vgpr 22
		.amdhsa_next_free_sgpr 38
		.amdhsa_accum_offset 24
		.amdhsa_reserve_vcc 1
		.amdhsa_reserve_flat_scratch 0
		.amdhsa_float_round_mode_32 0
		.amdhsa_float_round_mode_16_64 0
		.amdhsa_float_denorm_mode_32 3
		.amdhsa_float_denorm_mode_16_64 3
		.amdhsa_dx10_clamp 1
		.amdhsa_ieee_mode 1
		.amdhsa_fp16_overflow 0
		.amdhsa_tg_split 0
		.amdhsa_exception_fp_ieee_invalid_op 0
		.amdhsa_exception_fp_denorm_src 0
		.amdhsa_exception_fp_ieee_div_zero 0
		.amdhsa_exception_fp_ieee_overflow 0
		.amdhsa_exception_fp_ieee_underflow 0
		.amdhsa_exception_fp_ieee_inexact 0
		.amdhsa_exception_int_div_zero 0
	.end_amdhsa_kernel
	.section	.text._ZN9rocsolver6v33100L16larf_left_kernelILi1024E19rocblas_complex_numIdEiPS3_EEvT1_S5_T2_lS5_lPKT0_lS6_lS5_l,"axG",@progbits,_ZN9rocsolver6v33100L16larf_left_kernelILi1024E19rocblas_complex_numIdEiPS3_EEvT1_S5_T2_lS5_lPKT0_lS6_lS5_l,comdat
.Lfunc_end200:
	.size	_ZN9rocsolver6v33100L16larf_left_kernelILi1024E19rocblas_complex_numIdEiPS3_EEvT1_S5_T2_lS5_lPKT0_lS6_lS5_l, .Lfunc_end200-_ZN9rocsolver6v33100L16larf_left_kernelILi1024E19rocblas_complex_numIdEiPS3_EEvT1_S5_T2_lS5_lPKT0_lS6_lS5_l
                                        ; -- End function
	.section	.AMDGPU.csdata,"",@progbits
; Kernel info:
; codeLenInByte = 1848
; NumSgprs: 42
; NumVgprs: 22
; NumAgprs: 0
; TotalNumVgprs: 22
; ScratchSize: 0
; MemoryBound: 0
; FloatMode: 240
; IeeeMode: 1
; LDSByteSize: 0 bytes/workgroup (compile time only)
; SGPRBlocks: 5
; VGPRBlocks: 2
; NumSGPRsForWavesPerEU: 42
; NumVGPRsForWavesPerEU: 22
; AccumOffset: 24
; Occupancy: 8
; WaveLimiterHint : 0
; COMPUTE_PGM_RSRC2:SCRATCH_EN: 0
; COMPUTE_PGM_RSRC2:USER_SGPR: 6
; COMPUTE_PGM_RSRC2:TRAP_HANDLER: 0
; COMPUTE_PGM_RSRC2:TGID_X_EN: 1
; COMPUTE_PGM_RSRC2:TGID_Y_EN: 1
; COMPUTE_PGM_RSRC2:TGID_Z_EN: 1
; COMPUTE_PGM_RSRC2:TIDIG_COMP_CNT: 0
; COMPUTE_PGM_RSRC3_GFX90A:ACCUM_OFFSET: 5
; COMPUTE_PGM_RSRC3_GFX90A:TG_SPLIT: 0
	.section	.text._ZN9rocsolver6v33100L17larf_right_kernelILi1024E19rocblas_complex_numIdEiPS3_EEvT1_S5_T2_lS5_lPKT0_lS6_lS5_l,"axG",@progbits,_ZN9rocsolver6v33100L17larf_right_kernelILi1024E19rocblas_complex_numIdEiPS3_EEvT1_S5_T2_lS5_lPKT0_lS6_lS5_l,comdat
	.globl	_ZN9rocsolver6v33100L17larf_right_kernelILi1024E19rocblas_complex_numIdEiPS3_EEvT1_S5_T2_lS5_lPKT0_lS6_lS5_l ; -- Begin function _ZN9rocsolver6v33100L17larf_right_kernelILi1024E19rocblas_complex_numIdEiPS3_EEvT1_S5_T2_lS5_lPKT0_lS6_lS5_l
	.p2align	8
	.type	_ZN9rocsolver6v33100L17larf_right_kernelILi1024E19rocblas_complex_numIdEiPS3_EEvT1_S5_T2_lS5_lPKT0_lS6_lS5_l,@function
_ZN9rocsolver6v33100L17larf_right_kernelILi1024E19rocblas_complex_numIdEiPS3_EEvT1_S5_T2_lS5_lPKT0_lS6_lS5_l: ; @_ZN9rocsolver6v33100L17larf_right_kernelILi1024E19rocblas_complex_numIdEiPS3_EEvT1_S5_T2_lS5_lPKT0_lS6_lS5_l
; %bb.0:
	s_load_dword s9, s[4:5], 0x4
	s_load_dwordx8 s[12:19], s[4:5], 0x20
	s_load_dwordx2 s[10:11], s[4:5], 0x40
	s_load_dword s2, s[4:5], 0x48
	s_load_dwordx2 s[0:1], s[4:5], 0x50
	s_ashr_i32 s29, s8, 31
	v_pk_mov_b32 v[2:3], 0, 0
	s_mov_b32 s6, s7
	s_ashr_i32 s7, s7, 31
	s_waitcnt lgkmcnt(0)
	v_cmp_gt_i32_e32 vcc, s9, v0
	s_mov_b64 s[24:25], 0
	v_lshl_add_u32 v1, v0, 4, 0
	s_mul_i32 s26, s0, s29
	s_mul_hi_u32 s27, s0, s8
	s_mul_i32 s28, s1, s8
	s_mul_i32 s20, s0, s8
	v_pk_mov_b32 v[4:5], v[2:3], v[2:3] op_sel:[0,1]
	s_and_saveexec_b64 s[22:23], vcc
	s_cbranch_execz .LBB201_6
; %bb.1:
	s_load_dword s30, s[4:5], 0x18
	s_load_dwordx4 s[36:39], s[4:5], 0x8
	s_sub_i32 s0, 1, s9
	s_mul_hi_u32 s4, s12, s8
	v_add_u32_e32 v8, 0x100, v1
	s_waitcnt lgkmcnt(0)
	s_ashr_i32 s31, s30, 31
	s_mul_i32 s3, s0, s30
	v_cmp_lt_i64_e64 s[0:1], s[30:31], 1
	s_and_b64 s[0:1], s[0:1], exec
	s_cselect_b32 s0, s3, 0
	s_mul_i32 s3, s12, s29
	s_add_i32 s3, s4, s3
	s_mul_i32 s4, s13, s8
	s_ashr_i32 s1, s0, 31
	s_add_i32 s5, s3, s4
	s_mul_i32 s4, s12, s8
	v_mad_i64_i32 v[2:3], s[12:13], s30, v0, 0
	s_lshl_b64 s[4:5], s[4:5], 4
	s_lshl_b64 s[12:13], s[38:39], 4
	;; [unrolled: 1-line block ×3, first 2 shown]
	s_add_u32 s0, s36, s0
	s_addc_u32 s1, s37, s1
	s_add_u32 s0, s0, s12
	s_addc_u32 s1, s1, s13
	s_add_u32 s0, s0, s4
	v_lshlrev_b64 v[2:3], 4, v[2:3]
	s_addc_u32 s1, s1, s5
	v_mov_b32_e32 v4, s1
	v_add_co_u32_e64 v2, s[0:1], s0, v2
	s_lshl_b64 s[4:5], s[30:31], 14
	v_addc_co_u32_e64 v3, s[0:1], v4, v3, s[0:1]
	v_mov_b32_e32 v4, s5
	v_mov_b32_e32 v5, v8
	;; [unrolled: 1-line block ×3, first 2 shown]
.LBB201_2:                              ; =>This Inner Loop Header: Depth=1
	global_load_dwordx4 v[10:13], v[2:3], off
	v_add_co_u32_e64 v2, s[0:1], s4, v2
	v_add_u32_e32 v6, 0x400, v6
	v_addc_co_u32_e64 v3, s[0:1], v3, v4, s[0:1]
	v_cmp_le_i32_e64 s[0:1], s9, v6
	s_or_b64 s[24:25], s[0:1], s[24:25]
	s_waitcnt vmcnt(0)
	ds_write2_b64 v5, v[10:11], v[12:13] offset1:1
	v_add_u32_e32 v5, 0x4000, v5
	s_andn2_b64 exec, exec, s[24:25]
	s_cbranch_execnz .LBB201_2
; %bb.3:
	s_or_b64 exec, exec, s[24:25]
	s_add_i32 s0, s27, s26
	s_add_i32 s21, s0, s28
	v_mad_i64_i32 v[2:3], s[4:5], s2, v0, 0
	s_ashr_i32 s3, s2, 31
	s_lshl_b64 s[0:1], s[20:21], 4
	s_lshl_b64 s[4:5], s[10:11], 4
	s_lshl_b64 s[12:13], s[6:7], 4
	s_add_u32 s12, s18, s12
	s_addc_u32 s13, s19, s13
	s_add_u32 s4, s12, s4
	s_addc_u32 s5, s13, s5
	s_add_u32 s0, s4, s0
	v_lshlrev_b64 v[2:3], 4, v[2:3]
	s_addc_u32 s1, s5, s1
	v_mov_b32_e32 v4, s1
	v_add_co_u32_e64 v2, s[0:1], s0, v2
	v_addc_co_u32_e64 v3, s[0:1], v4, v3, s[0:1]
	v_add_co_u32_e64 v6, s[0:1], 8, v2
	v_addc_co_u32_e64 v7, s[0:1], 0, v3, s[0:1]
	s_lshl_b64 s[12:13], s[2:3], 14
	v_pk_mov_b32 v[2:3], 0, 0
	s_mov_b64 s[4:5], 0
	v_mov_b32_e32 v9, s13
	v_mov_b32_e32 v10, v0
	v_pk_mov_b32 v[4:5], v[2:3], v[2:3] op_sel:[0,1]
.LBB201_4:                              ; =>This Inner Loop Header: Depth=1
	global_load_dwordx4 v[12:15], v[6:7], off offset:-8
	ds_read2_b64 v[16:19], v8 offset1:1
	v_add_co_u32_e64 v6, s[0:1], s12, v6
	v_add_u32_e32 v10, 0x400, v10
	v_addc_co_u32_e64 v7, s[0:1], v7, v9, s[0:1]
	v_cmp_le_i32_e64 s[0:1], s9, v10
	v_add_u32_e32 v8, 0x4000, v8
	s_or_b64 s[4:5], s[0:1], s[4:5]
	s_waitcnt vmcnt(0) lgkmcnt(0)
	v_mul_f64 v[20:21], v[18:19], v[14:15]
	v_mul_f64 v[14:15], v[16:17], v[14:15]
	v_fma_f64 v[16:17], v[16:17], v[12:13], -v[20:21]
	v_fmac_f64_e32 v[14:15], v[18:19], v[12:13]
	v_add_f64 v[4:5], v[4:5], v[16:17]
	v_add_f64 v[2:3], v[2:3], v[14:15]
	s_andn2_b64 exec, exec, s[4:5]
	s_cbranch_execnz .LBB201_4
; %bb.5:
	s_or_b64 exec, exec, s[4:5]
.LBB201_6:
	s_or_b64 exec, exec, s[22:23]
	v_mbcnt_lo_u32_b32 v6, -1, 0
	v_mbcnt_hi_u32_b32 v10, -1, v6
	v_and_b32_e32 v11, 63, v10
	v_cmp_ne_u32_e64 s[0:1], 63, v11
	v_addc_co_u32_e64 v6, s[0:1], 0, v10, s[0:1]
	v_lshlrev_b32_e32 v9, 2, v6
	ds_bpermute_b32 v6, v9, v4
	ds_bpermute_b32 v7, v9, v5
	ds_bpermute_b32 v8, v9, v2
	ds_bpermute_b32 v9, v9, v3
	v_cmp_gt_u32_e64 s[0:1], 62, v11
	s_waitcnt lgkmcnt(2)
	v_add_f64 v[4:5], v[4:5], v[6:7]
	v_cndmask_b32_e64 v6, 0, 1, s[0:1]
	v_lshlrev_b32_e32 v6, 1, v6
	s_waitcnt lgkmcnt(0)
	v_add_f64 v[2:3], v[2:3], v[8:9]
	v_add_lshl_u32 v9, v6, v10, 2
	ds_bpermute_b32 v6, v9, v4
	ds_bpermute_b32 v7, v9, v5
	ds_bpermute_b32 v8, v9, v2
	ds_bpermute_b32 v9, v9, v3
	v_cmp_gt_u32_e64 s[0:1], 60, v11
	s_waitcnt lgkmcnt(2)
	v_add_f64 v[4:5], v[4:5], v[6:7]
	v_cndmask_b32_e64 v6, 0, 1, s[0:1]
	v_lshlrev_b32_e32 v6, 2, v6
	s_waitcnt lgkmcnt(0)
	v_add_f64 v[2:3], v[2:3], v[8:9]
	v_add_lshl_u32 v9, v6, v10, 2
	;; [unrolled: 12-line block ×4, first 2 shown]
	ds_bpermute_b32 v6, v9, v4
	ds_bpermute_b32 v7, v9, v5
	ds_bpermute_b32 v8, v9, v2
	ds_bpermute_b32 v9, v9, v3
	v_cmp_gt_u32_e64 s[0:1], 32, v11
	s_waitcnt lgkmcnt(2)
	v_add_f64 v[4:5], v[4:5], v[6:7]
	s_waitcnt lgkmcnt(0)
	v_add_f64 v[6:7], v[2:3], v[8:9]
	v_cndmask_b32_e64 v2, 0, 1, s[0:1]
	v_lshlrev_b32_e32 v2, 5, v2
	v_add_lshl_u32 v9, v2, v10, 2
	ds_bpermute_b32 v2, v9, v4
	ds_bpermute_b32 v3, v9, v5
	;; [unrolled: 1-line block ×4, first 2 shown]
	s_waitcnt lgkmcnt(2)
	v_add_f64 v[2:3], v[4:5], v[2:3]
	s_waitcnt lgkmcnt(0)
	v_add_f64 v[4:5], v[6:7], v[8:9]
	v_and_b32_e32 v6, 63, v0
	v_cmp_eq_u32_e64 s[0:1], 0, v6
	s_and_saveexec_b64 s[4:5], s[0:1]
	s_cbranch_execz .LBB201_8
; %bb.7:
	v_lshrrev_b32_e32 v6, 2, v0
	v_add_u32_e32 v6, 0, v6
	ds_write2_b64 v6, v[2:3], v[4:5] offset1:1
.LBB201_8:
	s_or_b64 exec, exec, s[4:5]
	v_cmp_eq_u32_e64 s[0:1], 0, v0
	s_waitcnt lgkmcnt(0)
	s_barrier
	s_and_saveexec_b64 s[4:5], s[0:1]
	s_cbranch_execz .LBB201_10
; %bb.9:
	v_mov_b32_e32 v22, 0
	ds_read2_b64 v[6:9], v22 offset0:2 offset1:3
	ds_read2_b64 v[10:13], v22 offset0:4 offset1:5
	;; [unrolled: 1-line block ×4, first 2 shown]
	s_waitcnt lgkmcnt(3)
	v_add_f64 v[2:3], v[2:3], v[6:7]
	v_add_f64 v[4:5], v[4:5], v[8:9]
	s_waitcnt lgkmcnt(2)
	v_add_f64 v[2:3], v[2:3], v[10:11]
	v_add_f64 v[6:7], v[4:5], v[12:13]
	s_waitcnt lgkmcnt(1)
	v_add_f64 v[8:9], v[2:3], v[14:15]
	ds_read2_b64 v[2:5], v22 offset0:10 offset1:11
	v_add_f64 v[10:11], v[6:7], v[16:17]
	s_waitcnt lgkmcnt(1)
	v_add_f64 v[12:13], v[8:9], v[18:19]
	ds_read2_b64 v[6:9], v22 offset0:12 offset1:13
	;; [unrolled: 4-line block ×8, first 2 shown]
	v_add_f64 v[12:13], v[14:15], v[12:13]
	s_waitcnt lgkmcnt(1)
	v_add_f64 v[10:11], v[10:11], v[2:3]
	v_add_f64 v[14:15], v[12:13], v[4:5]
	ds_read2_b64 v[2:5], v22 offset0:26 offset1:27
	s_waitcnt lgkmcnt(1)
	v_add_f64 v[16:17], v[10:11], v[6:7]
	ds_read2_b64 v[10:13], v22 offset0:28 offset1:29
	v_add_f64 v[14:15], v[14:15], v[8:9]
	ds_read2_b64 v[6:9], v22 offset0:30 offset1:31
	s_waitcnt lgkmcnt(2)
	v_add_f64 v[2:3], v[16:17], v[2:3]
	v_add_f64 v[4:5], v[14:15], v[4:5]
	s_waitcnt lgkmcnt(1)
	v_add_f64 v[2:3], v[2:3], v[10:11]
	v_add_f64 v[4:5], v[4:5], v[12:13]
	;; [unrolled: 3-line block ×3, first 2 shown]
	ds_write2_b64 v22, v[2:3], v[4:5] offset1:1
.LBB201_10:
	s_or_b64 exec, exec, s[4:5]
	s_waitcnt lgkmcnt(0)
	s_barrier
	s_and_saveexec_b64 s[0:1], vcc
	s_cbranch_execz .LBB201_13
; %bb.11:
	s_mul_i32 s0, s8, s17
	s_mul_hi_u32 s1, s8, s16
	s_add_i32 s0, s1, s0
	s_mul_i32 s1, s29, s16
	s_add_i32 s1, s0, s1
	s_mul_i32 s0, s8, s16
	s_lshl_b64 s[0:1], s[0:1], 4
	s_add_u32 s0, s14, s0
	s_addc_u32 s1, s15, s1
	v_mov_b32_e32 v2, 0
	s_load_dwordx4 s[12:15], s[0:1], 0x0
	ds_read2_b64 v[4:7], v2 offset1:1
	s_add_i32 s0, s27, s26
	s_add_i32 s21, s0, s28
	s_ashr_i32 s3, s2, 31
	s_lshl_b64 s[0:1], s[20:21], 4
	s_waitcnt lgkmcnt(0)
	v_mul_f64 v[2:3], s[12:13], v[4:5]
	v_fma_f64 v[2:3], s[14:15], v[6:7], -v[2:3]
	v_mul_f64 v[6:7], s[12:13], v[6:7]
	v_fma_f64 v[4:5], v[4:5], -s[14:15], -v[6:7]
	v_mad_i64_i32 v[6:7], s[4:5], s2, v0, 0
	s_lshl_b64 s[4:5], s[10:11], 4
	s_lshl_b64 s[6:7], s[6:7], 4
	s_add_u32 s6, s18, s6
	s_addc_u32 s7, s19, s7
	s_add_u32 s4, s6, s4
	s_addc_u32 s5, s7, s5
	s_add_u32 s0, s4, s0
	v_lshlrev_b64 v[6:7], 4, v[6:7]
	s_addc_u32 s1, s5, s1
	v_mov_b32_e32 v8, s1
	v_add_co_u32_e32 v6, vcc, s0, v6
	v_addc_co_u32_e32 v7, vcc, v8, v7, vcc
	v_add_co_u32_e32 v6, vcc, 8, v6
	s_lshl_b64 s[0:1], s[2:3], 14
	v_add_u32_e32 v1, 0x100, v1
	v_addc_co_u32_e32 v7, vcc, 0, v7, vcc
	s_mov_b64 s[2:3], 0
	v_mov_b32_e32 v8, s1
.LBB201_12:                             ; =>This Inner Loop Header: Depth=1
	global_load_dwordx4 v[10:13], v[6:7], off offset:-8
	ds_read2_b64 v[14:17], v1 offset1:1
	v_add_u32_e32 v0, 0x400, v0
	v_cmp_le_i32_e32 vcc, s9, v0
	s_or_b64 s[2:3], vcc, s[2:3]
	v_add_u32_e32 v1, 0x4000, v1
	s_waitcnt lgkmcnt(0)
	v_mul_f64 v[18:19], v[4:5], v[16:17]
	v_mul_f64 v[16:17], v[2:3], v[16:17]
	v_fmac_f64_e32 v[18:19], v[2:3], v[14:15]
	v_fma_f64 v[14:15], v[4:5], v[14:15], -v[16:17]
	s_waitcnt vmcnt(0)
	v_add_f64 v[10:11], v[10:11], v[18:19]
	v_add_f64 v[12:13], v[12:13], v[14:15]
	global_store_dwordx4 v[6:7], v[10:13], off offset:-8
	v_add_co_u32_e32 v6, vcc, s0, v6
	v_addc_co_u32_e32 v7, vcc, v7, v8, vcc
	s_andn2_b64 exec, exec, s[2:3]
	s_cbranch_execnz .LBB201_12
.LBB201_13:
	s_endpgm
	.section	.rodata,"a",@progbits
	.p2align	6, 0x0
	.amdhsa_kernel _ZN9rocsolver6v33100L17larf_right_kernelILi1024E19rocblas_complex_numIdEiPS3_EEvT1_S5_T2_lS5_lPKT0_lS6_lS5_l
		.amdhsa_group_segment_fixed_size 0
		.amdhsa_private_segment_fixed_size 0
		.amdhsa_kernarg_size 88
		.amdhsa_user_sgpr_count 6
		.amdhsa_user_sgpr_private_segment_buffer 1
		.amdhsa_user_sgpr_dispatch_ptr 0
		.amdhsa_user_sgpr_queue_ptr 0
		.amdhsa_user_sgpr_kernarg_segment_ptr 1
		.amdhsa_user_sgpr_dispatch_id 0
		.amdhsa_user_sgpr_flat_scratch_init 0
		.amdhsa_user_sgpr_kernarg_preload_length 0
		.amdhsa_user_sgpr_kernarg_preload_offset 0
		.amdhsa_user_sgpr_private_segment_size 0
		.amdhsa_uses_dynamic_stack 0
		.amdhsa_system_sgpr_private_segment_wavefront_offset 0
		.amdhsa_system_sgpr_workgroup_id_x 1
		.amdhsa_system_sgpr_workgroup_id_y 1
		.amdhsa_system_sgpr_workgroup_id_z 1
		.amdhsa_system_sgpr_workgroup_info 0
		.amdhsa_system_vgpr_workitem_id 0
		.amdhsa_next_free_vgpr 23
		.amdhsa_next_free_sgpr 40
		.amdhsa_accum_offset 24
		.amdhsa_reserve_vcc 1
		.amdhsa_reserve_flat_scratch 0
		.amdhsa_float_round_mode_32 0
		.amdhsa_float_round_mode_16_64 0
		.amdhsa_float_denorm_mode_32 3
		.amdhsa_float_denorm_mode_16_64 3
		.amdhsa_dx10_clamp 1
		.amdhsa_ieee_mode 1
		.amdhsa_fp16_overflow 0
		.amdhsa_tg_split 0
		.amdhsa_exception_fp_ieee_invalid_op 0
		.amdhsa_exception_fp_denorm_src 0
		.amdhsa_exception_fp_ieee_div_zero 0
		.amdhsa_exception_fp_ieee_overflow 0
		.amdhsa_exception_fp_ieee_underflow 0
		.amdhsa_exception_fp_ieee_inexact 0
		.amdhsa_exception_int_div_zero 0
	.end_amdhsa_kernel
	.section	.text._ZN9rocsolver6v33100L17larf_right_kernelILi1024E19rocblas_complex_numIdEiPS3_EEvT1_S5_T2_lS5_lPKT0_lS6_lS5_l,"axG",@progbits,_ZN9rocsolver6v33100L17larf_right_kernelILi1024E19rocblas_complex_numIdEiPS3_EEvT1_S5_T2_lS5_lPKT0_lS6_lS5_l,comdat
.Lfunc_end201:
	.size	_ZN9rocsolver6v33100L17larf_right_kernelILi1024E19rocblas_complex_numIdEiPS3_EEvT1_S5_T2_lS5_lPKT0_lS6_lS5_l, .Lfunc_end201-_ZN9rocsolver6v33100L17larf_right_kernelILi1024E19rocblas_complex_numIdEiPS3_EEvT1_S5_T2_lS5_lPKT0_lS6_lS5_l
                                        ; -- End function
	.section	.AMDGPU.csdata,"",@progbits
; Kernel info:
; codeLenInByte = 1964
; NumSgprs: 44
; NumVgprs: 23
; NumAgprs: 0
; TotalNumVgprs: 23
; ScratchSize: 0
; MemoryBound: 0
; FloatMode: 240
; IeeeMode: 1
; LDSByteSize: 0 bytes/workgroup (compile time only)
; SGPRBlocks: 5
; VGPRBlocks: 2
; NumSGPRsForWavesPerEU: 44
; NumVGPRsForWavesPerEU: 23
; AccumOffset: 24
; Occupancy: 8
; WaveLimiterHint : 0
; COMPUTE_PGM_RSRC2:SCRATCH_EN: 0
; COMPUTE_PGM_RSRC2:USER_SGPR: 6
; COMPUTE_PGM_RSRC2:TRAP_HANDLER: 0
; COMPUTE_PGM_RSRC2:TGID_X_EN: 1
; COMPUTE_PGM_RSRC2:TGID_Y_EN: 1
; COMPUTE_PGM_RSRC2:TGID_Z_EN: 1
; COMPUTE_PGM_RSRC2:TIDIG_COMP_CNT: 0
; COMPUTE_PGM_RSRC3_GFX90A:ACCUM_OFFSET: 5
; COMPUTE_PGM_RSRC3_GFX90A:TG_SPLIT: 0
	.section	.text._ZN9rocsolver6v33100L12restore_diagI19rocblas_complex_numIdEiS3_PS3_EEvPT1_llT2_lT0_lS8_,"axG",@progbits,_ZN9rocsolver6v33100L12restore_diagI19rocblas_complex_numIdEiS3_PS3_EEvPT1_llT2_lT0_lS8_,comdat
	.globl	_ZN9rocsolver6v33100L12restore_diagI19rocblas_complex_numIdEiS3_PS3_EEvPT1_llT2_lT0_lS8_ ; -- Begin function _ZN9rocsolver6v33100L12restore_diagI19rocblas_complex_numIdEiS3_PS3_EEvPT1_llT2_lT0_lS8_
	.p2align	8
	.type	_ZN9rocsolver6v33100L12restore_diagI19rocblas_complex_numIdEiS3_PS3_EEvPT1_llT2_lT0_lS8_,@function
_ZN9rocsolver6v33100L12restore_diagI19rocblas_complex_numIdEiS3_PS3_EEvPT1_llT2_lT0_lS8_: ; @_ZN9rocsolver6v33100L12restore_diagI19rocblas_complex_numIdEiS3_PS3_EEvPT1_llT2_lT0_lS8_
; %bb.0:
	s_load_dword s0, s[4:5], 0x4c
	s_load_dword s1, s[4:5], 0x38
	v_bfe_u32 v0, v0, 10, 10
	s_waitcnt lgkmcnt(0)
	s_lshr_b32 s0, s0, 16
	s_mul_i32 s7, s7, s0
	v_add_u32_e32 v0, s7, v0
	v_cmp_gt_i32_e32 vcc, s1, v0
	s_and_saveexec_b64 s[0:1], vcc
	s_cbranch_execz .LBB202_2
; %bb.1:
	s_load_dwordx2 s[0:1], s[4:5], 0x30
	s_load_dwordx2 s[2:3], s[4:5], 0x20
	s_load_dword s7, s[4:5], 0x28
	s_load_dwordx8 s[8:15], s[4:5], 0x0
	s_ashr_i32 s4, s6, 31
	s_waitcnt lgkmcnt(0)
	s_mul_i32 s1, s6, s1
	s_mul_hi_u32 s5, s6, s0
	s_add_i32 s1, s5, s1
	s_mul_i32 s5, s4, s0
	s_add_i32 s1, s1, s5
	s_mul_i32 s0, s6, s0
	s_lshl_b64 s[0:1], s[0:1], 4
	s_add_u32 s5, s14, s0
	s_addc_u32 s14, s15, s1
	s_lshl_b64 s[0:1], s[2:3], 4
	s_add_u32 s2, s5, s0
	s_addc_u32 s3, s14, s1
	s_mul_i32 s0, s6, s13
	s_mul_hi_u32 s1, s6, s12
	s_add_i32 s0, s1, s0
	s_mul_i32 s4, s4, s12
	s_add_i32 s1, s0, s4
	s_mul_i32 s0, s6, s12
	s_lshl_b64 s[0:1], s[0:1], 4
	s_add_u32 s4, s8, s0
	s_addc_u32 s5, s9, s1
	s_lshl_b64 s[0:1], s[10:11], 4
	s_add_u32 s4, s4, s0
	s_addc_u32 s5, s5, s1
	v_mad_u64_u32 v[4:5], s[0:1], v0, s7, v[0:1]
	v_ashrrev_i32_e32 v1, 31, v0
	v_lshlrev_b64 v[0:1], 4, v[0:1]
	v_mov_b32_e32 v2, s5
	v_add_co_u32_e32 v0, vcc, s4, v0
	v_addc_co_u32_e32 v1, vcc, v2, v1, vcc
	global_load_dwordx4 v[0:3], v[0:1], off
	v_ashrrev_i32_e32 v5, 31, v4
	v_lshlrev_b64 v[4:5], 4, v[4:5]
	v_mov_b32_e32 v6, s3
	v_add_co_u32_e32 v4, vcc, s2, v4
	v_addc_co_u32_e32 v5, vcc, v6, v5, vcc
	s_waitcnt vmcnt(0)
	global_store_dwordx4 v[4:5], v[0:3], off
.LBB202_2:
	s_endpgm
	.section	.rodata,"a",@progbits
	.p2align	6, 0x0
	.amdhsa_kernel _ZN9rocsolver6v33100L12restore_diagI19rocblas_complex_numIdEiS3_PS3_EEvPT1_llT2_lT0_lS8_
		.amdhsa_group_segment_fixed_size 0
		.amdhsa_private_segment_fixed_size 0
		.amdhsa_kernarg_size 320
		.amdhsa_user_sgpr_count 6
		.amdhsa_user_sgpr_private_segment_buffer 1
		.amdhsa_user_sgpr_dispatch_ptr 0
		.amdhsa_user_sgpr_queue_ptr 0
		.amdhsa_user_sgpr_kernarg_segment_ptr 1
		.amdhsa_user_sgpr_dispatch_id 0
		.amdhsa_user_sgpr_flat_scratch_init 0
		.amdhsa_user_sgpr_kernarg_preload_length 0
		.amdhsa_user_sgpr_kernarg_preload_offset 0
		.amdhsa_user_sgpr_private_segment_size 0
		.amdhsa_uses_dynamic_stack 0
		.amdhsa_system_sgpr_private_segment_wavefront_offset 0
		.amdhsa_system_sgpr_workgroup_id_x 1
		.amdhsa_system_sgpr_workgroup_id_y 1
		.amdhsa_system_sgpr_workgroup_id_z 0
		.amdhsa_system_sgpr_workgroup_info 0
		.amdhsa_system_vgpr_workitem_id 1
		.amdhsa_next_free_vgpr 7
		.amdhsa_next_free_sgpr 16
		.amdhsa_accum_offset 8
		.amdhsa_reserve_vcc 1
		.amdhsa_reserve_flat_scratch 0
		.amdhsa_float_round_mode_32 0
		.amdhsa_float_round_mode_16_64 0
		.amdhsa_float_denorm_mode_32 3
		.amdhsa_float_denorm_mode_16_64 3
		.amdhsa_dx10_clamp 1
		.amdhsa_ieee_mode 1
		.amdhsa_fp16_overflow 0
		.amdhsa_tg_split 0
		.amdhsa_exception_fp_ieee_invalid_op 0
		.amdhsa_exception_fp_denorm_src 0
		.amdhsa_exception_fp_ieee_div_zero 0
		.amdhsa_exception_fp_ieee_overflow 0
		.amdhsa_exception_fp_ieee_underflow 0
		.amdhsa_exception_fp_ieee_inexact 0
		.amdhsa_exception_int_div_zero 0
	.end_amdhsa_kernel
	.section	.text._ZN9rocsolver6v33100L12restore_diagI19rocblas_complex_numIdEiS3_PS3_EEvPT1_llT2_lT0_lS8_,"axG",@progbits,_ZN9rocsolver6v33100L12restore_diagI19rocblas_complex_numIdEiS3_PS3_EEvPT1_llT2_lT0_lS8_,comdat
.Lfunc_end202:
	.size	_ZN9rocsolver6v33100L12restore_diagI19rocblas_complex_numIdEiS3_PS3_EEvPT1_llT2_lT0_lS8_, .Lfunc_end202-_ZN9rocsolver6v33100L12restore_diagI19rocblas_complex_numIdEiS3_PS3_EEvPT1_llT2_lT0_lS8_
                                        ; -- End function
	.section	.AMDGPU.csdata,"",@progbits
; Kernel info:
; codeLenInByte = 268
; NumSgprs: 20
; NumVgprs: 7
; NumAgprs: 0
; TotalNumVgprs: 7
; ScratchSize: 0
; MemoryBound: 0
; FloatMode: 240
; IeeeMode: 1
; LDSByteSize: 0 bytes/workgroup (compile time only)
; SGPRBlocks: 2
; VGPRBlocks: 0
; NumSGPRsForWavesPerEU: 20
; NumVGPRsForWavesPerEU: 7
; AccumOffset: 8
; Occupancy: 8
; WaveLimiterHint : 0
; COMPUTE_PGM_RSRC2:SCRATCH_EN: 0
; COMPUTE_PGM_RSRC2:USER_SGPR: 6
; COMPUTE_PGM_RSRC2:TRAP_HANDLER: 0
; COMPUTE_PGM_RSRC2:TGID_X_EN: 1
; COMPUTE_PGM_RSRC2:TGID_Y_EN: 1
; COMPUTE_PGM_RSRC2:TGID_Z_EN: 0
; COMPUTE_PGM_RSRC2:TIDIG_COMP_CNT: 1
; COMPUTE_PGM_RSRC3_GFX90A:ACCUM_OFFSET: 1
; COMPUTE_PGM_RSRC3_GFX90A:TG_SPLIT: 0
	.section	.text._ZN9rocsolver6v33100L14set_triangularI19rocblas_complex_numIdEPS3_TnNSt9enable_ifIX18rocblas_is_complexIT_EEiE4typeELi0EEEviiT0_iilPS6_lSA_il15rocblas_direct_15rocblas_storev_b,"axG",@progbits,_ZN9rocsolver6v33100L14set_triangularI19rocblas_complex_numIdEPS3_TnNSt9enable_ifIX18rocblas_is_complexIT_EEiE4typeELi0EEEviiT0_iilPS6_lSA_il15rocblas_direct_15rocblas_storev_b,comdat
	.globl	_ZN9rocsolver6v33100L14set_triangularI19rocblas_complex_numIdEPS3_TnNSt9enable_ifIX18rocblas_is_complexIT_EEiE4typeELi0EEEviiT0_iilPS6_lSA_il15rocblas_direct_15rocblas_storev_b ; -- Begin function _ZN9rocsolver6v33100L14set_triangularI19rocblas_complex_numIdEPS3_TnNSt9enable_ifIX18rocblas_is_complexIT_EEiE4typeELi0EEEviiT0_iilPS6_lSA_il15rocblas_direct_15rocblas_storev_b
	.p2align	8
	.type	_ZN9rocsolver6v33100L14set_triangularI19rocblas_complex_numIdEPS3_TnNSt9enable_ifIX18rocblas_is_complexIT_EEiE4typeELi0EEEviiT0_iilPS6_lSA_il15rocblas_direct_15rocblas_storev_b,@function
_ZN9rocsolver6v33100L14set_triangularI19rocblas_complex_numIdEPS3_TnNSt9enable_ifIX18rocblas_is_complexIT_EEiE4typeELi0EEEviiT0_iilPS6_lSA_il15rocblas_direct_15rocblas_storev_b: ; @_ZN9rocsolver6v33100L14set_triangularI19rocblas_complex_numIdEPS3_TnNSt9enable_ifIX18rocblas_is_complexIT_EEiE4typeELi0EEEviiT0_iilPS6_lSA_il15rocblas_direct_15rocblas_storev_b
; %bb.0:
	s_load_dword s0, s[4:5], 0x64
	s_load_dwordx2 s[20:21], s[4:5], 0x0
	v_and_b32_e32 v1, 0x3ff, v0
	v_bfe_u32 v0, v0, 10, 10
	s_waitcnt lgkmcnt(0)
	s_lshr_b32 s1, s0, 16
	s_and_b32 s0, s0, 0xffff
	s_mul_i32 s6, s6, s0
	s_mul_i32 s7, s7, s1
	v_add_u32_e32 v6, s6, v1
	v_add_u32_e32 v0, s7, v0
	v_max_u32_e32 v1, v6, v0
	v_cmp_gt_u32_e32 vcc, s21, v1
	s_and_saveexec_b64 s[0:1], vcc
	s_cbranch_execz .LBB203_36
; %bb.1:
	s_load_dwordx8 s[12:19], s[4:5], 0x18
	s_load_dword s22, s[4:5], 0x38
	s_load_dwordx2 s[0:1], s[4:5], 0x40
	v_cmp_ne_u32_e32 vcc, v0, v6
	s_waitcnt lgkmcnt(0)
	s_mul_i32 s3, s8, s17
	s_mul_hi_u32 s6, s8, s16
	s_mul_i32 s2, s8, s16
	s_add_i32 s3, s6, s3
	s_lshl_b64 s[2:3], s[2:3], 4
	s_add_u32 s16, s14, s2
	s_mul_i32 s1, s8, s1
	s_mul_hi_u32 s2, s8, s0
	s_addc_u32 s17, s15, s3
	s_add_i32 s1, s2, s1
	s_mul_i32 s0, s8, s0
	s_lshl_b64 s[0:1], s[0:1], 4
	s_add_u32 s14, s18, s0
	s_addc_u32 s15, s19, s1
	s_and_saveexec_b64 s[0:1], vcc
	s_xor_b64 s[10:11], exec, s[0:1]
	s_cbranch_execz .LBB203_34
; %bb.2:
	s_load_dwordx4 s[0:3], s[4:5], 0x8
	s_mul_i32 s9, s8, s13
	s_mul_hi_u32 s13, s8, s12
	s_add_i32 s9, s13, s9
	s_mul_i32 s8, s8, s12
	s_load_dwordx4 s[4:7], s[4:5], 0x48
	s_waitcnt lgkmcnt(0)
	s_ashr_i32 s19, s2, 31
	s_lshl_b64 s[8:9], s[8:9], 4
	s_mov_b32 s18, s2
	s_add_u32 s2, s0, s8
	s_addc_u32 s7, s1, s9
	s_lshl_b64 s[0:1], s[18:19], 4
	s_add_u32 s2, s2, s0
	s_addc_u32 s12, s7, s1
	s_bitcmp1_b32 s6, 0
	s_cselect_b64 s[0:1], -1, 0
	s_xor_b64 s[0:1], s[0:1], -1
	s_mov_b64 s[6:7], -1
	s_cmpk_lg_i32 s4, 0xab
	v_mov_b32_e32 v7, 0
	s_cbranch_scc0 .LBB203_18
; %bb.3:
	v_cmp_le_u32_e32 vcc, v0, v6
	s_and_saveexec_b64 s[6:7], vcc
	s_xor_b64 s[6:7], exec, s[6:7]
	s_cbranch_execz .LBB203_5
; %bb.4:
	v_mad_u64_u32 v[2:3], s[8:9], v6, s22, 0
	s_ashr_i32 s4, s22, 31
	v_mov_b32_e32 v4, v3
	v_mad_u64_u32 v[4:5], s[8:9], v6, s4, v[4:5]
	v_mov_b32_e32 v3, v4
	v_lshlrev_b64 v[2:3], 4, v[2:3]
	v_mov_b32_e32 v1, 0
	v_mov_b32_e32 v4, s15
	v_add_co_u32_e32 v5, vcc, s14, v2
	v_addc_co_u32_e32 v4, vcc, v4, v3, vcc
	v_lshlrev_b64 v[2:3], 4, v[0:1]
	v_add_co_u32_e32 v8, vcc, v5, v2
	v_addc_co_u32_e32 v9, vcc, v4, v3, vcc
	v_mov_b32_e32 v2, v1
	v_mov_b32_e32 v3, v1
	;; [unrolled: 1-line block ×4, first 2 shown]
	global_store_dwordx4 v[8:9], v[2:5], off
.LBB203_5:
	s_andn2_saveexec_b64 s[6:7], s[6:7]
	s_cbranch_execz .LBB203_17
; %bb.6:
	v_lshlrev_b64 v[2:3], 4, v[6:7]
	v_mov_b32_e32 v1, s17
	v_add_co_u32_e32 v2, vcc, s16, v2
	v_addc_co_u32_e32 v3, vcc, v1, v3, vcc
	global_load_dwordx4 v[2:5], v[2:3], off
	s_cmpk_lg_i32 s5, 0xb5
	s_mov_b64 s[8:9], -1
	s_cbranch_scc0 .LBB203_12
; %bb.7:
	v_mov_b32_e32 v1, 0
	s_andn2_b64 vcc, exec, s[0:1]
	v_lshlrev_b64 v[8:9], 4, v[0:1]
	s_cbranch_vccnz .LBB203_9
; %bb.8:
	s_sub_i32 s4, s20, s21
	v_add_u32_e32 v1, s4, v6
	v_mad_u64_u32 v[10:11], s[8:9], v1, s3, 0
	s_ashr_i32 s4, s3, 31
	v_mov_b32_e32 v12, v11
	v_mad_u64_u32 v[12:13], s[8:9], v1, s4, v[12:13]
	v_mov_b32_e32 v11, v12
	v_lshlrev_b64 v[10:11], 4, v[10:11]
	v_mov_b32_e32 v1, s12
	v_add_co_u32_e32 v10, vcc, s2, v10
	v_addc_co_u32_e32 v1, vcc, v1, v11, vcc
	v_add_co_u32_e32 v10, vcc, v10, v8
	v_addc_co_u32_e32 v11, vcc, v1, v9, vcc
	global_load_dwordx4 v[10:13], v[10:11], off
	v_mad_u64_u32 v[14:15], s[8:9], v6, s22, 0
	s_ashr_i32 s4, s22, 31
	v_mov_b32_e32 v16, v15
	v_mad_u64_u32 v[16:17], s[8:9], v6, s4, v[16:17]
	v_mov_b32_e32 v15, v16
	v_lshlrev_b64 v[14:15], 4, v[14:15]
	v_mov_b32_e32 v1, s15
	v_add_co_u32_e32 v14, vcc, s14, v14
	v_addc_co_u32_e32 v1, vcc, v1, v15, vcc
	v_add_co_u32_e32 v16, vcc, v14, v8
	v_addc_co_u32_e32 v17, vcc, v1, v9, vcc
	s_mov_b64 s[8:9], 0
	s_waitcnt vmcnt(0)
	v_mul_f64 v[14:15], v[2:3], v[10:11]
	v_mul_f64 v[18:19], v[2:3], v[12:13]
	v_fma_f64 v[12:13], v[4:5], v[12:13], -v[14:15]
	v_fma_f64 v[14:15], v[10:11], -v[4:5], -v[18:19]
	global_store_dwordx4 v[16:17], v[12:15], off
.LBB203_9:
	s_andn2_b64 vcc, exec, s[8:9]
	s_cbranch_vccnz .LBB203_11
; %bb.10:
	v_mad_u64_u32 v[10:11], s[8:9], v6, s22, 0
	s_ashr_i32 s4, s22, 31
	v_mov_b32_e32 v12, v11
	v_mad_u64_u32 v[12:13], s[8:9], v6, s4, v[12:13]
	v_mov_b32_e32 v11, v12
	v_lshlrev_b64 v[10:11], 4, v[10:11]
	v_mov_b32_e32 v1, s15
	v_add_co_u32_e32 v10, vcc, s14, v10
	v_addc_co_u32_e32 v1, vcc, v1, v11, vcc
	v_add_co_u32_e32 v16, vcc, v10, v8
	s_sub_i32 s4, s20, s21
	v_addc_co_u32_e32 v17, vcc, v1, v9, vcc
	v_add_u32_e32 v1, s4, v6
	v_mad_u64_u32 v[10:11], s[8:9], v1, s3, 0
	s_ashr_i32 s4, s3, 31
	v_mov_b32_e32 v12, v11
	v_mad_u64_u32 v[12:13], s[8:9], v1, s4, v[12:13]
	v_mov_b32_e32 v11, v12
	v_lshlrev_b64 v[10:11], 4, v[10:11]
	v_mov_b32_e32 v1, s12
	v_add_co_u32_e32 v10, vcc, s2, v10
	v_addc_co_u32_e32 v1, vcc, v1, v11, vcc
	v_add_co_u32_e32 v18, vcc, v10, v8
	v_addc_co_u32_e32 v19, vcc, v1, v9, vcc
	global_load_dwordx4 v[8:11], v[16:17], off
	global_load_dwordx4 v[12:15], v[18:19], off
	s_waitcnt vmcnt(0)
	v_add_f64 v[12:13], v[12:13], v[8:9]
	v_add_f64 v[8:9], v[14:15], v[10:11]
	v_mul_f64 v[10:11], v[2:3], v[12:13]
	v_mul_f64 v[14:15], v[2:3], v[8:9]
	v_fma_f64 v[8:9], v[4:5], v[8:9], -v[10:11]
	v_fma_f64 v[10:11], v[12:13], -v[4:5], -v[14:15]
	global_store_dwordx4 v[16:17], v[8:11], off
.LBB203_11:
	s_mov_b64 s[8:9], 0
.LBB203_12:
	s_andn2_b64 vcc, exec, s[8:9]
	s_cbranch_vccnz .LBB203_17
; %bb.13:
	s_andn2_b64 vcc, exec, s[0:1]
	s_mov_b64 s[8:9], -1
	s_cbranch_vccnz .LBB203_15
; %bb.14:
	s_sub_i32 s4, s20, s21
	v_mad_u64_u32 v[8:9], s[8:9], v0, s3, 0
	v_add_u32_e32 v12, s4, v6
	s_ashr_i32 s4, s3, 31
	v_mov_b32_e32 v10, v9
	v_mad_u64_u32 v[10:11], s[8:9], v0, s4, v[10:11]
	v_mov_b32_e32 v9, v10
	v_lshlrev_b64 v[8:9], 4, v[8:9]
	v_mov_b32_e32 v13, 0
	v_mov_b32_e32 v1, s12
	v_add_co_u32_e32 v10, vcc, s2, v8
	v_addc_co_u32_e32 v1, vcc, v1, v9, vcc
	v_lshlrev_b64 v[8:9], 4, v[12:13]
	v_add_co_u32_e32 v8, vcc, v10, v8
	v_addc_co_u32_e32 v9, vcc, v1, v9, vcc
	global_load_dwordx4 v[8:11], v[8:9], off
	v_mad_u64_u32 v[14:15], s[8:9], v6, s22, 0
	s_ashr_i32 s4, s22, 31
	v_mov_b32_e32 v12, v15
	v_mov_b32_e32 v1, v13
	v_mad_u64_u32 v[12:13], s[8:9], v6, s4, v[12:13]
	v_mov_b32_e32 v15, v12
	v_lshlrev_b64 v[12:13], 4, v[14:15]
	v_mov_b32_e32 v18, s15
	v_lshlrev_b64 v[16:17], 4, v[0:1]
	v_add_co_u32_e32 v1, vcc, s14, v12
	v_addc_co_u32_e32 v13, vcc, v18, v13, vcc
	v_add_co_u32_e32 v12, vcc, v1, v16
	v_addc_co_u32_e32 v13, vcc, v13, v17, vcc
	s_mov_b64 s[8:9], 0
	s_waitcnt vmcnt(0)
	v_mul_f64 v[14:15], v[4:5], v[10:11]
	v_mul_f64 v[16:17], v[4:5], v[8:9]
	v_fma_f64 v[8:9], v[8:9], -v[2:3], -v[14:15]
	v_fma_f64 v[10:11], v[2:3], v[10:11], -v[16:17]
	global_store_dwordx4 v[12:13], v[8:11], off
.LBB203_15:
	s_andn2_b64 vcc, exec, s[8:9]
	s_cbranch_vccnz .LBB203_17
; %bb.16:
	v_mad_u64_u32 v[8:9], s[8:9], v6, s22, 0
	s_ashr_i32 s4, s22, 31
	v_mov_b32_e32 v10, v9
	v_mad_u64_u32 v[10:11], s[8:9], v6, s4, v[10:11]
	v_mov_b32_e32 v9, v10
	v_lshlrev_b64 v[8:9], 4, v[8:9]
	v_mov_b32_e32 v1, 0
	v_mov_b32_e32 v10, s15
	v_add_co_u32_e32 v11, vcc, s14, v8
	v_addc_co_u32_e32 v10, vcc, v10, v9, vcc
	v_lshlrev_b64 v[8:9], 4, v[0:1]
	v_add_co_u32_e32 v16, vcc, v11, v8
	v_addc_co_u32_e32 v17, vcc, v10, v9, vcc
	s_sub_i32 s4, s20, s21
	v_mad_u64_u32 v[10:11], s[8:9], v0, s3, 0
	v_add_u32_e32 v8, s4, v6
	s_ashr_i32 s4, s3, 31
	v_mov_b32_e32 v12, v11
	v_mad_u64_u32 v[12:13], s[8:9], v0, s4, v[12:13]
	v_mov_b32_e32 v11, v12
	v_lshlrev_b64 v[10:11], 4, v[10:11]
	v_mov_b32_e32 v9, v1
	v_mov_b32_e32 v1, s12
	v_add_co_u32_e32 v10, vcc, s2, v10
	v_addc_co_u32_e32 v1, vcc, v1, v11, vcc
	v_lshlrev_b64 v[8:9], 4, v[8:9]
	v_add_co_u32_e32 v18, vcc, v10, v8
	v_addc_co_u32_e32 v19, vcc, v1, v9, vcc
	global_load_dwordx4 v[8:11], v[18:19], off
	global_load_dwordx4 v[12:15], v[16:17], off
	s_waitcnt vmcnt(0)
	v_add_f64 v[8:9], v[8:9], v[12:13]
	v_add_f64 v[10:11], v[14:15], -v[10:11]
	v_mul_f64 v[12:13], v[2:3], v[8:9]
	v_mul_f64 v[14:15], v[2:3], v[10:11]
	v_fma_f64 v[2:3], v[4:5], v[10:11], -v[12:13]
	v_fma_f64 v[4:5], v[8:9], -v[4:5], -v[14:15]
	global_store_dwordx4 v[16:17], v[2:5], off
.LBB203_17:
	s_or_b64 exec, exec, s[6:7]
	s_mov_b64 s[6:7], 0
.LBB203_18:
	s_andn2_b64 vcc, exec, s[6:7]
	s_cbranch_vccnz .LBB203_34
; %bb.19:
	v_cmp_ge_u32_e32 vcc, v0, v6
	s_and_saveexec_b64 s[6:7], vcc
	s_xor_b64 s[6:7], exec, s[6:7]
	s_cbranch_execz .LBB203_21
; %bb.20:
	s_waitcnt vmcnt(0)
	v_mad_u64_u32 v[2:3], s[8:9], v6, s22, 0
	s_ashr_i32 s4, s22, 31
	v_mov_b32_e32 v4, v3
	v_mad_u64_u32 v[4:5], s[8:9], v6, s4, v[4:5]
	v_mov_b32_e32 v3, v4
	v_lshlrev_b64 v[2:3], 4, v[2:3]
	v_mov_b32_e32 v1, 0
	v_mov_b32_e32 v4, s15
	v_add_co_u32_e32 v5, vcc, s14, v2
	v_addc_co_u32_e32 v6, vcc, v4, v3, vcc
	v_lshlrev_b64 v[2:3], 4, v[0:1]
	v_add_co_u32_e32 v4, vcc, v5, v2
	v_addc_co_u32_e32 v5, vcc, v6, v3, vcc
	v_mov_b32_e32 v0, v1
	v_mov_b32_e32 v2, v1
	;; [unrolled: 1-line block ×3, first 2 shown]
	global_store_dwordx4 v[4:5], v[0:3], off
                                        ; implicit-def: $vgpr6_vgpr7
                                        ; implicit-def: $vgpr0
.LBB203_21:
	s_andn2_saveexec_b64 s[6:7], s[6:7]
	s_cbranch_execz .LBB203_33
; %bb.22:
	v_lshlrev_b64 v[8:9], 4, v[6:7]
	v_mov_b32_e32 v1, s17
	s_waitcnt vmcnt(0)
	v_add_co_u32_e32 v2, vcc, s16, v8
	v_addc_co_u32_e32 v3, vcc, v1, v9, vcc
	global_load_dwordx4 v[2:5], v[2:3], off
	v_cndmask_b32_e64 v1, 0, 1, s[0:1]
	s_cmpk_lg_i32 s5, 0xb5
	s_mov_b64 s[4:5], -1
	v_cmp_ne_u32_e64 s[0:1], 1, v1
	s_cbranch_scc0 .LBB203_28
; %bb.23:
	v_mov_b32_e32 v1, 0
	s_and_b64 vcc, exec, s[0:1]
	v_lshlrev_b64 v[10:11], 4, v[0:1]
	s_cbranch_vccnz .LBB203_25
; %bb.24:
	v_mad_u64_u32 v[12:13], s[4:5], v6, s3, 0
	s_ashr_i32 s8, s3, 31
	v_mov_b32_e32 v14, v13
	v_mad_u64_u32 v[14:15], s[4:5], v6, s8, v[14:15]
	v_mov_b32_e32 v13, v14
	v_lshlrev_b64 v[12:13], 4, v[12:13]
	v_mov_b32_e32 v1, s12
	v_add_co_u32_e32 v7, vcc, s2, v12
	v_addc_co_u32_e32 v1, vcc, v1, v13, vcc
	v_add_co_u32_e32 v12, vcc, v7, v10
	v_addc_co_u32_e32 v13, vcc, v1, v11, vcc
	global_load_dwordx4 v[12:15], v[12:13], off
	v_mad_u64_u32 v[16:17], s[4:5], v6, s22, 0
	s_ashr_i32 s8, s22, 31
	v_mov_b32_e32 v18, v17
	v_mad_u64_u32 v[18:19], s[4:5], v6, s8, v[18:19]
	v_mov_b32_e32 v17, v18
	v_lshlrev_b64 v[16:17], 4, v[16:17]
	v_mov_b32_e32 v1, s15
	v_add_co_u32_e32 v7, vcc, s14, v16
	v_addc_co_u32_e32 v1, vcc, v1, v17, vcc
	v_add_co_u32_e32 v18, vcc, v7, v10
	v_addc_co_u32_e32 v19, vcc, v1, v11, vcc
	s_mov_b64 s[4:5], 0
	s_waitcnt vmcnt(0)
	v_mul_f64 v[16:17], v[2:3], v[12:13]
	v_mul_f64 v[20:21], v[2:3], v[14:15]
	v_fma_f64 v[14:15], v[4:5], v[14:15], -v[16:17]
	v_fma_f64 v[16:17], v[12:13], -v[4:5], -v[20:21]
	global_store_dwordx4 v[18:19], v[14:17], off
.LBB203_25:
	s_andn2_b64 vcc, exec, s[4:5]
	s_cbranch_vccnz .LBB203_27
; %bb.26:
	v_mad_u64_u32 v[12:13], s[4:5], v6, s22, 0
	s_ashr_i32 s8, s22, 31
	v_mov_b32_e32 v14, v13
	v_mad_u64_u32 v[14:15], s[4:5], v6, s8, v[14:15]
	v_mov_b32_e32 v13, v14
	v_lshlrev_b64 v[12:13], 4, v[12:13]
	v_mov_b32_e32 v1, s15
	v_add_co_u32_e32 v7, vcc, s14, v12
	v_addc_co_u32_e32 v1, vcc, v1, v13, vcc
	v_mad_u64_u32 v[12:13], s[4:5], v6, s3, 0
	s_ashr_i32 s8, s3, 31
	v_mov_b32_e32 v14, v13
	v_mad_u64_u32 v[14:15], s[4:5], v6, s8, v[14:15]
	v_add_co_u32_e32 v18, vcc, v7, v10
	v_mov_b32_e32 v13, v14
	v_addc_co_u32_e32 v19, vcc, v1, v11, vcc
	v_lshlrev_b64 v[12:13], 4, v[12:13]
	v_mov_b32_e32 v1, s12
	v_add_co_u32_e32 v7, vcc, s2, v12
	v_addc_co_u32_e32 v1, vcc, v1, v13, vcc
	v_add_co_u32_e32 v20, vcc, v7, v10
	v_addc_co_u32_e32 v21, vcc, v1, v11, vcc
	global_load_dwordx4 v[10:13], v[20:21], off
	global_load_dwordx4 v[14:17], v[18:19], off
	s_waitcnt vmcnt(0)
	v_add_f64 v[14:15], v[10:11], v[14:15]
	v_add_f64 v[10:11], v[12:13], v[16:17]
	v_mul_f64 v[12:13], v[2:3], v[14:15]
	v_mul_f64 v[16:17], v[2:3], v[10:11]
	v_fma_f64 v[10:11], v[4:5], v[10:11], -v[12:13]
	v_fma_f64 v[12:13], v[14:15], -v[4:5], -v[16:17]
	global_store_dwordx4 v[18:19], v[10:13], off
.LBB203_27:
	s_mov_b64 s[4:5], 0
.LBB203_28:
	s_andn2_b64 vcc, exec, s[4:5]
	s_cbranch_vccnz .LBB203_33
; %bb.29:
	v_mov_b32_e32 v1, 0
	s_mov_b64 s[4:5], -1
	s_and_b64 vcc, exec, s[0:1]
	v_lshlrev_b64 v[10:11], 4, v[0:1]
	s_cbranch_vccnz .LBB203_31
; %bb.30:
	v_mad_u64_u32 v[12:13], s[0:1], v0, s3, 0
	s_ashr_i32 s4, s3, 31
	v_mov_b32_e32 v14, v13
	v_mad_u64_u32 v[14:15], s[0:1], v0, s4, v[14:15]
	v_mov_b32_e32 v13, v14
	v_lshlrev_b64 v[12:13], 4, v[12:13]
	v_mov_b32_e32 v1, s12
	v_add_co_u32_e32 v7, vcc, s2, v12
	v_addc_co_u32_e32 v1, vcc, v1, v13, vcc
	v_add_co_u32_e32 v12, vcc, v7, v8
	v_addc_co_u32_e32 v13, vcc, v1, v9, vcc
	global_load_dwordx4 v[12:15], v[12:13], off
	v_mad_u64_u32 v[16:17], s[0:1], v6, s22, 0
	s_ashr_i32 s4, s22, 31
	v_mov_b32_e32 v18, v17
	v_mad_u64_u32 v[18:19], s[0:1], v6, s4, v[18:19]
	v_mov_b32_e32 v17, v18
	v_lshlrev_b64 v[16:17], 4, v[16:17]
	v_mov_b32_e32 v1, s15
	v_add_co_u32_e32 v7, vcc, s14, v16
	v_addc_co_u32_e32 v1, vcc, v1, v17, vcc
	v_add_co_u32_e32 v16, vcc, v7, v10
	v_addc_co_u32_e32 v17, vcc, v1, v11, vcc
	s_mov_b64 s[4:5], 0
	s_waitcnt vmcnt(0)
	v_mul_f64 v[18:19], v[4:5], v[14:15]
	v_mul_f64 v[20:21], v[4:5], v[12:13]
	v_fma_f64 v[12:13], v[12:13], -v[2:3], -v[18:19]
	v_fma_f64 v[14:15], v[2:3], v[14:15], -v[20:21]
	global_store_dwordx4 v[16:17], v[12:15], off
.LBB203_31:
	s_andn2_b64 vcc, exec, s[4:5]
	s_cbranch_vccnz .LBB203_33
; %bb.32:
	v_mad_u64_u32 v[12:13], s[0:1], v6, s22, 0
	s_ashr_i32 s4, s22, 31
	v_mov_b32_e32 v14, v13
	v_mad_u64_u32 v[6:7], s[0:1], v6, s4, v[14:15]
	v_mov_b32_e32 v13, v6
	v_lshlrev_b64 v[6:7], 4, v[12:13]
	v_mov_b32_e32 v1, s15
	v_add_co_u32_e32 v6, vcc, s14, v6
	v_addc_co_u32_e32 v1, vcc, v1, v7, vcc
	v_add_co_u32_e32 v14, vcc, v6, v10
	v_mad_u64_u32 v[6:7], s[0:1], v0, s3, 0
	s_ashr_i32 s4, s3, 31
	v_mov_b32_e32 v10, v7
	v_addc_co_u32_e32 v15, vcc, v1, v11, vcc
	v_mad_u64_u32 v[0:1], s[0:1], v0, s4, v[10:11]
	v_mov_b32_e32 v7, v0
	v_lshlrev_b64 v[0:1], 4, v[6:7]
	v_mov_b32_e32 v6, s12
	v_add_co_u32_e32 v0, vcc, s2, v0
	v_addc_co_u32_e32 v1, vcc, v6, v1, vcc
	v_add_co_u32_e32 v0, vcc, v0, v8
	v_addc_co_u32_e32 v1, vcc, v1, v9, vcc
	global_load_dwordx4 v[6:9], v[0:1], off
	global_load_dwordx4 v[10:13], v[14:15], off
	s_waitcnt vmcnt(0)
	v_add_f64 v[6:7], v[6:7], v[10:11]
	v_add_f64 v[0:1], v[12:13], -v[8:9]
	v_mul_f64 v[8:9], v[2:3], v[6:7]
	v_mul_f64 v[2:3], v[2:3], v[0:1]
	v_fma_f64 v[0:1], v[4:5], v[0:1], -v[8:9]
	v_fma_f64 v[2:3], v[6:7], -v[4:5], -v[2:3]
	global_store_dwordx4 v[14:15], v[0:3], off
.LBB203_33:
	s_or_b64 exec, exec, s[6:7]
                                        ; implicit-def: $vgpr6
.LBB203_34:
	s_andn2_saveexec_b64 s[0:1], s[10:11]
	s_cbranch_execz .LBB203_36
; %bb.35:
	v_mov_b32_e32 v7, 0
	s_waitcnt vmcnt(0)
	v_lshlrev_b64 v[4:5], 4, v[6:7]
	v_mov_b32_e32 v1, s17
	v_add_co_u32_e32 v0, vcc, s16, v4
	v_addc_co_u32_e32 v1, vcc, v1, v5, vcc
	global_load_dwordx4 v[0:3], v[0:1], off
	v_mad_u64_u32 v[8:9], s[0:1], v6, s22, 0
	s_ashr_i32 s2, s22, 31
	v_mov_b32_e32 v10, v9
	v_mad_u64_u32 v[6:7], s[0:1], v6, s2, v[10:11]
	v_mov_b32_e32 v9, v6
	v_lshlrev_b64 v[6:7], 4, v[8:9]
	v_mov_b32_e32 v8, s15
	v_add_co_u32_e32 v6, vcc, s14, v6
	v_addc_co_u32_e32 v7, vcc, v8, v7, vcc
	v_add_co_u32_e32 v4, vcc, v6, v4
	v_addc_co_u32_e32 v5, vcc, v7, v5, vcc
	s_waitcnt vmcnt(0)
	global_store_dwordx4 v[4:5], v[0:3], off
.LBB203_36:
	s_endpgm
	.section	.rodata,"a",@progbits
	.p2align	6, 0x0
	.amdhsa_kernel _ZN9rocsolver6v33100L14set_triangularI19rocblas_complex_numIdEPS3_TnNSt9enable_ifIX18rocblas_is_complexIT_EEiE4typeELi0EEEviiT0_iilPS6_lSA_il15rocblas_direct_15rocblas_storev_b
		.amdhsa_group_segment_fixed_size 0
		.amdhsa_private_segment_fixed_size 0
		.amdhsa_kernarg_size 344
		.amdhsa_user_sgpr_count 6
		.amdhsa_user_sgpr_private_segment_buffer 1
		.amdhsa_user_sgpr_dispatch_ptr 0
		.amdhsa_user_sgpr_queue_ptr 0
		.amdhsa_user_sgpr_kernarg_segment_ptr 1
		.amdhsa_user_sgpr_dispatch_id 0
		.amdhsa_user_sgpr_flat_scratch_init 0
		.amdhsa_user_sgpr_kernarg_preload_length 0
		.amdhsa_user_sgpr_kernarg_preload_offset 0
		.amdhsa_user_sgpr_private_segment_size 0
		.amdhsa_uses_dynamic_stack 0
		.amdhsa_system_sgpr_private_segment_wavefront_offset 0
		.amdhsa_system_sgpr_workgroup_id_x 1
		.amdhsa_system_sgpr_workgroup_id_y 1
		.amdhsa_system_sgpr_workgroup_id_z 1
		.amdhsa_system_sgpr_workgroup_info 0
		.amdhsa_system_vgpr_workitem_id 1
		.amdhsa_next_free_vgpr 22
		.amdhsa_next_free_sgpr 23
		.amdhsa_accum_offset 24
		.amdhsa_reserve_vcc 1
		.amdhsa_reserve_flat_scratch 0
		.amdhsa_float_round_mode_32 0
		.amdhsa_float_round_mode_16_64 0
		.amdhsa_float_denorm_mode_32 3
		.amdhsa_float_denorm_mode_16_64 3
		.amdhsa_dx10_clamp 1
		.amdhsa_ieee_mode 1
		.amdhsa_fp16_overflow 0
		.amdhsa_tg_split 0
		.amdhsa_exception_fp_ieee_invalid_op 0
		.amdhsa_exception_fp_denorm_src 0
		.amdhsa_exception_fp_ieee_div_zero 0
		.amdhsa_exception_fp_ieee_overflow 0
		.amdhsa_exception_fp_ieee_underflow 0
		.amdhsa_exception_fp_ieee_inexact 0
		.amdhsa_exception_int_div_zero 0
	.end_amdhsa_kernel
	.section	.text._ZN9rocsolver6v33100L14set_triangularI19rocblas_complex_numIdEPS3_TnNSt9enable_ifIX18rocblas_is_complexIT_EEiE4typeELi0EEEviiT0_iilPS6_lSA_il15rocblas_direct_15rocblas_storev_b,"axG",@progbits,_ZN9rocsolver6v33100L14set_triangularI19rocblas_complex_numIdEPS3_TnNSt9enable_ifIX18rocblas_is_complexIT_EEiE4typeELi0EEEviiT0_iilPS6_lSA_il15rocblas_direct_15rocblas_storev_b,comdat
.Lfunc_end203:
	.size	_ZN9rocsolver6v33100L14set_triangularI19rocblas_complex_numIdEPS3_TnNSt9enable_ifIX18rocblas_is_complexIT_EEiE4typeELi0EEEviiT0_iilPS6_lSA_il15rocblas_direct_15rocblas_storev_b, .Lfunc_end203-_ZN9rocsolver6v33100L14set_triangularI19rocblas_complex_numIdEPS3_TnNSt9enable_ifIX18rocblas_is_complexIT_EEiE4typeELi0EEEviiT0_iilPS6_lSA_il15rocblas_direct_15rocblas_storev_b
                                        ; -- End function
	.section	.AMDGPU.csdata,"",@progbits
; Kernel info:
; codeLenInByte = 2380
; NumSgprs: 27
; NumVgprs: 22
; NumAgprs: 0
; TotalNumVgprs: 22
; ScratchSize: 0
; MemoryBound: 1
; FloatMode: 240
; IeeeMode: 1
; LDSByteSize: 0 bytes/workgroup (compile time only)
; SGPRBlocks: 3
; VGPRBlocks: 2
; NumSGPRsForWavesPerEU: 27
; NumVGPRsForWavesPerEU: 22
; AccumOffset: 24
; Occupancy: 8
; WaveLimiterHint : 0
; COMPUTE_PGM_RSRC2:SCRATCH_EN: 0
; COMPUTE_PGM_RSRC2:USER_SGPR: 6
; COMPUTE_PGM_RSRC2:TRAP_HANDLER: 0
; COMPUTE_PGM_RSRC2:TGID_X_EN: 1
; COMPUTE_PGM_RSRC2:TGID_Y_EN: 1
; COMPUTE_PGM_RSRC2:TGID_Z_EN: 1
; COMPUTE_PGM_RSRC2:TIDIG_COMP_CNT: 1
; COMPUTE_PGM_RSRC3_GFX90A:ACCUM_OFFSET: 5
; COMPUTE_PGM_RSRC3_GFX90A:TG_SPLIT: 0
	.section	.text._ZN9rocsolver6v33100L7set_tauI19rocblas_complex_numIdEEEviPT_l,"axG",@progbits,_ZN9rocsolver6v33100L7set_tauI19rocblas_complex_numIdEEEviPT_l,comdat
	.globl	_ZN9rocsolver6v33100L7set_tauI19rocblas_complex_numIdEEEviPT_l ; -- Begin function _ZN9rocsolver6v33100L7set_tauI19rocblas_complex_numIdEEEviPT_l
	.p2align	8
	.type	_ZN9rocsolver6v33100L7set_tauI19rocblas_complex_numIdEEEviPT_l,@function
_ZN9rocsolver6v33100L7set_tauI19rocblas_complex_numIdEEEviPT_l: ; @_ZN9rocsolver6v33100L7set_tauI19rocblas_complex_numIdEEEviPT_l
; %bb.0:
	s_load_dword s0, s[4:5], 0x24
	s_load_dword s1, s[4:5], 0x0
	s_waitcnt lgkmcnt(0)
	s_and_b32 s0, s0, 0xffff
	s_mul_i32 s6, s6, s0
	v_add_u32_e32 v0, s6, v0
	v_cmp_gt_u32_e32 vcc, s1, v0
	s_and_saveexec_b64 s[0:1], vcc
	s_cbranch_execz .LBB204_2
; %bb.1:
	s_load_dwordx4 s[0:3], s[4:5], 0x8
	v_mov_b32_e32 v1, 0
	v_lshlrev_b64 v[0:1], 4, v[0:1]
	s_waitcnt lgkmcnt(0)
	s_mul_i32 s3, s7, s3
	s_mul_hi_u32 s4, s7, s2
	s_mul_i32 s2, s7, s2
	s_add_i32 s3, s4, s3
	s_lshl_b64 s[2:3], s[2:3], 4
	s_add_u32 s0, s0, s2
	s_addc_u32 s1, s1, s3
	v_mov_b32_e32 v2, s1
	v_add_co_u32_e32 v4, vcc, s0, v0
	v_addc_co_u32_e32 v5, vcc, v2, v1, vcc
	global_load_dwordx4 v[0:3], v[4:5], off
	s_waitcnt vmcnt(0)
	v_xor_b32_e32 v1, 0x80000000, v1
	v_xor_b32_e32 v3, 0x80000000, v3
	global_store_dwordx4 v[4:5], v[0:3], off
.LBB204_2:
	s_endpgm
	.section	.rodata,"a",@progbits
	.p2align	6, 0x0
	.amdhsa_kernel _ZN9rocsolver6v33100L7set_tauI19rocblas_complex_numIdEEEviPT_l
		.amdhsa_group_segment_fixed_size 0
		.amdhsa_private_segment_fixed_size 0
		.amdhsa_kernarg_size 280
		.amdhsa_user_sgpr_count 6
		.amdhsa_user_sgpr_private_segment_buffer 1
		.amdhsa_user_sgpr_dispatch_ptr 0
		.amdhsa_user_sgpr_queue_ptr 0
		.amdhsa_user_sgpr_kernarg_segment_ptr 1
		.amdhsa_user_sgpr_dispatch_id 0
		.amdhsa_user_sgpr_flat_scratch_init 0
		.amdhsa_user_sgpr_kernarg_preload_length 0
		.amdhsa_user_sgpr_kernarg_preload_offset 0
		.amdhsa_user_sgpr_private_segment_size 0
		.amdhsa_uses_dynamic_stack 0
		.amdhsa_system_sgpr_private_segment_wavefront_offset 0
		.amdhsa_system_sgpr_workgroup_id_x 1
		.amdhsa_system_sgpr_workgroup_id_y 1
		.amdhsa_system_sgpr_workgroup_id_z 0
		.amdhsa_system_sgpr_workgroup_info 0
		.amdhsa_system_vgpr_workitem_id 0
		.amdhsa_next_free_vgpr 6
		.amdhsa_next_free_sgpr 8
		.amdhsa_accum_offset 8
		.amdhsa_reserve_vcc 1
		.amdhsa_reserve_flat_scratch 0
		.amdhsa_float_round_mode_32 0
		.amdhsa_float_round_mode_16_64 0
		.amdhsa_float_denorm_mode_32 3
		.amdhsa_float_denorm_mode_16_64 3
		.amdhsa_dx10_clamp 1
		.amdhsa_ieee_mode 1
		.amdhsa_fp16_overflow 0
		.amdhsa_tg_split 0
		.amdhsa_exception_fp_ieee_invalid_op 0
		.amdhsa_exception_fp_denorm_src 0
		.amdhsa_exception_fp_ieee_div_zero 0
		.amdhsa_exception_fp_ieee_overflow 0
		.amdhsa_exception_fp_ieee_underflow 0
		.amdhsa_exception_fp_ieee_inexact 0
		.amdhsa_exception_int_div_zero 0
	.end_amdhsa_kernel
	.section	.text._ZN9rocsolver6v33100L7set_tauI19rocblas_complex_numIdEEEviPT_l,"axG",@progbits,_ZN9rocsolver6v33100L7set_tauI19rocblas_complex_numIdEEEviPT_l,comdat
.Lfunc_end204:
	.size	_ZN9rocsolver6v33100L7set_tauI19rocblas_complex_numIdEEEviPT_l, .Lfunc_end204-_ZN9rocsolver6v33100L7set_tauI19rocblas_complex_numIdEEEviPT_l
                                        ; -- End function
	.section	.AMDGPU.csdata,"",@progbits
; Kernel info:
; codeLenInByte = 152
; NumSgprs: 12
; NumVgprs: 6
; NumAgprs: 0
; TotalNumVgprs: 6
; ScratchSize: 0
; MemoryBound: 0
; FloatMode: 240
; IeeeMode: 1
; LDSByteSize: 0 bytes/workgroup (compile time only)
; SGPRBlocks: 1
; VGPRBlocks: 0
; NumSGPRsForWavesPerEU: 12
; NumVGPRsForWavesPerEU: 6
; AccumOffset: 8
; Occupancy: 8
; WaveLimiterHint : 0
; COMPUTE_PGM_RSRC2:SCRATCH_EN: 0
; COMPUTE_PGM_RSRC2:USER_SGPR: 6
; COMPUTE_PGM_RSRC2:TRAP_HANDLER: 0
; COMPUTE_PGM_RSRC2:TGID_X_EN: 1
; COMPUTE_PGM_RSRC2:TGID_Y_EN: 1
; COMPUTE_PGM_RSRC2:TGID_Z_EN: 0
; COMPUTE_PGM_RSRC2:TIDIG_COMP_CNT: 0
; COMPUTE_PGM_RSRC3_GFX90A:ACCUM_OFFSET: 1
; COMPUTE_PGM_RSRC3_GFX90A:TG_SPLIT: 0
	.section	.text._ZN9rocsolver6v33100L20larft_kernel_forwardI19rocblas_complex_numIdEPS3_EEv15rocblas_storev_iiT0_iilPT_lS8_il,"axG",@progbits,_ZN9rocsolver6v33100L20larft_kernel_forwardI19rocblas_complex_numIdEPS3_EEv15rocblas_storev_iiT0_iilPT_lS8_il,comdat
	.globl	_ZN9rocsolver6v33100L20larft_kernel_forwardI19rocblas_complex_numIdEPS3_EEv15rocblas_storev_iiT0_iilPT_lS8_il ; -- Begin function _ZN9rocsolver6v33100L20larft_kernel_forwardI19rocblas_complex_numIdEPS3_EEv15rocblas_storev_iiT0_iilPT_lS8_il
	.p2align	8
	.type	_ZN9rocsolver6v33100L20larft_kernel_forwardI19rocblas_complex_numIdEPS3_EEv15rocblas_storev_iiT0_iilPT_lS8_il,@function
_ZN9rocsolver6v33100L20larft_kernel_forwardI19rocblas_complex_numIdEPS3_EEv15rocblas_storev_iiT0_iilPT_lS8_il: ; @_ZN9rocsolver6v33100L20larft_kernel_forwardI19rocblas_complex_numIdEPS3_EEv15rocblas_storev_iiT0_iilPT_lS8_il
; %bb.0:
	s_load_dword s2, s[4:5], 0x5c
	s_load_dword s33, s[4:5], 0x40
	s_load_dwordx2 s[0:1], s[4:5], 0x48
	s_load_dwordx4 s[16:19], s[4:5], 0x0
	s_load_dwordx8 s[8:15], s[4:5], 0x20
	s_waitcnt lgkmcnt(0)
	s_and_b32 s19, s2, 0xffff
	s_ashr_i32 s6, s7, 31
	s_mul_i32 s1, s7, s1
	s_mul_hi_u32 s2, s7, s0
	s_add_i32 s1, s2, s1
	s_mul_i32 s2, s6, s0
	s_add_i32 s1, s1, s2
	s_mul_i32 s0, s7, s0
	s_lshl_b64 s[0:1], s[0:1], 4
	s_add_u32 s38, s14, s0
	s_addc_u32 s39, s15, s1
	v_cmp_gt_i32_e64 s[0:1], s18, v0
	v_lshlrev_b32_e32 v1, 4, v0
	s_and_saveexec_b64 s[2:3], s[0:1]
	s_cbranch_execz .LBB205_5
; %bb.1:
	v_add_u32_e32 v2, 16, v1
	v_mul_lo_u32 v2, s18, v2
	s_lshl_b32 s22, s18, 4
	v_add3_u32 v6, v2, v1, 0
	s_add_i32 s23, s22, 16
	s_add_i32 s24, s33, 1
	v_mad_u64_u32 v[2:3], s[14:15], v0, s33, v[0:1]
	s_mul_i32 s23, s23, s19
	s_mul_i32 s24, s24, s19
	s_mov_b64 s[14:15], 0
	v_mov_b32_e32 v3, s39
	v_mov_b32_e32 v7, v0
.LBB205_2:                              ; =>This Loop Header: Depth=1
                                        ;     Child Loop BB205_3 Depth 2
	s_mov_b64 s[20:21], 0
	v_mov_b32_e32 v4, v2
	v_mov_b32_e32 v8, v6
	v_mov_b32_e32 v9, v7
.LBB205_3:                              ;   Parent Loop BB205_2 Depth=1
                                        ; =>  This Inner Loop Header: Depth=2
	v_ashrrev_i32_e32 v5, 31, v4
	v_lshlrev_b64 v[10:11], 4, v[4:5]
	v_add_co_u32_e32 v10, vcc, s38, v10
	v_addc_co_u32_e32 v11, vcc, v3, v11, vcc
	global_load_dwordx4 v[10:13], v[10:11], off
	v_add_u32_e32 v9, 1, v9
	v_cmp_le_i32_e32 vcc, s18, v9
	v_add_u32_e32 v4, s33, v4
	s_or_b64 s[20:21], vcc, s[20:21]
	s_waitcnt vmcnt(0)
	ds_write2_b64 v8, v[10:11], v[12:13] offset1:1
	v_add_u32_e32 v8, s22, v8
	s_andn2_b64 exec, exec, s[20:21]
	s_cbranch_execnz .LBB205_3
; %bb.4:                                ;   in Loop: Header=BB205_2 Depth=1
	s_or_b64 exec, exec, s[20:21]
	v_add_u32_e32 v7, s19, v7
	v_cmp_le_i32_e32 vcc, s18, v7
	v_add_u32_e32 v6, s23, v6
	s_or_b64 s[14:15], vcc, s[14:15]
	v_add_u32_e32 v2, s24, v2
	s_andn2_b64 exec, exec, s[14:15]
	s_cbranch_execnz .LBB205_2
.LBB205_5:
	s_or_b64 exec, exec, s[2:3]
	s_cmp_lt_i32 s18, 2
	s_waitcnt lgkmcnt(0)
	s_barrier
	s_cbranch_scc1 .LBB205_29
; %bb.6:
	s_load_dwordx4 s[20:23], s[4:5], 0x10
	s_mul_i32 s2, s7, s13
	s_mul_hi_u32 s3, s7, s12
	s_add_i32 s4, s3, s2
	s_mul_i32 s5, s6, s12
	s_add_i32 s5, s4, s5
	s_mul_i32 s4, s7, s12
	s_waitcnt lgkmcnt(0)
	s_ashr_i32 s3, s22, 31
	s_lshl_b64 s[4:5], s[4:5], 4
	s_mov_b32 s2, s22
	s_add_u32 s22, s10, s4
	s_addc_u32 s40, s11, s5
	s_lshl_b32 s41, s18, 4
	s_add_i32 s42, s41, 0
	s_cmpk_lg_i32 s16, 0xb5
	s_mul_i32 s4, s8, s6
	s_mul_hi_u32 s5, s8, s7
	s_cselect_b64 s[12:13], -1, 0
	s_add_i32 s4, s5, s4
	s_mul_i32 s5, s9, s7
	s_add_i32 s5, s4, s5
	s_mul_i32 s4, s8, s7
	s_lshl_b64 s[4:5], s[4:5], 4
	s_lshl_b64 s[2:3], s[2:3], 4
	s_add_u32 s2, s4, s2
	s_addc_u32 s3, s5, s3
	s_add_u32 s16, s20, s2
	s_addc_u32 s43, s21, s3
	s_ashr_i32 s3, s23, 31
	s_mov_b32 s2, s23
	s_lshl_b32 s8, s23, 1
	s_lshl_b64 s[14:15], s[2:3], 4
	s_lshl_b32 s44, s19, 4
	s_add_u32 s20, s16, 32
	v_add_u32_e32 v4, 16, v1
	s_mov_b32 s11, 0
	s_addc_u32 s21, s43, 0
	v_mul_lo_u32 v4, s18, v4
	s_add_i32 s47, s41, 16
	s_mov_b32 s10, 1
	v_or_b32_e32 v2, 8, v1
	v_mov_b32_e32 v3, 0
	s_mov_b32 s45, s11
	v_mul_lo_u32 v12, v0, s23
	s_mul_i32 s46, s23, s19
	v_add3_u32 v13, v4, v1, 0
	s_mul_i32 s47, s47, s19
	v_add_u32_e32 v14, 0, v1
	s_mov_b64 s[24:25], 0
	s_mov_b32 s26, s23
	s_branch .LBB205_8
.LBB205_7:                              ;   in Loop: Header=BB205_8 Depth=1
	s_or_b64 exec, exec, s[2:3]
	s_add_i32 s10, s10, 1
	s_add_u32 s24, s24, 16
	s_addc_u32 s25, s25, 0
	s_add_i32 s8, s8, s23
	s_add_u32 s20, s20, 16
	s_addc_u32 s21, s21, 0
	s_add_i32 s26, s26, s23
	s_cmp_eq_u32 s10, s18
	s_waitcnt lgkmcnt(0)
	s_barrier
	s_cbranch_scc1 .LBB205_29
.LBB205_8:                              ; =>This Loop Header: Depth=1
                                        ;     Child Loop BB205_12 Depth 2
                                        ;       Child Loop BB205_14 Depth 3
                                        ;     Child Loop BB205_20 Depth 2
                                        ;       Child Loop BB205_22 Depth 3
	;; [unrolled: 2-line block ×3, first 2 shown]
	s_mul_i32 s2, s10, s18
	s_not_b32 s49, s10
	s_lshl_b32 s2, s2, 4
	s_add_i32 s49, s49, s17
	s_add_i32 s48, s42, s2
	s_mov_b64 s[4:5], -1
	s_and_b64 vcc, exec, s[12:13]
	v_cmp_gt_u32_e64 s[2:3], s10, v0
	s_cbranch_vccz .LBB205_16
; %bb.9:                                ;   in Loop: Header=BB205_8 Depth=1
	s_and_saveexec_b64 s[28:29], s[2:3]
	s_cbranch_execz .LBB205_15
; %bb.10:                               ;   in Loop: Header=BB205_8 Depth=1
	s_ashr_i32 s9, s8, 31
	s_lshl_b64 s[2:3], s[8:9], 4
	s_add_u32 s2, s16, s2
	s_addc_u32 s3, s43, s3
	s_cmp_gt_i32 s49, 0
	s_cselect_b64 s[30:31], -1, 0
	s_lshl_b64 s[4:5], s[10:11], 4
	s_add_u32 s4, s22, s4
	s_addc_u32 s5, s40, s5
	s_load_dwordx4 s[4:7], s[4:5], 0x0
	s_mov_b64 s[34:35], 0
	v_pk_mov_b32 v[4:5], v[2:3], v[2:3] op_sel:[0,1]
	v_mov_b32_e32 v10, v0
	s_branch .LBB205_12
.LBB205_11:                             ;   in Loop: Header=BB205_12 Depth=2
	v_lshlrev_b32_e32 v11, 4, v10
	v_add_u32_e32 v15, s48, v11
	ds_read2_b64 v[16:19], v15 offset1:1
	s_waitcnt lgkmcnt(0)
	v_mul_f64 v[20:21], v[6:7], s[6:7]
	v_mul_f64 v[22:23], v[8:9], s[6:7]
	v_fma_f64 v[8:9], v[8:9], s[4:5], -v[20:21]
	v_fmac_f64_e32 v[22:23], s[4:5], v[6:7]
	v_add_u32_e32 v10, s19, v10
	v_add_f64 v[6:7], v[16:17], v[8:9]
	v_add_f64 v[8:9], v[22:23], v[18:19]
	v_add_u32_e32 v11, 0, v11
	v_cmp_le_u32_e32 vcc, s10, v10
	ds_write2_b64 v11, v[6:7], v[8:9] offset1:1
	v_mov_b32_e32 v6, s45
	s_or_b64 s[34:35], vcc, s[34:35]
	v_add_co_u32_e32 v4, vcc, s44, v4
	v_addc_co_u32_e32 v5, vcc, v5, v6, vcc
	s_andn2_b64 exec, exec, s[34:35]
	s_cbranch_execz .LBB205_15
.LBB205_12:                             ;   Parent Loop BB205_8 Depth=1
                                        ; =>  This Loop Header: Depth=2
                                        ;       Child Loop BB205_14 Depth 3
	v_pk_mov_b32 v[6:7], 0, 0
	s_andn2_b64 vcc, exec, s[30:31]
	v_pk_mov_b32 v[8:9], v[6:7], v[6:7] op_sel:[0,1]
	s_cbranch_vccnz .LBB205_11
; %bb.13:                               ;   in Loop: Header=BB205_12 Depth=2
	v_pk_mov_b32 v[6:7], 0, 0
	s_mov_b32 s9, 0
	s_mov_b64 s[36:37], s[2:3]
	v_pk_mov_b32 v[8:9], v[6:7], v[6:7] op_sel:[0,1]
.LBB205_14:                             ;   Parent Loop BB205_8 Depth=1
                                        ;     Parent Loop BB205_12 Depth=2
                                        ; =>    This Inner Loop Header: Depth=3
	v_mov_b32_e32 v11, s37
	v_add_co_u32_e32 v16, vcc, s36, v4
	v_addc_co_u32_e32 v17, vcc, v11, v5, vcc
	global_load_dwordx4 v[16:19], v[16:17], off offset:-8
	s_add_u32 s50, s36, s24
	s_addc_u32 s51, s37, s25
	s_load_dwordx4 s[52:55], s[50:51], 0x10
	s_add_i32 s9, s9, 1
	s_add_u32 s36, s36, s14
	s_addc_u32 s37, s37, s15
	s_cmp_ge_i32 s9, s49
	s_waitcnt vmcnt(0) lgkmcnt(0)
	v_mul_f64 v[20:21], s[54:55], v[18:19]
	v_mul_f64 v[22:23], s[54:55], v[16:17]
	v_fmac_f64_e32 v[20:21], s[52:53], v[16:17]
	v_fma_f64 v[16:17], s[52:53], v[18:19], -v[22:23]
	v_add_f64 v[8:9], v[8:9], v[20:21]
	v_add_f64 v[6:7], v[6:7], v[16:17]
	s_cbranch_scc0 .LBB205_14
	s_branch .LBB205_11
.LBB205_15:                             ;   in Loop: Header=BB205_8 Depth=1
	s_or_b64 exec, exec, s[28:29]
	s_mov_b64 s[4:5], 0
.LBB205_16:                             ;   in Loop: Header=BB205_8 Depth=1
	s_andn2_b64 vcc, exec, s[4:5]
	s_cbranch_vccnz .LBB205_24
; %bb.17:                               ;   in Loop: Header=BB205_8 Depth=1
	v_cmp_gt_u32_e32 vcc, s10, v0
	s_and_saveexec_b64 s[2:3], vcc
	s_cbranch_execz .LBB205_23
; %bb.18:                               ;   in Loop: Header=BB205_8 Depth=1
	s_ashr_i32 s27, s26, 31
	s_lshl_b64 s[28:29], s[26:27], 4
	s_cmp_gt_i32 s49, 0
	s_cselect_b64 s[30:31], -1, 0
	s_lshl_b64 s[4:5], s[10:11], 4
	s_add_u32 s4, s22, s4
	s_addc_u32 s5, s40, s5
	s_load_dwordx4 s[4:7], s[4:5], 0x0
	s_mov_b64 s[34:35], 0
	v_mov_b32_e32 v4, v12
	v_mov_b32_e32 v15, v0
	s_branch .LBB205_20
.LBB205_19:                             ;   in Loop: Header=BB205_20 Depth=2
	v_lshlrev_b32_e32 v5, 4, v15
	v_add_u32_e32 v10, s48, v5
	ds_read2_b64 v[16:19], v10 offset1:1
	s_waitcnt lgkmcnt(0)
	v_mul_f64 v[10:11], v[6:7], s[6:7]
	v_mul_f64 v[20:21], v[8:9], s[6:7]
	v_add_u32_e32 v15, s19, v15
	v_fma_f64 v[8:9], v[8:9], s[4:5], -v[10:11]
	v_fmac_f64_e32 v[20:21], s[4:5], v[6:7]
	v_cmp_le_u32_e32 vcc, s10, v15
	v_add_f64 v[6:7], v[16:17], v[8:9]
	v_add_f64 v[8:9], v[20:21], v[18:19]
	v_add_u32_e32 v5, 0, v5
	s_or_b64 s[34:35], vcc, s[34:35]
	v_add_u32_e32 v4, s46, v4
	ds_write2_b64 v5, v[6:7], v[8:9] offset1:1
	s_andn2_b64 exec, exec, s[34:35]
	s_cbranch_execz .LBB205_23
.LBB205_20:                             ;   Parent Loop BB205_8 Depth=1
                                        ; =>  This Loop Header: Depth=2
                                        ;       Child Loop BB205_22 Depth 3
	v_pk_mov_b32 v[6:7], 0, 0
	s_andn2_b64 vcc, exec, s[30:31]
	v_pk_mov_b32 v[8:9], v[6:7], v[6:7] op_sel:[0,1]
	s_cbranch_vccnz .LBB205_19
; %bb.21:                               ;   in Loop: Header=BB205_20 Depth=2
	v_ashrrev_i32_e32 v5, 31, v4
	v_pk_mov_b32 v[6:7], 0, 0
	v_lshlrev_b64 v[10:11], 4, v[4:5]
	s_mov_b32 s9, 0
	s_mov_b64 s[36:37], s[20:21]
	v_pk_mov_b32 v[8:9], v[6:7], v[6:7] op_sel:[0,1]
.LBB205_22:                             ;   Parent Loop BB205_8 Depth=1
                                        ;     Parent Loop BB205_20 Depth=2
                                        ; =>    This Inner Loop Header: Depth=3
	v_mov_b32_e32 v5, s37
	v_add_co_u32_e32 v16, vcc, s36, v10
	v_addc_co_u32_e32 v17, vcc, v5, v11, vcc
	global_load_dwordx4 v[16:19], v[16:17], off
	s_add_u32 s50, s36, s28
	s_addc_u32 s51, s37, s29
	s_load_dwordx4 s[52:55], s[50:51], 0x0
	s_add_i32 s9, s9, 1
	s_add_u32 s36, s36, 16
	s_addc_u32 s37, s37, 0
	s_cmp_ge_i32 s9, s49
	s_waitcnt vmcnt(0) lgkmcnt(0)
	v_mul_f64 v[20:21], v[18:19], s[54:55]
	v_mul_f64 v[18:19], v[18:19], s[52:53]
	v_fmac_f64_e32 v[20:21], s[52:53], v[16:17]
	v_fma_f64 v[16:17], v[16:17], s[54:55], -v[18:19]
	v_add_f64 v[8:9], v[8:9], v[20:21]
	v_add_f64 v[6:7], v[6:7], v[16:17]
	s_cbranch_scc0 .LBB205_22
	s_branch .LBB205_19
.LBB205_23:                             ;   in Loop: Header=BB205_8 Depth=1
	s_or_b64 exec, exec, s[2:3]
.LBB205_24:                             ;   in Loop: Header=BB205_8 Depth=1
	v_cmp_gt_u32_e32 vcc, s10, v0
	s_waitcnt lgkmcnt(0)
	s_barrier
	s_and_saveexec_b64 s[2:3], vcc
	s_cbranch_execz .LBB205_7
; %bb.25:                               ;   in Loop: Header=BB205_8 Depth=1
	s_mov_b64 s[4:5], 0
	v_mov_b32_e32 v8, v14
	v_mov_b32_e32 v9, v13
	;; [unrolled: 1-line block ×3, first 2 shown]
.LBB205_26:                             ;   Parent Loop BB205_8 Depth=1
                                        ; =>  This Loop Header: Depth=2
                                        ;       Child Loop BB205_27 Depth 3
	v_pk_mov_b32 v[4:5], 0, 0
	s_mov_b64 s[6:7], 0
	v_mov_b32_e32 v11, v8
	v_mov_b32_e32 v15, v9
	;; [unrolled: 1-line block ×3, first 2 shown]
	v_pk_mov_b32 v[6:7], v[4:5], v[4:5] op_sel:[0,1]
.LBB205_27:                             ;   Parent Loop BB205_8 Depth=1
                                        ;     Parent Loop BB205_26 Depth=2
                                        ; =>    This Inner Loop Header: Depth=3
	ds_read2_b64 v[18:21], v11 offset1:1
	ds_read2_b64 v[22:25], v15 offset1:1
	v_add_u32_e32 v16, 1, v16
	v_cmp_le_u32_e32 vcc, s10, v16
	v_add_u32_e32 v15, s41, v15
	v_add_u32_e32 v11, 16, v11
	s_waitcnt lgkmcnt(0)
	v_mul_f64 v[26:27], v[20:21], v[24:25]
	v_mul_f64 v[24:25], v[18:19], v[24:25]
	v_fma_f64 v[18:19], v[18:19], v[22:23], -v[26:27]
	v_fmac_f64_e32 v[24:25], v[20:21], v[22:23]
	s_or_b64 s[6:7], vcc, s[6:7]
	v_add_f64 v[4:5], v[4:5], v[18:19]
	v_add_f64 v[6:7], v[6:7], v[24:25]
	s_andn2_b64 exec, exec, s[6:7]
	s_cbranch_execnz .LBB205_27
; %bb.28:                               ;   in Loop: Header=BB205_26 Depth=2
	s_or_b64 exec, exec, s[6:7]
	v_lshl_add_u32 v11, v10, 4, s48
	v_add_u32_e32 v10, s19, v10
	v_cmp_le_u32_e32 vcc, s10, v10
	v_add_u32_e32 v9, s47, v9
	s_or_b64 s[4:5], vcc, s[4:5]
	v_add_u32_e32 v8, s44, v8
	ds_write2_b64 v11, v[4:5], v[6:7] offset1:1
	s_andn2_b64 exec, exec, s[4:5]
	s_cbranch_execnz .LBB205_26
	s_branch .LBB205_7
.LBB205_29:
	s_and_saveexec_b64 s[2:3], s[0:1]
	s_cbranch_execz .LBB205_34
; %bb.30:
	v_mad_u64_u32 v[2:3], s[0:1], v0, s33, v[0:1]
	v_add_u32_e32 v3, 16, v1
	s_lshl_b32 s7, s18, 4
	s_add_i32 s6, s33, 1
	v_mul_lo_u32 v3, s18, v3
	s_add_i32 s8, s7, 16
	s_mul_i32 s6, s6, s19
	v_add3_u32 v1, v3, v1, 0
	s_mul_i32 s8, s8, s19
	s_mov_b64 s[2:3], 0
	v_mov_b32_e32 v3, s39
.LBB205_31:                             ; =>This Loop Header: Depth=1
                                        ;     Child Loop BB205_32 Depth 2
	s_mov_b64 s[4:5], 0
	v_mov_b32_e32 v6, v1
	v_mov_b32_e32 v4, v2
	;; [unrolled: 1-line block ×3, first 2 shown]
.LBB205_32:                             ;   Parent Loop BB205_31 Depth=1
                                        ; =>  This Inner Loop Header: Depth=2
	ds_read2_b64 v[8:11], v6 offset1:1
	v_ashrrev_i32_e32 v5, 31, v4
	v_add_u32_e32 v7, 1, v7
	v_lshlrev_b64 v[12:13], 4, v[4:5]
	v_cmp_le_i32_e32 vcc, s18, v7
	v_add_co_u32_e64 v12, s[0:1], s38, v12
	v_add_u32_e32 v6, s7, v6
	v_add_u32_e32 v4, s33, v4
	v_addc_co_u32_e64 v13, s[0:1], v3, v13, s[0:1]
	s_or_b64 s[4:5], vcc, s[4:5]
	s_waitcnt lgkmcnt(0)
	global_store_dwordx4 v[12:13], v[8:11], off
	s_andn2_b64 exec, exec, s[4:5]
	s_cbranch_execnz .LBB205_32
; %bb.33:                               ;   in Loop: Header=BB205_31 Depth=1
	s_or_b64 exec, exec, s[4:5]
	v_add_u32_e32 v0, s19, v0
	v_cmp_le_i32_e32 vcc, s18, v0
	v_add_u32_e32 v2, s6, v2
	s_or_b64 s[2:3], vcc, s[2:3]
	v_add_u32_e32 v1, s8, v1
	s_andn2_b64 exec, exec, s[2:3]
	s_cbranch_execnz .LBB205_31
.LBB205_34:
	s_endpgm
	.section	.rodata,"a",@progbits
	.p2align	6, 0x0
	.amdhsa_kernel _ZN9rocsolver6v33100L20larft_kernel_forwardI19rocblas_complex_numIdEPS3_EEv15rocblas_storev_iiT0_iilPT_lS8_il
		.amdhsa_group_segment_fixed_size 0
		.amdhsa_private_segment_fixed_size 0
		.amdhsa_kernarg_size 336
		.amdhsa_user_sgpr_count 6
		.amdhsa_user_sgpr_private_segment_buffer 1
		.amdhsa_user_sgpr_dispatch_ptr 0
		.amdhsa_user_sgpr_queue_ptr 0
		.amdhsa_user_sgpr_kernarg_segment_ptr 1
		.amdhsa_user_sgpr_dispatch_id 0
		.amdhsa_user_sgpr_flat_scratch_init 0
		.amdhsa_user_sgpr_kernarg_preload_length 0
		.amdhsa_user_sgpr_kernarg_preload_offset 0
		.amdhsa_user_sgpr_private_segment_size 0
		.amdhsa_uses_dynamic_stack 0
		.amdhsa_system_sgpr_private_segment_wavefront_offset 0
		.amdhsa_system_sgpr_workgroup_id_x 1
		.amdhsa_system_sgpr_workgroup_id_y 1
		.amdhsa_system_sgpr_workgroup_id_z 0
		.amdhsa_system_sgpr_workgroup_info 0
		.amdhsa_system_vgpr_workitem_id 0
		.amdhsa_next_free_vgpr 28
		.amdhsa_next_free_sgpr 56
		.amdhsa_accum_offset 28
		.amdhsa_reserve_vcc 1
		.amdhsa_reserve_flat_scratch 0
		.amdhsa_float_round_mode_32 0
		.amdhsa_float_round_mode_16_64 0
		.amdhsa_float_denorm_mode_32 3
		.amdhsa_float_denorm_mode_16_64 3
		.amdhsa_dx10_clamp 1
		.amdhsa_ieee_mode 1
		.amdhsa_fp16_overflow 0
		.amdhsa_tg_split 0
		.amdhsa_exception_fp_ieee_invalid_op 0
		.amdhsa_exception_fp_denorm_src 0
		.amdhsa_exception_fp_ieee_div_zero 0
		.amdhsa_exception_fp_ieee_overflow 0
		.amdhsa_exception_fp_ieee_underflow 0
		.amdhsa_exception_fp_ieee_inexact 0
		.amdhsa_exception_int_div_zero 0
	.end_amdhsa_kernel
	.section	.text._ZN9rocsolver6v33100L20larft_kernel_forwardI19rocblas_complex_numIdEPS3_EEv15rocblas_storev_iiT0_iilPT_lS8_il,"axG",@progbits,_ZN9rocsolver6v33100L20larft_kernel_forwardI19rocblas_complex_numIdEPS3_EEv15rocblas_storev_iiT0_iilPT_lS8_il,comdat
.Lfunc_end205:
	.size	_ZN9rocsolver6v33100L20larft_kernel_forwardI19rocblas_complex_numIdEPS3_EEv15rocblas_storev_iiT0_iilPT_lS8_il, .Lfunc_end205-_ZN9rocsolver6v33100L20larft_kernel_forwardI19rocblas_complex_numIdEPS3_EEv15rocblas_storev_iiT0_iilPT_lS8_il
                                        ; -- End function
	.section	.AMDGPU.csdata,"",@progbits
; Kernel info:
; codeLenInByte = 1712
; NumSgprs: 60
; NumVgprs: 28
; NumAgprs: 0
; TotalNumVgprs: 28
; ScratchSize: 0
; MemoryBound: 0
; FloatMode: 240
; IeeeMode: 1
; LDSByteSize: 0 bytes/workgroup (compile time only)
; SGPRBlocks: 7
; VGPRBlocks: 3
; NumSGPRsForWavesPerEU: 60
; NumVGPRsForWavesPerEU: 28
; AccumOffset: 28
; Occupancy: 8
; WaveLimiterHint : 0
; COMPUTE_PGM_RSRC2:SCRATCH_EN: 0
; COMPUTE_PGM_RSRC2:USER_SGPR: 6
; COMPUTE_PGM_RSRC2:TRAP_HANDLER: 0
; COMPUTE_PGM_RSRC2:TGID_X_EN: 1
; COMPUTE_PGM_RSRC2:TGID_Y_EN: 1
; COMPUTE_PGM_RSRC2:TGID_Z_EN: 0
; COMPUTE_PGM_RSRC2:TIDIG_COMP_CNT: 0
; COMPUTE_PGM_RSRC3_GFX90A:ACCUM_OFFSET: 6
; COMPUTE_PGM_RSRC3_GFX90A:TG_SPLIT: 0
	.section	.text._ZN9rocsolver6v33100L21larft_kernel_backwardI19rocblas_complex_numIdEPS3_EEv15rocblas_storev_iiT0_iilPT_lS8_il,"axG",@progbits,_ZN9rocsolver6v33100L21larft_kernel_backwardI19rocblas_complex_numIdEPS3_EEv15rocblas_storev_iiT0_iilPT_lS8_il,comdat
	.globl	_ZN9rocsolver6v33100L21larft_kernel_backwardI19rocblas_complex_numIdEPS3_EEv15rocblas_storev_iiT0_iilPT_lS8_il ; -- Begin function _ZN9rocsolver6v33100L21larft_kernel_backwardI19rocblas_complex_numIdEPS3_EEv15rocblas_storev_iiT0_iilPT_lS8_il
	.p2align	8
	.type	_ZN9rocsolver6v33100L21larft_kernel_backwardI19rocblas_complex_numIdEPS3_EEv15rocblas_storev_iiT0_iilPT_lS8_il,@function
_ZN9rocsolver6v33100L21larft_kernel_backwardI19rocblas_complex_numIdEPS3_EEv15rocblas_storev_iiT0_iilPT_lS8_il: ; @_ZN9rocsolver6v33100L21larft_kernel_backwardI19rocblas_complex_numIdEPS3_EEv15rocblas_storev_iiT0_iilPT_lS8_il
; %bb.0:
	s_load_dword s2, s[4:5], 0x5c
	s_load_dword s30, s[4:5], 0x40
	s_load_dwordx2 s[0:1], s[4:5], 0x48
	s_load_dwordx4 s[16:19], s[4:5], 0x0
	s_load_dwordx8 s[8:15], s[4:5], 0x20
	s_waitcnt lgkmcnt(0)
	s_and_b32 s19, s2, 0xffff
	s_ashr_i32 s6, s7, 31
	s_mul_i32 s1, s7, s1
	s_mul_hi_u32 s2, s7, s0
	s_add_i32 s1, s2, s1
	s_mul_i32 s2, s6, s0
	s_add_i32 s1, s1, s2
	s_mul_i32 s0, s7, s0
	s_lshl_b64 s[0:1], s[0:1], 4
	s_add_u32 s31, s14, s0
	s_addc_u32 s33, s15, s1
	v_cmp_gt_i32_e64 s[0:1], s18, v0
	v_add_u32_e32 v1, 1, v0
	s_and_saveexec_b64 s[2:3], s[0:1]
	s_cbranch_execz .LBB206_5
; %bb.1:
	s_lshl_b32 s22, s18, 4
	s_add_i32 s14, s22, 0
	v_add_u32_e32 v4, 1, v0
	v_lshl_add_u32 v5, v0, 4, s14
	s_lshl_b32 s23, s19, 4
	s_mov_b64 s[14:15], 0
	v_mov_b32_e32 v6, s33
	v_mov_b32_e32 v7, v0
.LBB206_2:                              ; =>This Loop Header: Depth=1
                                        ;     Child Loop BB206_3 Depth 2
	s_mov_b64 s[20:21], 0
	v_mov_b32_e32 v2, v7
	v_mov_b32_e32 v8, v5
	s_mov_b32 s24, 0
.LBB206_3:                              ;   Parent Loop BB206_2 Depth=1
                                        ; =>  This Inner Loop Header: Depth=2
	v_ashrrev_i32_e32 v3, 31, v2
	v_lshlrev_b64 v[10:11], 4, v[2:3]
	v_add_co_u32_e32 v10, vcc, s31, v10
	v_addc_co_u32_e32 v11, vcc, v6, v11, vcc
	global_load_dwordx4 v[10:13], v[10:11], off
	s_add_i32 s24, s24, 1
	v_cmp_eq_u32_e32 vcc, s24, v4
	v_add_u32_e32 v2, s30, v2
	s_or_b64 s[20:21], vcc, s[20:21]
	s_waitcnt vmcnt(0)
	ds_write2_b64 v8, v[10:11], v[12:13] offset1:1
	v_add_u32_e32 v8, s22, v8
	s_andn2_b64 exec, exec, s[20:21]
	s_cbranch_execnz .LBB206_3
; %bb.4:                                ;   in Loop: Header=BB206_2 Depth=1
	s_or_b64 exec, exec, s[20:21]
	v_add_u32_e32 v7, s19, v7
	v_cmp_le_i32_e32 vcc, s18, v7
	v_add_u32_e32 v4, s19, v4
	s_or_b64 s[14:15], vcc, s[14:15]
	v_add_u32_e32 v5, s23, v5
	s_andn2_b64 exec, exec, s[14:15]
	s_cbranch_execnz .LBB206_2
.LBB206_5:
	s_or_b64 exec, exec, s[2:3]
	s_cmp_lt_i32 s18, 2
	s_waitcnt lgkmcnt(0)
	s_barrier
	s_cbranch_scc1 .LBB206_29
; %bb.6:
	s_load_dwordx4 s[20:23], s[4:5], 0x10
	s_mul_i32 s2, s7, s13
	s_mul_hi_u32 s3, s7, s12
	s_add_i32 s4, s3, s2
	s_mul_i32 s5, s6, s12
	s_add_i32 s5, s4, s5
	s_mul_i32 s4, s7, s12
	s_waitcnt lgkmcnt(0)
	s_ashr_i32 s3, s22, 31
	s_lshl_b64 s[4:5], s[4:5], 4
	s_mov_b32 s2, s22
	s_add_u32 s22, s10, s4
	s_addc_u32 s34, s11, s5
	s_lshl_b32 s35, s18, 4
	s_add_i32 s36, s35, 0
	s_add_i32 s10, s18, -2
	s_sub_i32 s37, s17, s18
	s_cmpk_lg_i32 s16, 0xb5
	s_mul_i32 s4, s8, s6
	s_mul_hi_u32 s5, s8, s7
	s_cselect_b64 s[12:13], -1, 0
	s_add_i32 s4, s5, s4
	s_mul_i32 s5, s9, s7
	s_add_i32 s5, s4, s5
	s_mul_i32 s4, s8, s7
	s_lshl_b64 s[4:5], s[4:5], 4
	s_lshl_b64 s[2:3], s[2:3], 4
	s_mov_b32 s11, 0
	s_add_u32 s6, s4, s2
	s_addc_u32 s7, s5, s3
	s_lshl_b64 s[2:3], s[10:11], 4
	s_add_u32 s4, s20, s2
	s_addc_u32 s5, s21, s3
	s_add_u32 s4, s4, s6
	v_lshlrev_b32_e32 v4, 4, v0
	s_addc_u32 s5, s5, s7
	v_mov_b32_e32 v2, s5
	v_add_co_u32_e32 v3, vcc, s4, v4
	s_ashr_i32 s5, s23, 31
	s_mov_b32 s4, s23
	s_lshl_b32 s38, s19, 4
	s_lshl_b64 s[8:9], s[4:5], 4
	s_add_u32 s4, s6, s20
	s_addc_u32 s5, s7, s21
	s_add_u32 s40, s4, 8
	s_addc_u32 s41, s5, 0
	;; [unrolled: 2-line block ×3, first 2 shown]
	s_add_i32 s2, s18, -1
	s_mul_i32 s16, s23, s2
	s_add_i32 s2, s35, 16
	v_addc_co_u32_e32 v5, vcc, 0, v2, vcc
	s_mul_i32 s2, s18, s2
	v_add_co_u32_e32 v2, vcc, 16, v3
	s_add_i32 s2, s2, 0
	v_addc_co_u32_e32 v3, vcc, 0, v5, vcc
	s_mov_b32 s39, s11
	s_mul_i32 s14, s23, s10
	v_mul_lo_u32 v12, v0, s23
	s_mul_i32 s44, s23, s19
	v_add3_u32 v13, s2, v4, -16
	s_xor_b32 s45, s35, -16
	s_branch .LBB206_8
.LBB206_7:                              ;   in Loop: Header=BB206_8 Depth=1
	s_or_b64 exec, exec, s[2:3]
	s_add_i32 s2, s10, -1
	s_add_u32 s42, s42, -16
	v_add_co_u32_e32 v2, vcc, -16, v2
	s_addc_u32 s43, s43, -1
	s_sub_i32 s14, s14, s23
	s_sub_i32 s16, s16, s23
	v_addc_co_u32_e32 v3, vcc, -1, v3, vcc
	v_add_u32_e32 v13, s45, v13
	s_cmp_lt_i32 s10, 1
	s_mov_b32 s10, s2
	s_waitcnt lgkmcnt(0)
	s_barrier
	s_cbranch_scc1 .LBB206_29
.LBB206_8:                              ; =>This Loop Header: Depth=1
                                        ;     Child Loop BB206_12 Depth 2
                                        ;       Child Loop BB206_14 Depth 3
                                        ;     Child Loop BB206_20 Depth 2
                                        ;       Child Loop BB206_22 Depth 3
	;; [unrolled: 2-line block ×3, first 2 shown]
	s_lshl_b32 s2, s10, 4
	s_not_b32 s46, s10
	s_add_i32 s47, s36, s2
	s_mul_i32 s2, s10, s18
	s_add_i32 s46, s46, s18
	s_lshl_b32 s2, s2, 4
	s_add_i32 s48, s10, s37
	s_add_i32 s47, s47, s2
	s_mov_b64 s[4:5], -1
	s_and_b64 vcc, exec, s[12:13]
	v_cmp_gt_i32_e64 s[2:3], s46, v0
	s_cbranch_vccz .LBB206_16
; %bb.9:                                ;   in Loop: Header=BB206_8 Depth=1
	s_and_saveexec_b64 s[20:21], s[2:3]
	s_cbranch_execz .LBB206_15
; %bb.10:                               ;   in Loop: Header=BB206_8 Depth=1
	s_cmp_gt_i32 s48, 0
	s_cselect_b64 s[2:3], -1, 0
	s_lshl_b64 s[4:5], s[10:11], 4
	s_add_u32 s4, s22, s4
	s_addc_u32 s5, s34, s5
	s_load_dwordx4 s[4:7], s[4:5], 0x0
	s_add_i32 s15, s47, 16
	s_mov_b64 s[24:25], 0
	v_pk_mov_b32 v[4:5], v[2:3], v[2:3] op_sel:[0,1]
	v_mov_b32_e32 v10, v0
	s_branch .LBB206_12
.LBB206_11:                             ;   in Loop: Header=BB206_12 Depth=2
	v_lshlrev_b32_e32 v11, 4, v10
	v_add_u32_e32 v14, s15, v11
	ds_read2_b64 v[14:17], v14 offset1:1
	s_waitcnt lgkmcnt(0)
	v_mul_f64 v[18:19], v[6:7], s[6:7]
	v_mul_f64 v[20:21], v[8:9], s[6:7]
	v_fma_f64 v[8:9], v[8:9], s[4:5], -v[18:19]
	v_fmac_f64_e32 v[20:21], s[4:5], v[6:7]
	v_add_u32_e32 v10, s19, v10
	v_add_f64 v[6:7], v[14:15], v[8:9]
	v_add_f64 v[8:9], v[20:21], v[16:17]
	v_add_u32_e32 v11, 0, v11
	v_cmp_le_i32_e32 vcc, s46, v10
	ds_write2_b64 v11, v[6:7], v[8:9] offset1:1
	v_mov_b32_e32 v6, s39
	s_or_b64 s[24:25], vcc, s[24:25]
	v_add_co_u32_e32 v4, vcc, s38, v4
	v_addc_co_u32_e32 v5, vcc, v5, v6, vcc
	s_andn2_b64 exec, exec, s[24:25]
	s_cbranch_execz .LBB206_15
.LBB206_12:                             ;   Parent Loop BB206_8 Depth=1
                                        ; =>  This Loop Header: Depth=2
                                        ;       Child Loop BB206_14 Depth 3
	v_pk_mov_b32 v[6:7], 0, 0
	s_andn2_b64 vcc, exec, s[2:3]
	v_pk_mov_b32 v[8:9], v[6:7], v[6:7] op_sel:[0,1]
	s_cbranch_vccnz .LBB206_11
; %bb.13:                               ;   in Loop: Header=BB206_12 Depth=2
	v_pk_mov_b32 v[6:7], 0, 0
	s_mov_b64 s[26:27], 0
	s_mov_b32 s17, 0
	v_pk_mov_b32 v[8:9], v[6:7], v[6:7] op_sel:[0,1]
.LBB206_14:                             ;   Parent Loop BB206_8 Depth=1
                                        ;     Parent Loop BB206_12 Depth=2
                                        ; =>    This Inner Loop Header: Depth=3
	v_mov_b32_e32 v11, s27
	v_add_co_u32_e32 v14, vcc, s26, v4
	v_addc_co_u32_e32 v15, vcc, v5, v11, vcc
	global_load_dwordx4 v[14:17], v[14:15], off
	s_add_u32 s28, s42, s26
	s_addc_u32 s29, s43, s27
	s_add_u32 s28, s28, -8
	s_addc_u32 s29, s29, -1
	s_load_dwordx4 s[52:55], s[28:29], 0x0
	s_add_i32 s17, s17, 1
	s_add_u32 s26, s26, s8
	s_addc_u32 s27, s27, s9
	s_cmp_ge_i32 s17, s48
	s_waitcnt vmcnt(0) lgkmcnt(0)
	v_mul_f64 v[18:19], s[54:55], v[16:17]
	v_mul_f64 v[20:21], s[54:55], v[14:15]
	v_fmac_f64_e32 v[18:19], s[52:53], v[14:15]
	v_fma_f64 v[14:15], s[52:53], v[16:17], -v[20:21]
	v_add_f64 v[8:9], v[8:9], v[18:19]
	v_add_f64 v[6:7], v[6:7], v[14:15]
	s_cbranch_scc0 .LBB206_14
	s_branch .LBB206_11
.LBB206_15:                             ;   in Loop: Header=BB206_8 Depth=1
	s_or_b64 exec, exec, s[20:21]
	s_mov_b64 s[4:5], 0
.LBB206_16:                             ;   in Loop: Header=BB206_8 Depth=1
	s_andn2_b64 vcc, exec, s[4:5]
	s_cbranch_vccnz .LBB206_24
; %bb.17:                               ;   in Loop: Header=BB206_8 Depth=1
	v_cmp_gt_i32_e32 vcc, s46, v0
	s_and_saveexec_b64 s[2:3], vcc
	s_cbranch_execz .LBB206_23
; %bb.18:                               ;   in Loop: Header=BB206_8 Depth=1
	s_ashr_i32 s15, s14, 31
	s_lshl_b64 s[4:5], s[14:15], 4
	s_add_u32 s20, s40, s4
	s_addc_u32 s21, s41, s5
	s_ashr_i32 s17, s16, 31
	s_lshl_b64 s[26:27], s[16:17], 4
	s_cmp_gt_i32 s48, 0
	s_cselect_b64 s[24:25], -1, 0
	s_lshl_b64 s[4:5], s[10:11], 4
	s_add_u32 s4, s22, s4
	s_addc_u32 s5, s34, s5
	s_load_dwordx4 s[4:7], s[4:5], 0x0
	s_add_i32 s15, s47, 16
	s_add_u32 s17, s40, s26
	s_addc_u32 s49, s41, s27
	s_mov_b64 s[26:27], 0
	v_mov_b32_e32 v4, v12
	v_mov_b32_e32 v14, v0
	s_branch .LBB206_20
.LBB206_19:                             ;   in Loop: Header=BB206_20 Depth=2
	v_lshlrev_b32_e32 v5, 4, v14
	v_add_u32_e32 v10, s15, v5
	ds_read2_b64 v[16:19], v10 offset1:1
	s_waitcnt lgkmcnt(0)
	v_mul_f64 v[10:11], v[6:7], s[6:7]
	v_mul_f64 v[20:21], v[8:9], s[6:7]
	v_add_u32_e32 v14, s19, v14
	v_fma_f64 v[8:9], v[8:9], s[4:5], -v[10:11]
	v_fmac_f64_e32 v[20:21], s[4:5], v[6:7]
	v_cmp_le_i32_e32 vcc, s46, v14
	v_add_f64 v[6:7], v[16:17], v[8:9]
	v_add_f64 v[8:9], v[20:21], v[18:19]
	v_add_u32_e32 v5, 0, v5
	s_or_b64 s[26:27], vcc, s[26:27]
	v_add_u32_e32 v4, s44, v4
	ds_write2_b64 v5, v[6:7], v[8:9] offset1:1
	s_andn2_b64 exec, exec, s[26:27]
	s_cbranch_execz .LBB206_23
.LBB206_20:                             ;   Parent Loop BB206_8 Depth=1
                                        ; =>  This Loop Header: Depth=2
                                        ;       Child Loop BB206_22 Depth 3
	v_pk_mov_b32 v[6:7], 0, 0
	s_andn2_b64 vcc, exec, s[24:25]
	v_pk_mov_b32 v[8:9], v[6:7], v[6:7] op_sel:[0,1]
	s_cbranch_vccnz .LBB206_19
; %bb.21:                               ;   in Loop: Header=BB206_20 Depth=2
	v_ashrrev_i32_e32 v5, 31, v4
	v_lshlrev_b64 v[6:7], 4, v[4:5]
	v_mov_b32_e32 v5, s49
	v_add_co_u32_e32 v10, vcc, s17, v6
	v_addc_co_u32_e32 v11, vcc, v5, v7, vcc
	v_pk_mov_b32 v[6:7], 0, 0
	s_mov_b32 s50, 0
	s_mov_b64 s[28:29], s[20:21]
	v_pk_mov_b32 v[8:9], v[6:7], v[6:7] op_sel:[0,1]
.LBB206_22:                             ;   Parent Loop BB206_8 Depth=1
                                        ;     Parent Loop BB206_20 Depth=2
                                        ; =>    This Inner Loop Header: Depth=3
	global_load_dwordx4 v[16:19], v[10:11], off offset:-8
	s_add_u32 s52, s28, -8
	s_addc_u32 s53, s29, -1
	s_load_dwordx4 s[52:55], s[52:53], 0x0
	s_add_i32 s50, s50, 1
	s_add_u32 s28, s28, 16
	v_add_co_u32_e32 v10, vcc, 16, v10
	s_addc_u32 s29, s29, 0
	v_addc_co_u32_e32 v11, vcc, 0, v11, vcc
	s_cmp_ge_i32 s50, s48
	s_waitcnt vmcnt(0) lgkmcnt(0)
	v_mul_f64 v[20:21], v[18:19], s[54:55]
	v_mul_f64 v[18:19], v[18:19], s[52:53]
	v_fmac_f64_e32 v[20:21], s[52:53], v[16:17]
	v_fma_f64 v[16:17], v[16:17], s[54:55], -v[18:19]
	v_add_f64 v[8:9], v[8:9], v[20:21]
	v_add_f64 v[6:7], v[6:7], v[16:17]
	s_cbranch_scc0 .LBB206_22
	s_branch .LBB206_19
.LBB206_23:                             ;   in Loop: Header=BB206_8 Depth=1
	s_or_b64 exec, exec, s[2:3]
.LBB206_24:                             ;   in Loop: Header=BB206_8 Depth=1
	v_cmp_gt_i32_e32 vcc, s46, v0
	s_waitcnt lgkmcnt(0)
	s_barrier
	s_and_saveexec_b64 s[2:3], vcc
	s_cbranch_execz .LBB206_7
; %bb.25:                               ;   in Loop: Header=BB206_8 Depth=1
	s_add_i32 s47, s47, 16
	s_mov_b64 s[4:5], 0
	v_mov_b32_e32 v8, v13
	v_mov_b32_e32 v9, v0
.LBB206_26:                             ;   Parent Loop BB206_8 Depth=1
                                        ; =>  This Loop Header: Depth=2
                                        ;       Child Loop BB206_27 Depth 3
	v_pk_mov_b32 v[4:5], 0, 0
	s_mov_b32 s15, -1
	s_mov_b32 s17, 0
	s_mov_b64 s[6:7], 0
	v_mov_b32_e32 v10, v8
	v_pk_mov_b32 v[6:7], v[4:5], v[4:5] op_sel:[0,1]
.LBB206_27:                             ;   Parent Loop BB206_8 Depth=1
                                        ;     Parent Loop BB206_26 Depth=2
                                        ; =>    This Inner Loop Header: Depth=3
	v_mov_b32_e32 v11, s17
	ds_read2_b64 v[14:17], v10 offset1:1
	ds_read2_b64 v[18:21], v11 offset1:1
	s_add_i32 s15, s15, 1
	s_add_i32 s17, s17, 16
	v_cmp_eq_u32_e32 vcc, s15, v9
	v_add_u32_e32 v10, s35, v10
	s_waitcnt lgkmcnt(0)
	v_mul_f64 v[22:23], v[20:21], v[16:17]
	v_mul_f64 v[16:17], v[18:19], v[16:17]
	v_fma_f64 v[18:19], v[18:19], v[14:15], -v[22:23]
	v_fmac_f64_e32 v[16:17], v[20:21], v[14:15]
	s_or_b64 s[6:7], vcc, s[6:7]
	v_add_f64 v[4:5], v[4:5], v[18:19]
	v_add_f64 v[6:7], v[6:7], v[16:17]
	s_andn2_b64 exec, exec, s[6:7]
	s_cbranch_execnz .LBB206_27
; %bb.28:                               ;   in Loop: Header=BB206_26 Depth=2
	s_or_b64 exec, exec, s[6:7]
	v_lshl_add_u32 v10, v9, 4, s47
	v_add_u32_e32 v9, s19, v9
	v_cmp_le_i32_e32 vcc, s46, v9
	s_or_b64 s[4:5], vcc, s[4:5]
	v_add_u32_e32 v8, s38, v8
	ds_write2_b64 v10, v[4:5], v[6:7] offset1:1
	s_andn2_b64 exec, exec, s[4:5]
	s_cbranch_execnz .LBB206_26
	s_branch .LBB206_7
.LBB206_29:
	s_and_saveexec_b64 s[2:3], s[0:1]
	s_cbranch_execz .LBB206_34
; %bb.30:
	s_lshl_b32 s6, s18, 4
	s_add_i32 s0, s6, 0
	v_lshl_add_u32 v4, v0, 4, s0
	s_lshl_b32 s7, s19, 4
	s_mov_b64 s[2:3], 0
	v_mov_b32_e32 v5, s33
.LBB206_31:                             ; =>This Loop Header: Depth=1
                                        ;     Child Loop BB206_32 Depth 2
	s_mov_b64 s[4:5], 0
	v_mov_b32_e32 v6, v4
	v_mov_b32_e32 v2, v0
	s_mov_b32 s8, 0
.LBB206_32:                             ;   Parent Loop BB206_31 Depth=1
                                        ; =>  This Inner Loop Header: Depth=2
	ds_read2_b64 v[8:11], v6 offset1:1
	v_ashrrev_i32_e32 v3, 31, v2
	s_add_i32 s8, s8, 1
	v_lshlrev_b64 v[12:13], 4, v[2:3]
	v_cmp_eq_u32_e32 vcc, s8, v1
	v_add_co_u32_e64 v12, s[0:1], s31, v12
	v_add_u32_e32 v6, s6, v6
	v_add_u32_e32 v2, s30, v2
	v_addc_co_u32_e64 v13, s[0:1], v5, v13, s[0:1]
	s_or_b64 s[4:5], vcc, s[4:5]
	s_waitcnt lgkmcnt(0)
	global_store_dwordx4 v[12:13], v[8:11], off
	s_andn2_b64 exec, exec, s[4:5]
	s_cbranch_execnz .LBB206_32
; %bb.33:                               ;   in Loop: Header=BB206_31 Depth=1
	s_or_b64 exec, exec, s[4:5]
	v_add_u32_e32 v0, s19, v0
	v_cmp_le_i32_e32 vcc, s18, v0
	v_add_u32_e32 v1, s19, v1
	s_or_b64 s[2:3], vcc, s[2:3]
	v_add_u32_e32 v4, s7, v4
	s_andn2_b64 exec, exec, s[2:3]
	s_cbranch_execnz .LBB206_31
.LBB206_34:
	s_endpgm
	.section	.rodata,"a",@progbits
	.p2align	6, 0x0
	.amdhsa_kernel _ZN9rocsolver6v33100L21larft_kernel_backwardI19rocblas_complex_numIdEPS3_EEv15rocblas_storev_iiT0_iilPT_lS8_il
		.amdhsa_group_segment_fixed_size 0
		.amdhsa_private_segment_fixed_size 0
		.amdhsa_kernarg_size 336
		.amdhsa_user_sgpr_count 6
		.amdhsa_user_sgpr_private_segment_buffer 1
		.amdhsa_user_sgpr_dispatch_ptr 0
		.amdhsa_user_sgpr_queue_ptr 0
		.amdhsa_user_sgpr_kernarg_segment_ptr 1
		.amdhsa_user_sgpr_dispatch_id 0
		.amdhsa_user_sgpr_flat_scratch_init 0
		.amdhsa_user_sgpr_kernarg_preload_length 0
		.amdhsa_user_sgpr_kernarg_preload_offset 0
		.amdhsa_user_sgpr_private_segment_size 0
		.amdhsa_uses_dynamic_stack 0
		.amdhsa_system_sgpr_private_segment_wavefront_offset 0
		.amdhsa_system_sgpr_workgroup_id_x 1
		.amdhsa_system_sgpr_workgroup_id_y 1
		.amdhsa_system_sgpr_workgroup_id_z 0
		.amdhsa_system_sgpr_workgroup_info 0
		.amdhsa_system_vgpr_workitem_id 0
		.amdhsa_next_free_vgpr 24
		.amdhsa_next_free_sgpr 56
		.amdhsa_accum_offset 24
		.amdhsa_reserve_vcc 1
		.amdhsa_reserve_flat_scratch 0
		.amdhsa_float_round_mode_32 0
		.amdhsa_float_round_mode_16_64 0
		.amdhsa_float_denorm_mode_32 3
		.amdhsa_float_denorm_mode_16_64 3
		.amdhsa_dx10_clamp 1
		.amdhsa_ieee_mode 1
		.amdhsa_fp16_overflow 0
		.amdhsa_tg_split 0
		.amdhsa_exception_fp_ieee_invalid_op 0
		.amdhsa_exception_fp_denorm_src 0
		.amdhsa_exception_fp_ieee_div_zero 0
		.amdhsa_exception_fp_ieee_overflow 0
		.amdhsa_exception_fp_ieee_underflow 0
		.amdhsa_exception_fp_ieee_inexact 0
		.amdhsa_exception_int_div_zero 0
	.end_amdhsa_kernel
	.section	.text._ZN9rocsolver6v33100L21larft_kernel_backwardI19rocblas_complex_numIdEPS3_EEv15rocblas_storev_iiT0_iilPT_lS8_il,"axG",@progbits,_ZN9rocsolver6v33100L21larft_kernel_backwardI19rocblas_complex_numIdEPS3_EEv15rocblas_storev_iiT0_iilPT_lS8_il,comdat
.Lfunc_end206:
	.size	_ZN9rocsolver6v33100L21larft_kernel_backwardI19rocblas_complex_numIdEPS3_EEv15rocblas_storev_iiT0_iilPT_lS8_il, .Lfunc_end206-_ZN9rocsolver6v33100L21larft_kernel_backwardI19rocblas_complex_numIdEPS3_EEv15rocblas_storev_iiT0_iilPT_lS8_il
                                        ; -- End function
	.section	.AMDGPU.csdata,"",@progbits
; Kernel info:
; codeLenInByte = 1752
; NumSgprs: 60
; NumVgprs: 24
; NumAgprs: 0
; TotalNumVgprs: 24
; ScratchSize: 0
; MemoryBound: 0
; FloatMode: 240
; IeeeMode: 1
; LDSByteSize: 0 bytes/workgroup (compile time only)
; SGPRBlocks: 7
; VGPRBlocks: 2
; NumSGPRsForWavesPerEU: 60
; NumVGPRsForWavesPerEU: 24
; AccumOffset: 24
; Occupancy: 8
; WaveLimiterHint : 0
; COMPUTE_PGM_RSRC2:SCRATCH_EN: 0
; COMPUTE_PGM_RSRC2:USER_SGPR: 6
; COMPUTE_PGM_RSRC2:TRAP_HANDLER: 0
; COMPUTE_PGM_RSRC2:TGID_X_EN: 1
; COMPUTE_PGM_RSRC2:TGID_Y_EN: 1
; COMPUTE_PGM_RSRC2:TGID_Z_EN: 0
; COMPUTE_PGM_RSRC2:TIDIG_COMP_CNT: 0
; COMPUTE_PGM_RSRC3_GFX90A:ACCUM_OFFSET: 5
; COMPUTE_PGM_RSRC3_GFX90A:TG_SPLIT: 0
	.section	.text._ZN9rocsolver6v33100L9copymatA1I19rocblas_complex_numIdEPS3_EEviiT0_iilPT_,"axG",@progbits,_ZN9rocsolver6v33100L9copymatA1I19rocblas_complex_numIdEPS3_EEviiT0_iilPT_,comdat
	.globl	_ZN9rocsolver6v33100L9copymatA1I19rocblas_complex_numIdEPS3_EEviiT0_iilPT_ ; -- Begin function _ZN9rocsolver6v33100L9copymatA1I19rocblas_complex_numIdEPS3_EEviiT0_iilPT_
	.p2align	8
	.type	_ZN9rocsolver6v33100L9copymatA1I19rocblas_complex_numIdEPS3_EEviiT0_iilPT_,@function
_ZN9rocsolver6v33100L9copymatA1I19rocblas_complex_numIdEPS3_EEviiT0_iilPT_: ; @_ZN9rocsolver6v33100L9copymatA1I19rocblas_complex_numIdEPS3_EEviiT0_iilPT_
; %bb.0:
	s_load_dword s0, s[4:5], 0x34
	s_load_dwordx2 s[2:3], s[4:5], 0x0
	v_and_b32_e32 v1, 0x3ff, v0
	v_bfe_u32 v0, v0, 10, 10
	s_waitcnt lgkmcnt(0)
	s_lshr_b32 s1, s0, 16
	s_and_b32 s0, s0, 0xffff
	s_mul_i32 s6, s6, s0
	s_mul_i32 s7, s7, s1
	v_add_u32_e32 v1, s6, v1
	v_add_u32_e32 v0, s7, v0
	v_cmp_gt_u32_e32 vcc, s2, v0
	v_cmp_gt_u32_e64 s[0:1], s3, v1
	s_and_b64 s[0:1], s[0:1], vcc
	s_and_saveexec_b64 s[6:7], s[0:1]
	s_cbranch_execz .LBB207_2
; %bb.1:
	s_ashr_i32 s0, s2, 31
	s_load_dwordx8 s[12:19], s[4:5], 0x8
	s_mul_hi_u32 s4, s2, s8
	s_mul_i32 s0, s0, s8
	s_ashr_i32 s1, s3, 31
	s_add_i32 s0, s4, s0
	s_mul_i32 s4, s2, s8
	s_mul_i32 s1, s4, s1
	s_mul_hi_u32 s5, s4, s3
	s_add_i32 s1, s5, s1
	s_mul_i32 s0, s0, s3
	s_add_i32 s1, s1, s0
	s_mul_i32 s0, s4, s3
	s_lshl_b64 s[0:1], s[0:1], 4
	s_waitcnt lgkmcnt(0)
	s_add_u32 s3, s18, s0
	s_mul_i32 s4, s8, s17
	s_mul_hi_u32 s5, s8, s16
	s_addc_u32 s6, s19, s1
	s_add_i32 s5, s5, s4
	s_mul_i32 s4, s8, s16
	s_ashr_i32 s1, s14, 31
	s_lshl_b64 s[4:5], s[4:5], 4
	s_mov_b32 s0, s14
	s_add_u32 s4, s12, s4
	s_addc_u32 s5, s13, s5
	s_lshl_b64 s[0:1], s[0:1], 4
	s_add_u32 s4, s4, s0
	s_addc_u32 s5, s5, s1
	v_mad_u64_u32 v[6:7], s[0:1], v1, s15, v[0:1]
	v_mov_b32_e32 v7, 0
	v_lshlrev_b64 v[2:3], 4, v[6:7]
	v_mov_b32_e32 v4, s5
	v_add_co_u32_e32 v2, vcc, s4, v2
	v_addc_co_u32_e32 v3, vcc, v4, v3, vcc
	global_load_dwordx4 v[2:5], v[2:3], off
	v_mad_u64_u32 v[0:1], s[0:1], v1, s2, v[0:1]
	v_mov_b32_e32 v1, v7
	v_lshlrev_b64 v[0:1], 4, v[0:1]
	v_mov_b32_e32 v6, s6
	v_add_co_u32_e32 v0, vcc, s3, v0
	v_addc_co_u32_e32 v1, vcc, v6, v1, vcc
	s_waitcnt vmcnt(0)
	global_store_dwordx4 v[0:1], v[2:5], off
.LBB207_2:
	s_endpgm
	.section	.rodata,"a",@progbits
	.p2align	6, 0x0
	.amdhsa_kernel _ZN9rocsolver6v33100L9copymatA1I19rocblas_complex_numIdEPS3_EEviiT0_iilPT_
		.amdhsa_group_segment_fixed_size 0
		.amdhsa_private_segment_fixed_size 0
		.amdhsa_kernarg_size 296
		.amdhsa_user_sgpr_count 6
		.amdhsa_user_sgpr_private_segment_buffer 1
		.amdhsa_user_sgpr_dispatch_ptr 0
		.amdhsa_user_sgpr_queue_ptr 0
		.amdhsa_user_sgpr_kernarg_segment_ptr 1
		.amdhsa_user_sgpr_dispatch_id 0
		.amdhsa_user_sgpr_flat_scratch_init 0
		.amdhsa_user_sgpr_kernarg_preload_length 0
		.amdhsa_user_sgpr_kernarg_preload_offset 0
		.amdhsa_user_sgpr_private_segment_size 0
		.amdhsa_uses_dynamic_stack 0
		.amdhsa_system_sgpr_private_segment_wavefront_offset 0
		.amdhsa_system_sgpr_workgroup_id_x 1
		.amdhsa_system_sgpr_workgroup_id_y 1
		.amdhsa_system_sgpr_workgroup_id_z 1
		.amdhsa_system_sgpr_workgroup_info 0
		.amdhsa_system_vgpr_workitem_id 1
		.amdhsa_next_free_vgpr 8
		.amdhsa_next_free_sgpr 20
		.amdhsa_accum_offset 8
		.amdhsa_reserve_vcc 1
		.amdhsa_reserve_flat_scratch 0
		.amdhsa_float_round_mode_32 0
		.amdhsa_float_round_mode_16_64 0
		.amdhsa_float_denorm_mode_32 3
		.amdhsa_float_denorm_mode_16_64 3
		.amdhsa_dx10_clamp 1
		.amdhsa_ieee_mode 1
		.amdhsa_fp16_overflow 0
		.amdhsa_tg_split 0
		.amdhsa_exception_fp_ieee_invalid_op 0
		.amdhsa_exception_fp_denorm_src 0
		.amdhsa_exception_fp_ieee_div_zero 0
		.amdhsa_exception_fp_ieee_overflow 0
		.amdhsa_exception_fp_ieee_underflow 0
		.amdhsa_exception_fp_ieee_inexact 0
		.amdhsa_exception_int_div_zero 0
	.end_amdhsa_kernel
	.section	.text._ZN9rocsolver6v33100L9copymatA1I19rocblas_complex_numIdEPS3_EEviiT0_iilPT_,"axG",@progbits,_ZN9rocsolver6v33100L9copymatA1I19rocblas_complex_numIdEPS3_EEviiT0_iilPT_,comdat
.Lfunc_end207:
	.size	_ZN9rocsolver6v33100L9copymatA1I19rocblas_complex_numIdEPS3_EEviiT0_iilPT_, .Lfunc_end207-_ZN9rocsolver6v33100L9copymatA1I19rocblas_complex_numIdEPS3_EEviiT0_iilPT_
                                        ; -- End function
	.section	.AMDGPU.csdata,"",@progbits
; Kernel info:
; codeLenInByte = 296
; NumSgprs: 24
; NumVgprs: 8
; NumAgprs: 0
; TotalNumVgprs: 8
; ScratchSize: 0
; MemoryBound: 0
; FloatMode: 240
; IeeeMode: 1
; LDSByteSize: 0 bytes/workgroup (compile time only)
; SGPRBlocks: 2
; VGPRBlocks: 0
; NumSGPRsForWavesPerEU: 24
; NumVGPRsForWavesPerEU: 8
; AccumOffset: 8
; Occupancy: 8
; WaveLimiterHint : 0
; COMPUTE_PGM_RSRC2:SCRATCH_EN: 0
; COMPUTE_PGM_RSRC2:USER_SGPR: 6
; COMPUTE_PGM_RSRC2:TRAP_HANDLER: 0
; COMPUTE_PGM_RSRC2:TGID_X_EN: 1
; COMPUTE_PGM_RSRC2:TGID_Y_EN: 1
; COMPUTE_PGM_RSRC2:TGID_Z_EN: 1
; COMPUTE_PGM_RSRC2:TIDIG_COMP_CNT: 1
; COMPUTE_PGM_RSRC3_GFX90A:ACCUM_OFFSET: 1
; COMPUTE_PGM_RSRC3_GFX90A:TG_SPLIT: 0
	.section	.text._ZN9rocsolver6v33100L8addmatA1I19rocblas_complex_numIdEPS3_EEviiT0_iilPT_,"axG",@progbits,_ZN9rocsolver6v33100L8addmatA1I19rocblas_complex_numIdEPS3_EEviiT0_iilPT_,comdat
	.globl	_ZN9rocsolver6v33100L8addmatA1I19rocblas_complex_numIdEPS3_EEviiT0_iilPT_ ; -- Begin function _ZN9rocsolver6v33100L8addmatA1I19rocblas_complex_numIdEPS3_EEviiT0_iilPT_
	.p2align	8
	.type	_ZN9rocsolver6v33100L8addmatA1I19rocblas_complex_numIdEPS3_EEviiT0_iilPT_,@function
_ZN9rocsolver6v33100L8addmatA1I19rocblas_complex_numIdEPS3_EEviiT0_iilPT_: ; @_ZN9rocsolver6v33100L8addmatA1I19rocblas_complex_numIdEPS3_EEviiT0_iilPT_
; %bb.0:
	s_load_dword s0, s[4:5], 0x34
	s_load_dwordx2 s[10:11], s[4:5], 0x0
	v_and_b32_e32 v1, 0x3ff, v0
	v_bfe_u32 v0, v0, 10, 10
	s_waitcnt lgkmcnt(0)
	s_lshr_b32 s1, s0, 16
	s_and_b32 s0, s0, 0xffff
	s_mul_i32 s6, s6, s0
	s_mul_i32 s7, s7, s1
	v_add_u32_e32 v1, s6, v1
	v_add_u32_e32 v0, s7, v0
	v_cmp_gt_u32_e32 vcc, s10, v0
	v_cmp_gt_u32_e64 s[0:1], s11, v1
	s_and_b64 s[0:1], s[0:1], vcc
	s_and_saveexec_b64 s[2:3], s[0:1]
	s_cbranch_execz .LBB208_2
; %bb.1:
	s_ashr_i32 s9, s10, 31
	s_load_dwordx8 s[0:7], s[4:5], 0x8
	s_ashr_i32 s12, s11, 31
	s_mul_hi_u32 s13, s10, s8
	s_mul_i32 s9, s9, s8
	s_mul_i32 s14, s10, s8
	s_add_i32 s9, s13, s9
	s_mul_i32 s12, s14, s12
	s_mul_hi_u32 s13, s14, s11
	s_add_i32 s12, s13, s12
	s_mul_i32 s9, s9, s11
	s_add_i32 s13, s12, s9
	s_mul_i32 s12, s14, s11
	s_lshl_b64 s[12:13], s[12:13], 4
	s_waitcnt lgkmcnt(0)
	s_add_u32 s9, s6, s12
	s_addc_u32 s11, s7, s13
	s_ashr_i32 s7, s2, 31
	s_mov_b32 s6, s2
	s_mul_i32 s2, s8, s5
	s_mul_hi_u32 s5, s8, s4
	s_add_i32 s5, s5, s2
	s_mul_i32 s4, s8, s4
	s_lshl_b64 s[4:5], s[4:5], 4
	s_add_u32 s2, s0, s4
	s_addc_u32 s4, s1, s5
	s_lshl_b64 s[0:1], s[6:7], 4
	s_add_u32 s2, s2, s0
	s_addc_u32 s4, s4, s1
	v_mad_u64_u32 v[2:3], s[0:1], v1, s10, v[0:1]
	v_mov_b32_e32 v3, 0
	v_lshlrev_b64 v[4:5], 4, v[2:3]
	v_mad_u64_u32 v[0:1], s[0:1], v1, s3, v[0:1]
	v_mov_b32_e32 v2, s11
	v_add_co_u32_e32 v8, vcc, s9, v4
	v_mov_b32_e32 v1, v3
	v_addc_co_u32_e32 v9, vcc, v2, v5, vcc
	v_lshlrev_b64 v[0:1], 4, v[0:1]
	v_mov_b32_e32 v2, s4
	v_add_co_u32_e32 v10, vcc, s2, v0
	v_addc_co_u32_e32 v11, vcc, v2, v1, vcc
	global_load_dwordx4 v[0:3], v[8:9], off
	global_load_dwordx4 v[4:7], v[10:11], off
	s_waitcnt vmcnt(0)
	v_add_f64 v[0:1], v[4:5], -v[0:1]
	v_add_f64 v[2:3], v[6:7], -v[2:3]
	global_store_dwordx4 v[10:11], v[0:3], off
.LBB208_2:
	s_endpgm
	.section	.rodata,"a",@progbits
	.p2align	6, 0x0
	.amdhsa_kernel _ZN9rocsolver6v33100L8addmatA1I19rocblas_complex_numIdEPS3_EEviiT0_iilPT_
		.amdhsa_group_segment_fixed_size 0
		.amdhsa_private_segment_fixed_size 0
		.amdhsa_kernarg_size 296
		.amdhsa_user_sgpr_count 6
		.amdhsa_user_sgpr_private_segment_buffer 1
		.amdhsa_user_sgpr_dispatch_ptr 0
		.amdhsa_user_sgpr_queue_ptr 0
		.amdhsa_user_sgpr_kernarg_segment_ptr 1
		.amdhsa_user_sgpr_dispatch_id 0
		.amdhsa_user_sgpr_flat_scratch_init 0
		.amdhsa_user_sgpr_kernarg_preload_length 0
		.amdhsa_user_sgpr_kernarg_preload_offset 0
		.amdhsa_user_sgpr_private_segment_size 0
		.amdhsa_uses_dynamic_stack 0
		.amdhsa_system_sgpr_private_segment_wavefront_offset 0
		.amdhsa_system_sgpr_workgroup_id_x 1
		.amdhsa_system_sgpr_workgroup_id_y 1
		.amdhsa_system_sgpr_workgroup_id_z 1
		.amdhsa_system_sgpr_workgroup_info 0
		.amdhsa_system_vgpr_workitem_id 1
		.amdhsa_next_free_vgpr 12
		.amdhsa_next_free_sgpr 15
		.amdhsa_accum_offset 12
		.amdhsa_reserve_vcc 1
		.amdhsa_reserve_flat_scratch 0
		.amdhsa_float_round_mode_32 0
		.amdhsa_float_round_mode_16_64 0
		.amdhsa_float_denorm_mode_32 3
		.amdhsa_float_denorm_mode_16_64 3
		.amdhsa_dx10_clamp 1
		.amdhsa_ieee_mode 1
		.amdhsa_fp16_overflow 0
		.amdhsa_tg_split 0
		.amdhsa_exception_fp_ieee_invalid_op 0
		.amdhsa_exception_fp_denorm_src 0
		.amdhsa_exception_fp_ieee_div_zero 0
		.amdhsa_exception_fp_ieee_overflow 0
		.amdhsa_exception_fp_ieee_underflow 0
		.amdhsa_exception_fp_ieee_inexact 0
		.amdhsa_exception_int_div_zero 0
	.end_amdhsa_kernel
	.section	.text._ZN9rocsolver6v33100L8addmatA1I19rocblas_complex_numIdEPS3_EEviiT0_iilPT_,"axG",@progbits,_ZN9rocsolver6v33100L8addmatA1I19rocblas_complex_numIdEPS3_EEviiT0_iilPT_,comdat
.Lfunc_end208:
	.size	_ZN9rocsolver6v33100L8addmatA1I19rocblas_complex_numIdEPS3_EEviiT0_iilPT_, .Lfunc_end208-_ZN9rocsolver6v33100L8addmatA1I19rocblas_complex_numIdEPS3_EEviiT0_iilPT_
                                        ; -- End function
	.section	.AMDGPU.csdata,"",@progbits
; Kernel info:
; codeLenInByte = 320
; NumSgprs: 19
; NumVgprs: 12
; NumAgprs: 0
; TotalNumVgprs: 12
; ScratchSize: 0
; MemoryBound: 0
; FloatMode: 240
; IeeeMode: 1
; LDSByteSize: 0 bytes/workgroup (compile time only)
; SGPRBlocks: 2
; VGPRBlocks: 1
; NumSGPRsForWavesPerEU: 19
; NumVGPRsForWavesPerEU: 12
; AccumOffset: 12
; Occupancy: 8
; WaveLimiterHint : 0
; COMPUTE_PGM_RSRC2:SCRATCH_EN: 0
; COMPUTE_PGM_RSRC2:USER_SGPR: 6
; COMPUTE_PGM_RSRC2:TRAP_HANDLER: 0
; COMPUTE_PGM_RSRC2:TGID_X_EN: 1
; COMPUTE_PGM_RSRC2:TGID_Y_EN: 1
; COMPUTE_PGM_RSRC2:TGID_Z_EN: 1
; COMPUTE_PGM_RSRC2:TIDIG_COMP_CNT: 1
; COMPUTE_PGM_RSRC3_GFX90A:ACCUM_OFFSET: 2
; COMPUTE_PGM_RSRC3_GFX90A:TG_SPLIT: 0
	.section	.text._ZN9rocsolver6v33100L8copy_matI19rocblas_complex_numIdEPS3_S4_NS0_7no_maskEEEviiT0_iilT1_iilT2_13rocblas_fill_17rocblas_diagonal_,"axG",@progbits,_ZN9rocsolver6v33100L8copy_matI19rocblas_complex_numIdEPS3_S4_NS0_7no_maskEEEviiT0_iilT1_iilT2_13rocblas_fill_17rocblas_diagonal_,comdat
	.globl	_ZN9rocsolver6v33100L8copy_matI19rocblas_complex_numIdEPS3_S4_NS0_7no_maskEEEviiT0_iilT1_iilT2_13rocblas_fill_17rocblas_diagonal_ ; -- Begin function _ZN9rocsolver6v33100L8copy_matI19rocblas_complex_numIdEPS3_S4_NS0_7no_maskEEEviiT0_iilT1_iilT2_13rocblas_fill_17rocblas_diagonal_
	.p2align	8
	.type	_ZN9rocsolver6v33100L8copy_matI19rocblas_complex_numIdEPS3_S4_NS0_7no_maskEEEviiT0_iilT1_iilT2_13rocblas_fill_17rocblas_diagonal_,@function
_ZN9rocsolver6v33100L8copy_matI19rocblas_complex_numIdEPS3_S4_NS0_7no_maskEEEviiT0_iilT1_iilT2_13rocblas_fill_17rocblas_diagonal_: ; @_ZN9rocsolver6v33100L8copy_matI19rocblas_complex_numIdEPS3_S4_NS0_7no_maskEEEviiT0_iilT1_iilT2_13rocblas_fill_17rocblas_diagonal_
; %bb.0:
	s_load_dword s2, s[4:5], 0x54
	s_load_dwordx2 s[0:1], s[4:5], 0x0
	v_bfe_u32 v1, v0, 10, 10
	v_and_b32_e32 v0, 0x3ff, v0
	s_waitcnt lgkmcnt(0)
	s_lshr_b32 s3, s2, 16
	s_and_b32 s2, s2, 0xffff
	s_mul_i32 s7, s7, s3
	s_mul_i32 s6, s6, s2
	v_add_u32_e32 v1, s7, v1
	v_add_u32_e32 v0, s6, v0
	v_cmp_gt_u32_e32 vcc, s0, v0
	v_cmp_gt_u32_e64 s[0:1], s1, v1
	s_and_b64 s[0:1], s[0:1], vcc
	s_and_saveexec_b64 s[2:3], s[0:1]
	s_cbranch_execz .LBB209_14
; %bb.1:
	s_load_dwordx2 s[2:3], s[4:5], 0x3c
	s_waitcnt lgkmcnt(0)
	s_cmpk_lt_i32 s2, 0x7a
	s_cbranch_scc1 .LBB209_4
; %bb.2:
	s_cmpk_gt_i32 s2, 0x7a
	s_cbranch_scc0 .LBB209_5
; %bb.3:
	s_cmpk_lg_i32 s2, 0x7b
	s_mov_b64 s[6:7], -1
	s_cselect_b64 s[10:11], -1, 0
	s_cbranch_execz .LBB209_6
	s_branch .LBB209_7
.LBB209_4:
	s_mov_b64 s[10:11], 0
	s_mov_b64 s[6:7], 0
	s_cbranch_execnz .LBB209_8
	s_branch .LBB209_10
.LBB209_5:
	s_mov_b64 s[6:7], 0
	s_mov_b64 s[10:11], 0
.LBB209_6:
	v_cmp_gt_u32_e32 vcc, v0, v1
	v_cmp_le_u32_e64 s[0:1], v0, v1
	s_andn2_b64 s[6:7], s[6:7], exec
	s_and_b64 s[12:13], vcc, exec
	s_andn2_b64 s[10:11], s[10:11], exec
	s_and_b64 s[0:1], s[0:1], exec
	s_or_b64 s[6:7], s[6:7], s[12:13]
	s_or_b64 s[10:11], s[10:11], s[0:1]
.LBB209_7:
	s_branch .LBB209_10
.LBB209_8:
	s_cmpk_eq_i32 s2, 0x79
	s_mov_b64 s[10:11], -1
	s_cbranch_scc0 .LBB209_10
; %bb.9:
	v_cmp_gt_u32_e32 vcc, v1, v0
	v_cmp_le_u32_e64 s[0:1], v1, v0
	s_andn2_b64 s[6:7], s[6:7], exec
	s_and_b64 s[10:11], vcc, exec
	s_or_b64 s[6:7], s[6:7], s[10:11]
	s_orn2_b64 s[10:11], s[0:1], exec
.LBB209_10:
	s_and_saveexec_b64 s[0:1], s[10:11]
; %bb.11:
	s_cmpk_eq_i32 s3, 0x83
	s_cselect_b64 s[2:3], -1, 0
	v_cmp_eq_u32_e32 vcc, v0, v1
	s_and_b64 s[2:3], s[2:3], vcc
	s_andn2_b64 s[6:7], s[6:7], exec
	s_and_b64 s[2:3], s[2:3], exec
	s_or_b64 s[6:7], s[6:7], s[2:3]
; %bb.12:
	s_or_b64 exec, exec, s[0:1]
	s_and_b64 exec, exec, s[6:7]
	s_cbranch_execz .LBB209_14
; %bb.13:
	s_load_dwordx8 s[12:19], s[4:5], 0x8
	s_waitcnt lgkmcnt(0)
	s_mul_i32 s3, s8, s17
	s_mul_hi_u32 s6, s8, s16
	s_mul_i32 s2, s8, s16
	s_add_i32 s3, s6, s3
	s_ashr_i32 s1, s14, 31
	s_lshl_b64 s[2:3], s[2:3], 4
	s_mov_b32 s0, s14
	s_add_u32 s2, s12, s2
	s_addc_u32 s3, s13, s3
	s_lshl_b64 s[0:1], s[0:1], 4
	s_add_u32 s2, s2, s0
	s_addc_u32 s3, s3, s1
	v_mad_u64_u32 v[6:7], s[0:1], v1, s15, v[0:1]
	v_mov_b32_e32 v7, 0
	v_lshlrev_b64 v[2:3], 4, v[6:7]
	v_mov_b32_e32 v4, s3
	v_add_co_u32_e32 v2, vcc, s2, v2
	v_addc_co_u32_e32 v3, vcc, v4, v3, vcc
	global_load_dwordx4 v[2:5], v[2:3], off
	s_load_dwordx4 s[0:3], s[4:5], 0x28
	s_waitcnt lgkmcnt(0)
	s_ashr_i32 s5, s0, 31
	s_mov_b32 s4, s0
	s_mul_i32 s0, s8, s3
	s_mul_hi_u32 s3, s8, s2
	s_add_i32 s3, s3, s0
	s_mul_i32 s2, s8, s2
	s_lshl_b64 s[2:3], s[2:3], 4
	s_add_u32 s0, s18, s2
	s_addc_u32 s6, s19, s3
	s_lshl_b64 s[2:3], s[4:5], 4
	s_add_u32 s2, s0, s2
	v_mad_u64_u32 v[0:1], s[0:1], v1, s1, v[0:1]
	v_mov_b32_e32 v1, v7
	s_addc_u32 s3, s6, s3
	v_lshlrev_b64 v[0:1], 4, v[0:1]
	v_mov_b32_e32 v6, s3
	v_add_co_u32_e32 v0, vcc, s2, v0
	v_addc_co_u32_e32 v1, vcc, v6, v1, vcc
	s_waitcnt vmcnt(0)
	global_store_dwordx4 v[0:1], v[2:5], off
.LBB209_14:
	s_endpgm
	.section	.rodata,"a",@progbits
	.p2align	6, 0x0
	.amdhsa_kernel _ZN9rocsolver6v33100L8copy_matI19rocblas_complex_numIdEPS3_S4_NS0_7no_maskEEEviiT0_iilT1_iilT2_13rocblas_fill_17rocblas_diagonal_
		.amdhsa_group_segment_fixed_size 0
		.amdhsa_private_segment_fixed_size 0
		.amdhsa_kernarg_size 328
		.amdhsa_user_sgpr_count 6
		.amdhsa_user_sgpr_private_segment_buffer 1
		.amdhsa_user_sgpr_dispatch_ptr 0
		.amdhsa_user_sgpr_queue_ptr 0
		.amdhsa_user_sgpr_kernarg_segment_ptr 1
		.amdhsa_user_sgpr_dispatch_id 0
		.amdhsa_user_sgpr_flat_scratch_init 0
		.amdhsa_user_sgpr_kernarg_preload_length 0
		.amdhsa_user_sgpr_kernarg_preload_offset 0
		.amdhsa_user_sgpr_private_segment_size 0
		.amdhsa_uses_dynamic_stack 0
		.amdhsa_system_sgpr_private_segment_wavefront_offset 0
		.amdhsa_system_sgpr_workgroup_id_x 1
		.amdhsa_system_sgpr_workgroup_id_y 1
		.amdhsa_system_sgpr_workgroup_id_z 1
		.amdhsa_system_sgpr_workgroup_info 0
		.amdhsa_system_vgpr_workitem_id 1
		.amdhsa_next_free_vgpr 8
		.amdhsa_next_free_sgpr 20
		.amdhsa_accum_offset 8
		.amdhsa_reserve_vcc 1
		.amdhsa_reserve_flat_scratch 0
		.amdhsa_float_round_mode_32 0
		.amdhsa_float_round_mode_16_64 0
		.amdhsa_float_denorm_mode_32 3
		.amdhsa_float_denorm_mode_16_64 3
		.amdhsa_dx10_clamp 1
		.amdhsa_ieee_mode 1
		.amdhsa_fp16_overflow 0
		.amdhsa_tg_split 0
		.amdhsa_exception_fp_ieee_invalid_op 0
		.amdhsa_exception_fp_denorm_src 0
		.amdhsa_exception_fp_ieee_div_zero 0
		.amdhsa_exception_fp_ieee_overflow 0
		.amdhsa_exception_fp_ieee_underflow 0
		.amdhsa_exception_fp_ieee_inexact 0
		.amdhsa_exception_int_div_zero 0
	.end_amdhsa_kernel
	.section	.text._ZN9rocsolver6v33100L8copy_matI19rocblas_complex_numIdEPS3_S4_NS0_7no_maskEEEviiT0_iilT1_iilT2_13rocblas_fill_17rocblas_diagonal_,"axG",@progbits,_ZN9rocsolver6v33100L8copy_matI19rocblas_complex_numIdEPS3_S4_NS0_7no_maskEEEviiT0_iilT1_iilT2_13rocblas_fill_17rocblas_diagonal_,comdat
.Lfunc_end209:
	.size	_ZN9rocsolver6v33100L8copy_matI19rocblas_complex_numIdEPS3_S4_NS0_7no_maskEEEviiT0_iilT1_iilT2_13rocblas_fill_17rocblas_diagonal_, .Lfunc_end209-_ZN9rocsolver6v33100L8copy_matI19rocblas_complex_numIdEPS3_S4_NS0_7no_maskEEEviiT0_iilT1_iilT2_13rocblas_fill_17rocblas_diagonal_
                                        ; -- End function
	.section	.AMDGPU.csdata,"",@progbits
; Kernel info:
; codeLenInByte = 492
; NumSgprs: 24
; NumVgprs: 8
; NumAgprs: 0
; TotalNumVgprs: 8
; ScratchSize: 0
; MemoryBound: 0
; FloatMode: 240
; IeeeMode: 1
; LDSByteSize: 0 bytes/workgroup (compile time only)
; SGPRBlocks: 2
; VGPRBlocks: 0
; NumSGPRsForWavesPerEU: 24
; NumVGPRsForWavesPerEU: 8
; AccumOffset: 8
; Occupancy: 8
; WaveLimiterHint : 0
; COMPUTE_PGM_RSRC2:SCRATCH_EN: 0
; COMPUTE_PGM_RSRC2:USER_SGPR: 6
; COMPUTE_PGM_RSRC2:TRAP_HANDLER: 0
; COMPUTE_PGM_RSRC2:TGID_X_EN: 1
; COMPUTE_PGM_RSRC2:TGID_Y_EN: 1
; COMPUTE_PGM_RSRC2:TGID_Z_EN: 1
; COMPUTE_PGM_RSRC2:TIDIG_COMP_CNT: 1
; COMPUTE_PGM_RSRC3_GFX90A:ACCUM_OFFSET: 1
; COMPUTE_PGM_RSRC3_GFX90A:TG_SPLIT: 0
	.section	.text._ZN9rocsolver6v33100L18geqr2_kernel_smallILi256E19rocblas_complex_numIdEidPS3_EEvT1_S5_T3_lS5_lPT2_lPT0_l,"axG",@progbits,_ZN9rocsolver6v33100L18geqr2_kernel_smallILi256E19rocblas_complex_numIdEidPS3_EEvT1_S5_T3_lS5_lPT2_lPT0_l,comdat
	.globl	_ZN9rocsolver6v33100L18geqr2_kernel_smallILi256E19rocblas_complex_numIdEidPS3_EEvT1_S5_T3_lS5_lPT2_lPT0_l ; -- Begin function _ZN9rocsolver6v33100L18geqr2_kernel_smallILi256E19rocblas_complex_numIdEidPS3_EEvT1_S5_T3_lS5_lPT2_lPT0_l
	.p2align	8
	.type	_ZN9rocsolver6v33100L18geqr2_kernel_smallILi256E19rocblas_complex_numIdEidPS3_EEvT1_S5_T3_lS5_lPT2_lPT0_l,@function
_ZN9rocsolver6v33100L18geqr2_kernel_smallILi256E19rocblas_complex_numIdEidPS3_EEvT1_S5_T3_lS5_lPT2_lPT0_l: ; @_ZN9rocsolver6v33100L18geqr2_kernel_smallILi256E19rocblas_complex_numIdEidPS3_EEvT1_S5_T3_lS5_lPT2_lPT0_l
; %bb.0:
	s_load_dwordx8 s[8:15], s[4:5], 0x20
	s_load_dwordx2 s[16:17], s[4:5], 0x0
	s_load_dwordx4 s[0:3], s[4:5], 0x8
	s_load_dword s37, s[4:5], 0x18
	s_load_dwordx2 s[18:19], s[4:5], 0x40
	s_ashr_i32 s6, s7, 31
	s_waitcnt lgkmcnt(0)
	s_mul_i32 s4, s7, s9
	s_mul_hi_u32 s5, s7, s8
	s_add_i32 s4, s5, s4
	s_mul_i32 s5, s6, s8
	s_add_i32 s5, s4, s5
	s_mul_i32 s4, s7, s8
	s_lshl_b64 s[4:5], s[4:5], 4
	s_add_u32 s4, s0, s4
	s_addc_u32 s5, s1, s5
	s_lshl_b64 s[0:1], s[2:3], 4
	s_add_u32 s33, s4, s0
	v_and_b32_e32 v6, 0x7f, v0
	s_addc_u32 s36, s5, s1
	v_cmp_gt_i32_e64 s[0:1], s16, v6
	v_lshrrev_b32_e32 v7, 7, v0
	v_lshlrev_b32_e32 v18, 4, v6
	s_and_saveexec_b64 s[4:5], s[0:1]
	s_cbranch_execz .LBB210_6
; %bb.1:
	v_lshrrev_b32_e32 v1, 7, v0
	v_mul_lo_u32 v2, s16, v1
	v_lshlrev_b32_e32 v2, 4, v2
	v_add3_u32 v8, v2, v18, 0
	v_mad_u64_u32 v[2:3], s[2:3], s37, v1, v[6:7]
	v_cmp_gt_i32_e32 vcc, s17, v1
	s_lshl_b32 s24, s16, 5
	s_lshl_b32 s25, s37, 1
	s_mov_b64 s[8:9], 0
	v_mov_b32_e32 v3, v6
	s_branch .LBB210_3
.LBB210_2:                              ;   in Loop: Header=BB210_3 Depth=1
	s_or_b64 exec, exec, s[20:21]
	v_add_u32_e32 v3, 0x80, v3
	v_cmp_le_i32_e64 s[2:3], s16, v3
	v_add_u32_e32 v8, 0x800, v8
	s_or_b64 s[8:9], s[2:3], s[8:9]
	v_add_u32_e32 v2, 0x80, v2
	s_andn2_b64 exec, exec, s[8:9]
	s_cbranch_execz .LBB210_6
.LBB210_3:                              ; =>This Loop Header: Depth=1
                                        ;     Child Loop BB210_5 Depth 2
	s_and_saveexec_b64 s[20:21], vcc
	s_cbranch_execz .LBB210_2
; %bb.4:                                ;   in Loop: Header=BB210_3 Depth=1
	s_mov_b64 s[22:23], 0
	v_mov_b32_e32 v4, v2
	v_mov_b32_e32 v9, v8
	;; [unrolled: 1-line block ×3, first 2 shown]
.LBB210_5:                              ;   Parent Loop BB210_3 Depth=1
                                        ; =>  This Inner Loop Header: Depth=2
	v_ashrrev_i32_e32 v5, 31, v4
	v_lshlrev_b64 v[12:13], 4, v[4:5]
	v_mov_b32_e32 v11, s36
	v_add_co_u32_e64 v12, s[2:3], s33, v12
	v_addc_co_u32_e64 v13, s[2:3], v11, v13, s[2:3]
	global_load_dwordx4 v[12:15], v[12:13], off
	v_add_u32_e32 v10, 2, v10
	v_cmp_le_i32_e64 s[2:3], s17, v10
	v_add_u32_e32 v4, s25, v4
	s_or_b64 s[22:23], s[2:3], s[22:23]
	s_waitcnt vmcnt(0)
	ds_write2_b64 v9, v[12:13], v[14:15] offset1:1
	v_add_u32_e32 v9, s24, v9
	s_andn2_b64 exec, exec, s[22:23]
	s_cbranch_execnz .LBB210_5
	s_branch .LBB210_2
.LBB210_6:
	s_or_b64 exec, exec, s[4:5]
	s_min_i32 s38, s17, s16
	s_cmp_lt_i32 s38, 1
	s_waitcnt lgkmcnt(0)
	s_barrier
	s_cbranch_scc1 .LBB210_42
; %bb.7:
	s_mul_i32 s2, s7, s13
	s_mul_hi_u32 s3, s7, s12
	v_mbcnt_lo_u32_b32 v1, -1, 0
	s_add_i32 s2, s3, s2
	s_mul_i32 s3, s6, s12
	v_mbcnt_hi_u32_b32 v2, -1, v1
	s_add_i32 s3, s2, s3
	s_mul_i32 s2, s7, s12
	v_and_b32_e32 v3, 63, v2
	s_lshl_b64 s[2:3], s[2:3], 3
	v_cmp_ne_u32_e32 vcc, 63, v3
	s_add_u32 s39, s10, s2
	v_addc_co_u32_e32 v1, vcc, 0, v2, vcc
	s_addc_u32 s40, s11, s3
	s_mul_i32 s2, s7, s19
	s_mul_hi_u32 s3, s7, s18
	v_cmp_gt_u32_e32 vcc, 62, v3
	s_add_i32 s2, s3, s2
	s_mul_i32 s3, s6, s18
	v_cndmask_b32_e64 v4, 0, 1, vcc
	s_add_i32 s3, s2, s3
	s_mul_i32 s2, s7, s18
	v_lshlrev_b32_e32 v4, 1, v4
	v_cmp_gt_u32_e32 vcc, 60, v3
	s_lshl_b64 s[2:3], s[2:3], 4
	v_add_lshl_u32 v19, v4, v2, 2
	v_cndmask_b32_e64 v4, 0, 1, vcc
	s_add_u32 s41, s14, s2
	s_mul_i32 s2, s17, s16
	v_lshlrev_b32_e32 v4, 2, v4
	v_cmp_gt_u32_e32 vcc, 56, v3
	s_addc_u32 s42, s15, s3
	s_lshl_b32 s2, s2, 4
	v_add_lshl_u32 v20, v4, v2, 2
	v_cndmask_b32_e64 v4, 0, 1, vcc
	s_add_i32 s43, s2, 0
	s_lshl_b32 s2, s17, 4
	v_lshlrev_b32_e32 v4, 3, v4
	v_cmp_gt_u32_e32 vcc, 48, v3
	s_add_i32 s44, s43, s2
	v_add_lshl_u32 v21, v4, v2, 2
	v_cndmask_b32_e64 v4, 0, 1, vcc
	v_cmp_gt_u32_e32 vcc, 32, v3
	v_cndmask_b32_e64 v3, 0, 1, vcc
	s_cmp_eq_u64 s[10:11], 0
	v_lshlrev_b32_e32 v4, 4, v4
	v_lshlrev_b32_e32 v3, 5, v3
	s_cselect_b64 s[12:13], -1, 0
	s_cmp_lg_u64 s[10:11], 0
	v_add_lshl_u32 v22, v4, v2, 2
	v_add_lshl_u32 v23, v3, v2, 2
	v_and_b32_e32 v2, 63, v0
	s_cselect_b64 s[10:11], -1, 0
	s_lshl_b32 s45, s16, 4
	v_mul_lo_u32 v4, s16, v0
	s_mov_b32 s9, 0
	v_cmp_eq_u32_e64 s[2:3], 0, v2
	v_lshrrev_b32_e32 v2, 2, v0
	v_lshlrev_b32_e32 v3, 4, v0
	v_add_u32_e32 v4, s16, v4
	s_add_i32 s6, s45, 0
	s_mov_b32 s14, 0
	v_lshlrev_b32_e32 v1, 2, v1
	v_cmp_eq_u32_e64 s[4:5], 0, v0
	v_add3_u32 v24, v3, 0, 16
	s_add_i32 s46, s45, 16
	v_lshl_add_u32 v25, v4, 4, 0
	s_lshl_b32 s47, s16, 12
	v_add_u32_e32 v26, s6, v3
	v_add_u32_e32 v27, s44, v2
	s_brev_b32 s15, 8
	v_mov_b32_e32 v28, 0x260
	v_mov_b32_e32 v8, 0
	v_mov_b32_e32 v29, 0xffffff80
	s_mov_b32 s48, 0
	s_mov_b32 s8, s9
	s_branch .LBB210_9
.LBB210_8:                              ;   in Loop: Header=BB210_9 Depth=1
	s_or_b64 exec, exec, s[6:7]
	s_add_i32 s8, s8, 1
	s_add_i32 s48, s48, s46
	v_add_u32_e32 v24, s46, v24
	v_add_u32_e32 v25, s46, v25
	s_cmp_eq_u32 s8, s38
	v_add_u32_e32 v26, s46, v26
	s_waitcnt lgkmcnt(0)
	s_barrier
	s_cbranch_scc1 .LBB210_42
.LBB210_9:                              ; =>This Loop Header: Depth=1
                                        ;     Child Loop BB210_11 Depth 2
                                        ;     Child Loop BB210_29 Depth 2
	;; [unrolled: 1-line block ×3, first 2 shown]
                                        ;       Child Loop BB210_35 Depth 3
                                        ;     Child Loop BB210_39 Depth 2
                                        ;       Child Loop BB210_41 Depth 3
	s_sub_i32 s49, s16, s8
	s_add_i32 s51, s49, -1
	v_pk_mov_b32 v[2:3], 0, 0
	v_cmp_gt_i32_e64 s[6:7], s51, v0
	v_pk_mov_b32 v[4:5], v[2:3], v[2:3] op_sel:[0,1]
	s_and_saveexec_b64 s[18:19], s[6:7]
	s_cbranch_execz .LBB210_13
; %bb.10:                               ;   in Loop: Header=BB210_9 Depth=1
	v_pk_mov_b32 v[2:3], 0, 0
	s_mov_b64 s[20:21], 0
	v_mov_b32_e32 v9, v24
	v_mov_b32_e32 v10, v0
	v_pk_mov_b32 v[4:5], v[2:3], v[2:3] op_sel:[0,1]
.LBB210_11:                             ;   Parent Loop BB210_9 Depth=1
                                        ; =>  This Inner Loop Header: Depth=2
	ds_read2_b64 v[12:15], v9 offset1:1
	v_add_u32_e32 v10, 0x100, v10
	v_cmp_le_i32_e32 vcc, s51, v10
	v_add_u32_e32 v9, 0x1000, v9
	s_or_b64 s[20:21], vcc, s[20:21]
	s_waitcnt lgkmcnt(0)
	v_mul_f64 v[16:17], v[14:15], v[14:15]
	v_mul_f64 v[30:31], v[12:13], v[14:15]
	v_fmac_f64_e32 v[16:17], v[12:13], v[12:13]
	v_fma_f64 v[12:13], v[12:13], v[14:15], -v[30:31]
	v_add_f64 v[4:5], v[4:5], v[16:17]
	v_add_f64 v[2:3], v[2:3], v[12:13]
	s_andn2_b64 exec, exec, s[20:21]
	s_cbranch_execnz .LBB210_11
; %bb.12:                               ;   in Loop: Header=BB210_9 Depth=1
	s_or_b64 exec, exec, s[20:21]
.LBB210_13:                             ;   in Loop: Header=BB210_9 Depth=1
	s_or_b64 exec, exec, s[18:19]
	ds_bpermute_b32 v10, v1, v4
	ds_bpermute_b32 v11, v1, v5
	;; [unrolled: 1-line block ×4, first 2 shown]
	s_waitcnt lgkmcnt(2)
	v_add_f64 v[4:5], v[4:5], v[10:11]
	ds_bpermute_b32 v10, v19, v4
	s_waitcnt lgkmcnt(1)
	v_add_f64 v[2:3], v[2:3], v[12:13]
	ds_bpermute_b32 v11, v19, v5
	ds_bpermute_b32 v12, v19, v2
	ds_bpermute_b32 v13, v19, v3
	s_waitcnt lgkmcnt(2)
	v_add_f64 v[4:5], v[4:5], v[10:11]
	ds_bpermute_b32 v10, v20, v4
	s_waitcnt lgkmcnt(1)
	v_add_f64 v[2:3], v[2:3], v[12:13]
	ds_bpermute_b32 v11, v20, v5
	ds_bpermute_b32 v12, v20, v2
	ds_bpermute_b32 v13, v20, v3
	s_waitcnt lgkmcnt(2)
	v_add_f64 v[4:5], v[4:5], v[10:11]
	ds_bpermute_b32 v10, v21, v4
	s_waitcnt lgkmcnt(1)
	v_add_f64 v[2:3], v[2:3], v[12:13]
	ds_bpermute_b32 v11, v21, v5
	ds_bpermute_b32 v12, v21, v2
	ds_bpermute_b32 v13, v21, v3
	s_waitcnt lgkmcnt(2)
	v_add_f64 v[4:5], v[4:5], v[10:11]
	ds_bpermute_b32 v10, v22, v4
	s_waitcnt lgkmcnt(1)
	v_add_f64 v[2:3], v[2:3], v[12:13]
	ds_bpermute_b32 v11, v22, v5
	ds_bpermute_b32 v12, v22, v2
	ds_bpermute_b32 v13, v22, v3
	s_waitcnt lgkmcnt(2)
	v_add_f64 v[14:15], v[4:5], v[10:11]
	s_waitcnt lgkmcnt(0)
	v_add_f64 v[4:5], v[2:3], v[12:13]
	ds_bpermute_b32 v2, v23, v14
	ds_bpermute_b32 v3, v23, v15
	;; [unrolled: 1-line block ×4, first 2 shown]
	s_waitcnt lgkmcnt(2)
	v_add_f64 v[2:3], v[14:15], v[2:3]
	s_and_saveexec_b64 s[18:19], s[2:3]
	s_cbranch_execz .LBB210_15
; %bb.14:                               ;   in Loop: Header=BB210_9 Depth=1
	s_waitcnt lgkmcnt(0)
	v_add_f64 v[4:5], v[4:5], v[10:11]
	ds_write2_b64 v27, v[2:3], v[4:5] offset0:2 offset1:3
.LBB210_15:                             ;   in Loop: Header=BB210_9 Depth=1
	s_or_b64 exec, exec, s[18:19]
	s_lshl_b32 s18, s8, 4
	s_add_i32 s50, s18, 0
	s_mul_i32 s18, s8, s16
	s_lshl_b32 s18, s18, 4
	s_add_i32 s50, s50, s18
	s_waitcnt lgkmcnt(0)
	s_barrier
	s_and_saveexec_b64 s[18:19], s[4:5]
	s_cbranch_execz .LBB210_27
; %bb.16:                               ;   in Loop: Header=BB210_9 Depth=1
	v_mov_b32_e32 v4, s44
	ds_read2_b64 v[12:15], v4 offset0:4 offset1:6
	v_mov_b32_e32 v5, s50
	ds_read_b64 v[10:11], v5 offset:8
	ds_read_b64 v[4:5], v4 offset:64
	s_mov_b64 s[28:29], 0
	s_mov_b64 s[24:25], 0
	s_waitcnt lgkmcnt(2)
	v_add_f64 v[2:3], v[2:3], v[12:13]
	v_add_f64 v[2:3], v[2:3], v[14:15]
	s_waitcnt lgkmcnt(1)
	v_mul_f64 v[12:13], v[10:11], v[10:11]
	s_waitcnt lgkmcnt(0)
	v_add_f64 v[16:17], v[2:3], v[4:5]
	v_max_f64 v[2:3], v[16:17], v[12:13]
	v_cmp_nlt_f64_e32 vcc, 0, v[2:3]
                                        ; implicit-def: $sgpr22_sgpr23
                                        ; implicit-def: $sgpr20_sgpr21
                                        ; implicit-def: $sgpr34_sgpr35
                                        ; implicit-def: $sgpr30_sgpr31
	s_and_saveexec_b64 s[26:27], vcc
	s_xor_b64 s[26:27], exec, s[26:27]
                                        ; implicit-def: $vgpr2_vgpr3_vgpr4_vgpr5
	s_cbranch_execz .LBB210_20
; %bb.17:                               ;   in Loop: Header=BB210_9 Depth=1
	s_mov_b32 s20, s9
	s_mov_b32 s21, s9
	s_mov_b32 s22, s9
	s_mov_b32 s23, s9
	v_mov_b32_e32 v9, s44
	v_pk_mov_b32 v[2:3], s[20:21], s[20:21] op_sel:[0,1]
	v_pk_mov_b32 v[4:5], s[22:23], s[22:23] op_sel:[0,1]
	s_mov_b64 s[20:21], 0
	s_and_b64 vcc, exec, s[10:11]
	ds_write2_b64 v9, v[2:3], v[4:5] offset1:1
                                        ; implicit-def: $sgpr34_sgpr35
                                        ; implicit-def: $sgpr30_sgpr31
                                        ; implicit-def: $vgpr2_vgpr3_vgpr4_vgpr5
	s_cbranch_vccz .LBB210_19
; %bb.18:                               ;   in Loop: Header=BB210_9 Depth=1
	v_mov_b32_e32 v2, s50
	ds_read_b64 v[2:3], v2
	s_mov_b64 s[24:25], -1
	s_mov_b64 s[30:31], 1.0
	s_mov_b64 s[34:35], 0
.LBB210_19:                             ;   in Loop: Header=BB210_9 Depth=1
	s_mov_b64 s[22:23], 1.0
	s_and_b64 s[24:25], s[24:25], exec
                                        ; implicit-def: $vgpr12_vgpr13
                                        ; implicit-def: $vgpr16_vgpr17
                                        ; implicit-def: $vgpr10_vgpr11
.LBB210_20:                             ;   in Loop: Header=BB210_9 Depth=1
	s_or_saveexec_b64 s[26:27], s[26:27]
	v_pk_mov_b32 v[14:15], s[34:35], s[34:35] op_sel:[0,1]
	v_pk_mov_b32 v[4:5], s[30:31], s[30:31] op_sel:[0,1]
	s_xor_b64 exec, exec, s[26:27]
	s_cbranch_execz .LBB210_22
; %bb.21:                               ;   in Loop: Header=BB210_9 Depth=1
	s_waitcnt lgkmcnt(0)
	v_mov_b32_e32 v2, s50
	ds_read_b64 v[14:15], v2
	s_andn2_b64 s[24:25], s[24:25], exec
	s_and_b64 s[30:31], s[10:11], exec
	s_or_b64 s[24:25], s[24:25], s[30:31]
	s_waitcnt lgkmcnt(0)
	v_fma_f64 v[2:3], v[14:15], v[14:15], v[12:13]
	v_add_f64 v[2:3], v[16:17], v[2:3]
	v_cmp_gt_f64_e32 vcc, s[14:15], v[2:3]
	v_cndmask_b32_e64 v4, 0, 1, vcc
	v_lshlrev_b32_e32 v4, 8, v4
	v_ldexp_f64 v[2:3], v[2:3], v4
	v_rsq_f64_e32 v[4:5], v[2:3]
	v_cndmask_b32_e32 v9, 0, v29, vcc
	v_cmp_class_f64_e32 vcc, v[2:3], v28
	v_mul_f64 v[16:17], v[2:3], v[4:5]
	v_mul_f64 v[4:5], v[4:5], 0.5
	v_fma_f64 v[30:31], -v[4:5], v[16:17], 0.5
	v_fmac_f64_e32 v[16:17], v[16:17], v[30:31]
	v_fmac_f64_e32 v[4:5], v[4:5], v[30:31]
	v_fma_f64 v[30:31], -v[16:17], v[16:17], v[2:3]
	v_fmac_f64_e32 v[16:17], v[30:31], v[4:5]
	v_fma_f64 v[30:31], -v[16:17], v[16:17], v[2:3]
	v_fmac_f64_e32 v[16:17], v[30:31], v[4:5]
	v_ldexp_f64 v[4:5], v[16:17], v9
	v_cndmask_b32_e32 v3, v5, v3, vcc
	v_cndmask_b32_e32 v2, v4, v2, vcc
	v_xor_b32_e32 v4, 0x80000000, v3
	v_cmp_le_f64_e32 vcc, 0, v[14:15]
	v_cndmask_b32_e32 v3, v3, v4, vcc
	v_add_f64 v[4:5], v[14:15], -v[2:3]
	v_fmac_f64_e32 v[12:13], v[4:5], v[4:5]
	v_div_scale_f64 v[16:17], s[28:29], v[12:13], v[12:13], v[4:5]
	v_rcp_f64_e32 v[30:31], v[16:17]
	v_div_scale_f64 v[32:33], vcc, v[4:5], v[12:13], v[4:5]
	v_mov_b32_e32 v9, s44
	v_fma_f64 v[34:35], -v[16:17], v[30:31], 1.0
	v_fmac_f64_e32 v[30:31], v[30:31], v[34:35]
	v_fma_f64 v[34:35], -v[16:17], v[30:31], 1.0
	v_fmac_f64_e32 v[30:31], v[30:31], v[34:35]
	v_mul_f64 v[34:35], v[32:33], v[30:31]
	v_fma_f64 v[16:17], -v[16:17], v[34:35], v[32:33]
	v_div_scale_f64 v[32:33], s[28:29], v[12:13], v[12:13], -v[10:11]
	v_rcp_f64_e32 v[36:37], v[32:33]
	v_div_fmas_f64 v[16:17], v[16:17], v[30:31], v[34:35]
	v_div_fixup_f64 v[4:5], v[16:17], v[12:13], v[4:5]
	v_fma_f64 v[16:17], -v[32:33], v[36:37], 1.0
	v_fmac_f64_e32 v[36:37], v[36:37], v[16:17]
	v_fma_f64 v[16:17], -v[32:33], v[36:37], 1.0
	v_fmac_f64_e32 v[36:37], v[36:37], v[16:17]
	v_div_scale_f64 v[16:17], vcc, -v[10:11], v[12:13], -v[10:11]
	v_mul_f64 v[30:31], v[16:17], v[36:37]
	v_fma_f64 v[16:17], -v[32:33], v[30:31], v[16:17]
	v_add_f64 v[32:33], v[2:3], -v[14:15]
	v_div_scale_f64 v[34:35], s[28:29], v[2:3], v[2:3], v[32:33]
	v_rcp_f64_e32 v[38:39], v[34:35]
	v_div_fmas_f64 v[14:15], v[16:17], v[36:37], v[30:31]
	v_div_fixup_f64 v[14:15], v[14:15], v[12:13], -v[10:11]
	v_div_scale_f64 v[30:31], s[28:29], v[2:3], v[2:3], -v[10:11]
	v_fma_f64 v[12:13], -v[34:35], v[38:39], 1.0
	v_fmac_f64_e32 v[38:39], v[38:39], v[12:13]
	v_fma_f64 v[12:13], -v[34:35], v[38:39], 1.0
	v_fmac_f64_e32 v[38:39], v[38:39], v[12:13]
	v_div_scale_f64 v[12:13], vcc, v[32:33], v[2:3], v[32:33]
	v_mul_f64 v[16:17], v[12:13], v[38:39]
	v_fma_f64 v[12:13], -v[34:35], v[16:17], v[12:13]
	v_rcp_f64_e32 v[34:35], v[30:31]
	s_nop 0
	v_div_fmas_f64 v[12:13], v[12:13], v[38:39], v[16:17]
	v_div_fixup_f64 v[12:13], v[12:13], v[2:3], v[32:33]
	s_and_b64 s[28:29], s[12:13], exec
	v_fma_f64 v[16:17], -v[30:31], v[34:35], 1.0
	v_fmac_f64_e32 v[34:35], v[34:35], v[16:17]
	v_fma_f64 v[16:17], -v[30:31], v[34:35], 1.0
	v_fmac_f64_e32 v[34:35], v[34:35], v[16:17]
	v_div_scale_f64 v[16:17], vcc, -v[10:11], v[2:3], -v[10:11]
	v_mul_f64 v[32:33], v[16:17], v[34:35]
	v_fma_f64 v[16:17], -v[30:31], v[32:33], v[16:17]
	s_nop 1
	v_div_fmas_f64 v[16:17], v[16:17], v[34:35], v[32:33]
	v_div_fixup_f64 v[10:11], v[16:17], v[2:3], -v[10:11]
	ds_write2_b64 v9, v[12:13], v[10:11] offset1:1
.LBB210_22:                             ;   in Loop: Header=BB210_9 Depth=1
	s_or_b64 exec, exec, s[26:27]
	s_and_saveexec_b64 s[26:27], s[24:25]
	s_cbranch_execz .LBB210_24
; %bb.23:                               ;   in Loop: Header=BB210_9 Depth=1
	s_lshl_b64 s[24:25], s[8:9], 3
	s_add_u32 s24, s39, s24
	s_addc_u32 s25, s40, s25
	s_waitcnt lgkmcnt(0)
	global_store_dwordx2 v8, v[2:3], s[24:25]
	v_mov_b32_e32 v2, 0
	v_mov_b32_e32 v3, 0x3ff00000
	s_or_b64 s[28:29], s[28:29], exec
.LBB210_24:                             ;   in Loop: Header=BB210_9 Depth=1
	s_or_b64 exec, exec, s[26:27]
	v_pk_mov_b32 v[10:11], s[20:21], s[20:21] op_sel:[0,1]
	v_pk_mov_b32 v[12:13], s[22:23], s[22:23] op_sel:[0,1]
	;; [unrolled: 1-line block ×3, first 2 shown]
	s_and_saveexec_b64 s[20:21], s[28:29]
	s_cbranch_execz .LBB210_26
; %bb.25:                               ;   in Loop: Header=BB210_9 Depth=1
	v_mov_b32_e32 v9, v8
	v_mov_b32_e32 v10, s50
	s_waitcnt lgkmcnt(0)
	ds_write2_b64 v10, v[2:3], v[8:9] offset1:1
	v_mov_b32_e32 v2, s44
	ds_read_b64 v[10:11], v2 offset:8
	v_pk_mov_b32 v[12:13], v[4:5], v[4:5] op_sel:[0,1]
	v_pk_mov_b32 v[16:17], v[14:15], v[14:15] op_sel:[0,1]
.LBB210_26:                             ;   in Loop: Header=BB210_9 Depth=1
	s_or_b64 exec, exec, s[20:21]
	v_mov_b32_e32 v9, s44
	s_waitcnt lgkmcnt(0)
	ds_read2_b64 v[2:5], v9 offset1:1
	s_lshl_b64 s[20:21], s[8:9], 4
	s_add_u32 s20, s41, s20
	s_addc_u32 s21, s42, s21
	v_xor_b32_e32 v11, 0x80000000, v11
	ds_write_b64 v9, v[16:17] offset:24
	s_waitcnt lgkmcnt(1)
	global_store_dwordx4 v8, v[2:5], s[20:21]
	ds_write2_b64 v9, v[10:11], v[12:13] offset0:1 offset1:2
.LBB210_27:                             ;   in Loop: Header=BB210_9 Depth=1
	s_or_b64 exec, exec, s[18:19]
	s_waitcnt lgkmcnt(0)
	s_barrier
	s_and_saveexec_b64 s[18:19], s[6:7]
	s_cbranch_execz .LBB210_30
; %bb.28:                               ;   in Loop: Header=BB210_9 Depth=1
	s_mov_b32 s20, 0
	s_mov_b64 s[6:7], 0
	v_mov_b32_e32 v2, v0
.LBB210_29:                             ;   Parent Loop BB210_9 Depth=1
                                        ; =>  This Inner Loop Header: Depth=2
	v_mov_b32_e32 v4, s44
	v_add_u32_e32 v3, s20, v24
	ds_read2_b64 v[10:13], v4 offset0:2 offset1:3
	ds_read2_b64 v[14:17], v3 offset1:1
	v_add_u32_e32 v2, 0x100, v2
	s_addk_i32 s20, 0x1000
	v_cmp_le_i32_e32 vcc, s51, v2
	s_or_b64 s[6:7], vcc, s[6:7]
	s_waitcnt lgkmcnt(0)
	v_mul_f64 v[4:5], v[12:13], v[16:17]
	v_mul_f64 v[16:17], v[10:11], v[16:17]
	v_fma_f64 v[4:5], v[10:11], v[14:15], -v[4:5]
	v_fmac_f64_e32 v[16:17], v[12:13], v[14:15]
	ds_write2_b64 v3, v[4:5], v[16:17] offset1:1
	s_andn2_b64 exec, exec, s[6:7]
	s_cbranch_execnz .LBB210_29
.LBB210_30:                             ;   in Loop: Header=BB210_9 Depth=1
	s_or_b64 exec, exec, s[18:19]
	s_not_b32 s22, s8
	s_add_i32 s22, s22, s17
	v_cmp_gt_i32_e32 vcc, s22, v0
	s_waitcnt lgkmcnt(0)
	s_barrier
	s_and_saveexec_b64 s[6:7], vcc
	s_cbranch_execz .LBB210_36
; %bb.31:                               ;   in Loop: Header=BB210_9 Depth=1
	s_cmp_gt_i32 s49, 0
	s_mov_b64 s[18:19], 0
	s_cselect_b64 s[20:21], -1, 0
	v_mov_b32_e32 v9, v25
	v_mov_b32_e32 v10, v0
	s_branch .LBB210_33
.LBB210_32:                             ;   in Loop: Header=BB210_33 Depth=2
	v_mov_b32_e32 v11, s44
	ds_read2_b64 v[12:15], v11 offset1:1
	v_lshl_add_u32 v11, v10, 4, s43
	v_add_u32_e32 v10, 0x100, v10
	v_cmp_le_i32_e32 vcc, s22, v10
	s_or_b64 s[18:19], vcc, s[18:19]
	s_waitcnt lgkmcnt(0)
	v_mul_f64 v[16:17], v[2:3], v[14:15]
	v_mul_f64 v[14:15], v[4:5], v[14:15]
	v_fma_f64 v[4:5], v[4:5], v[12:13], -v[16:17]
	v_fmac_f64_e32 v[14:15], v[2:3], v[12:13]
	v_add_u32_e32 v9, s47, v9
	ds_write2_b64 v11, v[4:5], v[14:15] offset1:1
	s_andn2_b64 exec, exec, s[18:19]
	s_cbranch_execz .LBB210_36
.LBB210_33:                             ;   Parent Loop BB210_9 Depth=1
                                        ; =>  This Loop Header: Depth=2
                                        ;       Child Loop BB210_35 Depth 3
	v_pk_mov_b32 v[2:3], 0, 0
	s_andn2_b64 vcc, exec, s[20:21]
	v_pk_mov_b32 v[4:5], v[2:3], v[2:3] op_sel:[0,1]
	s_cbranch_vccnz .LBB210_32
; %bb.34:                               ;   in Loop: Header=BB210_33 Depth=2
	v_pk_mov_b32 v[2:3], 0, 0
	s_mov_b32 s23, 0
	s_mov_b32 s24, s48
	v_mov_b32_e32 v11, v9
	v_pk_mov_b32 v[4:5], v[2:3], v[2:3] op_sel:[0,1]
.LBB210_35:                             ;   Parent Loop BB210_9 Depth=1
                                        ;     Parent Loop BB210_33 Depth=2
                                        ; =>    This Inner Loop Header: Depth=3
	v_mov_b32_e32 v16, s24
	ds_read2_b64 v[12:15], v11 offset1:1
	ds_read2_b64 v[30:33], v16 offset1:1
	s_add_i32 s23, s23, 1
	s_add_i32 s24, s24, 16
	v_add_u32_e32 v11, 16, v11
	s_cmp_ge_i32 s23, s49
	s_waitcnt lgkmcnt(0)
	v_mul_f64 v[16:17], v[32:33], v[14:15]
	v_mul_f64 v[32:33], v[32:33], v[12:13]
	v_fmac_f64_e32 v[16:17], v[30:31], v[12:13]
	v_fma_f64 v[12:13], v[30:31], v[14:15], -v[32:33]
	v_add_f64 v[4:5], v[4:5], v[16:17]
	v_add_f64 v[2:3], v[2:3], v[12:13]
	s_cbranch_scc0 .LBB210_35
	s_branch .LBB210_32
.LBB210_36:                             ;   in Loop: Header=BB210_9 Depth=1
	s_or_b64 exec, exec, s[6:7]
	v_cmp_gt_i32_e32 vcc, s49, v0
	s_waitcnt lgkmcnt(0)
	s_barrier
	s_and_saveexec_b64 s[6:7], vcc
	s_cbranch_execz .LBB210_8
; %bb.37:                               ;   in Loop: Header=BB210_9 Depth=1
	s_cmp_gt_i32 s22, 0
	s_mov_b64 s[18:19], 0
	s_cselect_b64 s[20:21], -1, 0
	v_mov_b32_e32 v2, v26
	v_mov_b32_e32 v3, v0
	s_branch .LBB210_39
.LBB210_38:                             ;   in Loop: Header=BB210_39 Depth=2
	v_add_u32_e32 v3, 0x100, v3
	v_cmp_le_i32_e32 vcc, s49, v3
	s_or_b64 s[18:19], vcc, s[18:19]
	v_add_u32_e32 v2, 0x1000, v2
	s_andn2_b64 exec, exec, s[18:19]
	s_cbranch_execz .LBB210_8
.LBB210_39:                             ;   Parent Loop BB210_9 Depth=1
                                        ; =>  This Loop Header: Depth=2
                                        ;       Child Loop BB210_41 Depth 3
	s_andn2_b64 vcc, exec, s[20:21]
	s_cbranch_vccnz .LBB210_38
; %bb.40:                               ;   in Loop: Header=BB210_39 Depth=2
	v_lshl_add_u32 v4, v3, 4, s50
	s_mov_b32 s23, 0
	s_mov_b32 s24, s43
	v_mov_b32_e32 v5, v2
.LBB210_41:                             ;   Parent Loop BB210_9 Depth=1
                                        ;     Parent Loop BB210_39 Depth=2
                                        ; =>    This Inner Loop Header: Depth=3
	v_mov_b32_e32 v9, s24
	ds_read2_b64 v[10:13], v4 offset1:1
	ds_read2_b64 v[14:17], v5 offset1:1
	;; [unrolled: 1-line block ×3, first 2 shown]
	s_add_i32 s23, s23, 1
	s_add_i32 s24, s24, 16
	s_cmp_ge_i32 s23, s22
	s_waitcnt lgkmcnt(0)
	v_mul_f64 v[34:35], v[32:33], v[12:13]
	v_mul_f64 v[12:13], v[30:31], v[12:13]
	v_fma_f64 v[30:31], v[30:31], v[10:11], -v[34:35]
	v_fmac_f64_e32 v[12:13], v[32:33], v[10:11]
	v_add_f64 v[10:11], v[14:15], -v[30:31]
	v_add_f64 v[12:13], v[16:17], -v[12:13]
	ds_write2_b64 v5, v[10:11], v[12:13] offset1:1
	v_add_u32_e32 v5, s45, v5
	s_cbranch_scc0 .LBB210_41
	s_branch .LBB210_38
.LBB210_42:
	s_and_saveexec_b64 s[2:3], s[0:1]
	s_cbranch_execz .LBB210_48
; %bb.43:
	v_mad_u64_u32 v[0:1], s[0:1], s37, v7, v[6:7]
	v_mul_lo_u32 v1, s16, v7
	v_lshlrev_b32_e32 v1, 4, v1
	v_cmp_gt_i32_e32 vcc, s17, v7
	s_lshl_b32 s10, s37, 1
	v_add3_u32 v1, v1, v18, 0
	s_lshl_b32 s11, s16, 5
	s_mov_b64 s[4:5], 0
	s_branch .LBB210_45
.LBB210_44:                             ;   in Loop: Header=BB210_45 Depth=1
	s_or_b64 exec, exec, s[6:7]
	v_add_u32_e32 v6, 0x80, v6
	v_cmp_le_i32_e64 s[0:1], s16, v6
	v_add_u32_e32 v0, 0x80, v0
	s_or_b64 s[4:5], s[0:1], s[4:5]
	v_add_u32_e32 v1, 0x800, v1
	s_andn2_b64 exec, exec, s[4:5]
	s_cbranch_execz .LBB210_48
.LBB210_45:                             ; =>This Loop Header: Depth=1
                                        ;     Child Loop BB210_47 Depth 2
	s_and_saveexec_b64 s[6:7], vcc
	s_cbranch_execz .LBB210_44
; %bb.46:                               ;   in Loop: Header=BB210_45 Depth=1
	s_mov_b64 s[8:9], 0
	v_mov_b32_e32 v4, v1
	v_mov_b32_e32 v2, v0
	;; [unrolled: 1-line block ×3, first 2 shown]
.LBB210_47:                             ;   Parent Loop BB210_45 Depth=1
                                        ; =>  This Inner Loop Header: Depth=2
	ds_read2_b64 v[8:11], v4 offset1:1
	v_ashrrev_i32_e32 v3, 31, v2
	v_add_u32_e32 v5, 2, v5
	v_lshlrev_b64 v[12:13], 4, v[2:3]
	v_mov_b32_e32 v14, s36
	v_cmp_le_i32_e64 s[0:1], s17, v5
	v_add_co_u32_e64 v12, s[2:3], s33, v12
	v_add_u32_e32 v4, s11, v4
	v_add_u32_e32 v2, s10, v2
	v_addc_co_u32_e64 v13, s[2:3], v14, v13, s[2:3]
	s_or_b64 s[8:9], s[0:1], s[8:9]
	s_waitcnt lgkmcnt(0)
	global_store_dwordx4 v[12:13], v[8:11], off
	s_andn2_b64 exec, exec, s[8:9]
	s_cbranch_execnz .LBB210_47
	s_branch .LBB210_44
.LBB210_48:
	s_endpgm
	.section	.rodata,"a",@progbits
	.p2align	6, 0x0
	.amdhsa_kernel _ZN9rocsolver6v33100L18geqr2_kernel_smallILi256E19rocblas_complex_numIdEidPS3_EEvT1_S5_T3_lS5_lPT2_lPT0_l
		.amdhsa_group_segment_fixed_size 0
		.amdhsa_private_segment_fixed_size 0
		.amdhsa_kernarg_size 72
		.amdhsa_user_sgpr_count 6
		.amdhsa_user_sgpr_private_segment_buffer 1
		.amdhsa_user_sgpr_dispatch_ptr 0
		.amdhsa_user_sgpr_queue_ptr 0
		.amdhsa_user_sgpr_kernarg_segment_ptr 1
		.amdhsa_user_sgpr_dispatch_id 0
		.amdhsa_user_sgpr_flat_scratch_init 0
		.amdhsa_user_sgpr_kernarg_preload_length 0
		.amdhsa_user_sgpr_kernarg_preload_offset 0
		.amdhsa_user_sgpr_private_segment_size 0
		.amdhsa_uses_dynamic_stack 0
		.amdhsa_system_sgpr_private_segment_wavefront_offset 0
		.amdhsa_system_sgpr_workgroup_id_x 1
		.amdhsa_system_sgpr_workgroup_id_y 0
		.amdhsa_system_sgpr_workgroup_id_z 1
		.amdhsa_system_sgpr_workgroup_info 0
		.amdhsa_system_vgpr_workitem_id 0
		.amdhsa_next_free_vgpr 40
		.amdhsa_next_free_sgpr 52
		.amdhsa_accum_offset 40
		.amdhsa_reserve_vcc 1
		.amdhsa_reserve_flat_scratch 0
		.amdhsa_float_round_mode_32 0
		.amdhsa_float_round_mode_16_64 0
		.amdhsa_float_denorm_mode_32 3
		.amdhsa_float_denorm_mode_16_64 3
		.amdhsa_dx10_clamp 1
		.amdhsa_ieee_mode 1
		.amdhsa_fp16_overflow 0
		.amdhsa_tg_split 0
		.amdhsa_exception_fp_ieee_invalid_op 0
		.amdhsa_exception_fp_denorm_src 0
		.amdhsa_exception_fp_ieee_div_zero 0
		.amdhsa_exception_fp_ieee_overflow 0
		.amdhsa_exception_fp_ieee_underflow 0
		.amdhsa_exception_fp_ieee_inexact 0
		.amdhsa_exception_int_div_zero 0
	.end_amdhsa_kernel
	.section	.text._ZN9rocsolver6v33100L18geqr2_kernel_smallILi256E19rocblas_complex_numIdEidPS3_EEvT1_S5_T3_lS5_lPT2_lPT0_l,"axG",@progbits,_ZN9rocsolver6v33100L18geqr2_kernel_smallILi256E19rocblas_complex_numIdEidPS3_EEvT1_S5_T3_lS5_lPT2_lPT0_l,comdat
.Lfunc_end210:
	.size	_ZN9rocsolver6v33100L18geqr2_kernel_smallILi256E19rocblas_complex_numIdEidPS3_EEvT1_S5_T3_lS5_lPT2_lPT0_l, .Lfunc_end210-_ZN9rocsolver6v33100L18geqr2_kernel_smallILi256E19rocblas_complex_numIdEidPS3_EEvT1_S5_T3_lS5_lPT2_lPT0_l
                                        ; -- End function
	.section	.AMDGPU.csdata,"",@progbits
; Kernel info:
; codeLenInByte = 3144
; NumSgprs: 56
; NumVgprs: 40
; NumAgprs: 0
; TotalNumVgprs: 40
; ScratchSize: 0
; MemoryBound: 0
; FloatMode: 240
; IeeeMode: 1
; LDSByteSize: 0 bytes/workgroup (compile time only)
; SGPRBlocks: 6
; VGPRBlocks: 4
; NumSGPRsForWavesPerEU: 56
; NumVGPRsForWavesPerEU: 40
; AccumOffset: 40
; Occupancy: 8
; WaveLimiterHint : 0
; COMPUTE_PGM_RSRC2:SCRATCH_EN: 0
; COMPUTE_PGM_RSRC2:USER_SGPR: 6
; COMPUTE_PGM_RSRC2:TRAP_HANDLER: 0
; COMPUTE_PGM_RSRC2:TGID_X_EN: 1
; COMPUTE_PGM_RSRC2:TGID_Y_EN: 0
; COMPUTE_PGM_RSRC2:TGID_Z_EN: 1
; COMPUTE_PGM_RSRC2:TIDIG_COMP_CNT: 0
; COMPUTE_PGM_RSRC3_GFX90A:ACCUM_OFFSET: 9
; COMPUTE_PGM_RSRC3_GFX90A:TG_SPLIT: 0
	.section	.text._ZN9rocsolver6v33100L12restore_diagI19rocblas_complex_numIdEidPS3_EEvPT1_llT2_lT0_lS8_,"axG",@progbits,_ZN9rocsolver6v33100L12restore_diagI19rocblas_complex_numIdEidPS3_EEvPT1_llT2_lT0_lS8_,comdat
	.globl	_ZN9rocsolver6v33100L12restore_diagI19rocblas_complex_numIdEidPS3_EEvPT1_llT2_lT0_lS8_ ; -- Begin function _ZN9rocsolver6v33100L12restore_diagI19rocblas_complex_numIdEidPS3_EEvPT1_llT2_lT0_lS8_
	.p2align	8
	.type	_ZN9rocsolver6v33100L12restore_diagI19rocblas_complex_numIdEidPS3_EEvPT1_llT2_lT0_lS8_,@function
_ZN9rocsolver6v33100L12restore_diagI19rocblas_complex_numIdEidPS3_EEvPT1_llT2_lT0_lS8_: ; @_ZN9rocsolver6v33100L12restore_diagI19rocblas_complex_numIdEidPS3_EEvPT1_llT2_lT0_lS8_
; %bb.0:
	s_load_dword s0, s[4:5], 0x4c
	s_load_dword s1, s[4:5], 0x38
	v_bfe_u32 v0, v0, 10, 10
	s_waitcnt lgkmcnt(0)
	s_lshr_b32 s0, s0, 16
	s_mul_i32 s7, s7, s0
	v_add_u32_e32 v0, s7, v0
	v_cmp_gt_i32_e32 vcc, s1, v0
	s_and_saveexec_b64 s[0:1], vcc
	s_cbranch_execz .LBB211_2
; %bb.1:
	s_load_dwordx2 s[0:1], s[4:5], 0x30
	s_load_dwordx2 s[2:3], s[4:5], 0x20
	s_load_dword s7, s[4:5], 0x28
	s_load_dwordx8 s[8:15], s[4:5], 0x0
	s_ashr_i32 s4, s6, 31
	s_waitcnt lgkmcnt(0)
	s_mul_i32 s1, s6, s1
	s_mul_hi_u32 s5, s6, s0
	s_add_i32 s1, s5, s1
	s_mul_i32 s5, s4, s0
	s_add_i32 s1, s1, s5
	s_mul_i32 s0, s6, s0
	s_lshl_b64 s[0:1], s[0:1], 4
	s_add_u32 s5, s14, s0
	s_addc_u32 s14, s15, s1
	s_lshl_b64 s[0:1], s[2:3], 4
	s_add_u32 s2, s5, s0
	s_addc_u32 s3, s14, s1
	s_mul_i32 s0, s6, s13
	s_mul_hi_u32 s1, s6, s12
	s_add_i32 s0, s1, s0
	s_mul_i32 s4, s4, s12
	s_add_i32 s1, s0, s4
	s_mul_i32 s0, s6, s12
	s_lshl_b64 s[0:1], s[0:1], 3
	s_add_u32 s4, s8, s0
	s_addc_u32 s5, s9, s1
	s_lshl_b64 s[0:1], s[10:11], 3
	s_add_u32 s4, s4, s0
	s_addc_u32 s5, s5, s1
	v_mad_u64_u32 v[2:3], s[0:1], v0, s7, v[0:1]
	v_ashrrev_i32_e32 v1, 31, v0
	v_lshlrev_b64 v[0:1], 3, v[0:1]
	v_mov_b32_e32 v3, s5
	v_add_co_u32_e32 v0, vcc, s4, v0
	v_addc_co_u32_e32 v1, vcc, v3, v1, vcc
	global_load_dwordx2 v[0:1], v[0:1], off
	v_ashrrev_i32_e32 v3, 31, v2
	v_lshlrev_b64 v[2:3], 4, v[2:3]
	v_mov_b32_e32 v5, s3
	v_add_co_u32_e32 v4, vcc, s2, v2
	v_mov_b32_e32 v2, 0
	v_addc_co_u32_e32 v5, vcc, v5, v3, vcc
	v_mov_b32_e32 v3, v2
	s_waitcnt vmcnt(0)
	global_store_dwordx4 v[4:5], v[0:3], off
.LBB211_2:
	s_endpgm
	.section	.rodata,"a",@progbits
	.p2align	6, 0x0
	.amdhsa_kernel _ZN9rocsolver6v33100L12restore_diagI19rocblas_complex_numIdEidPS3_EEvPT1_llT2_lT0_lS8_
		.amdhsa_group_segment_fixed_size 0
		.amdhsa_private_segment_fixed_size 0
		.amdhsa_kernarg_size 320
		.amdhsa_user_sgpr_count 6
		.amdhsa_user_sgpr_private_segment_buffer 1
		.amdhsa_user_sgpr_dispatch_ptr 0
		.amdhsa_user_sgpr_queue_ptr 0
		.amdhsa_user_sgpr_kernarg_segment_ptr 1
		.amdhsa_user_sgpr_dispatch_id 0
		.amdhsa_user_sgpr_flat_scratch_init 0
		.amdhsa_user_sgpr_kernarg_preload_length 0
		.amdhsa_user_sgpr_kernarg_preload_offset 0
		.amdhsa_user_sgpr_private_segment_size 0
		.amdhsa_uses_dynamic_stack 0
		.amdhsa_system_sgpr_private_segment_wavefront_offset 0
		.amdhsa_system_sgpr_workgroup_id_x 1
		.amdhsa_system_sgpr_workgroup_id_y 1
		.amdhsa_system_sgpr_workgroup_id_z 0
		.amdhsa_system_sgpr_workgroup_info 0
		.amdhsa_system_vgpr_workitem_id 1
		.amdhsa_next_free_vgpr 6
		.amdhsa_next_free_sgpr 16
		.amdhsa_accum_offset 8
		.amdhsa_reserve_vcc 1
		.amdhsa_reserve_flat_scratch 0
		.amdhsa_float_round_mode_32 0
		.amdhsa_float_round_mode_16_64 0
		.amdhsa_float_denorm_mode_32 3
		.amdhsa_float_denorm_mode_16_64 3
		.amdhsa_dx10_clamp 1
		.amdhsa_ieee_mode 1
		.amdhsa_fp16_overflow 0
		.amdhsa_tg_split 0
		.amdhsa_exception_fp_ieee_invalid_op 0
		.amdhsa_exception_fp_denorm_src 0
		.amdhsa_exception_fp_ieee_div_zero 0
		.amdhsa_exception_fp_ieee_overflow 0
		.amdhsa_exception_fp_ieee_underflow 0
		.amdhsa_exception_fp_ieee_inexact 0
		.amdhsa_exception_int_div_zero 0
	.end_amdhsa_kernel
	.section	.text._ZN9rocsolver6v33100L12restore_diagI19rocblas_complex_numIdEidPS3_EEvPT1_llT2_lT0_lS8_,"axG",@progbits,_ZN9rocsolver6v33100L12restore_diagI19rocblas_complex_numIdEidPS3_EEvPT1_llT2_lT0_lS8_,comdat
.Lfunc_end211:
	.size	_ZN9rocsolver6v33100L12restore_diagI19rocblas_complex_numIdEidPS3_EEvPT1_llT2_lT0_lS8_, .Lfunc_end211-_ZN9rocsolver6v33100L12restore_diagI19rocblas_complex_numIdEidPS3_EEvPT1_llT2_lT0_lS8_
                                        ; -- End function
	.section	.AMDGPU.csdata,"",@progbits
; Kernel info:
; codeLenInByte = 276
; NumSgprs: 20
; NumVgprs: 6
; NumAgprs: 0
; TotalNumVgprs: 6
; ScratchSize: 0
; MemoryBound: 0
; FloatMode: 240
; IeeeMode: 1
; LDSByteSize: 0 bytes/workgroup (compile time only)
; SGPRBlocks: 2
; VGPRBlocks: 0
; NumSGPRsForWavesPerEU: 20
; NumVGPRsForWavesPerEU: 6
; AccumOffset: 8
; Occupancy: 8
; WaveLimiterHint : 0
; COMPUTE_PGM_RSRC2:SCRATCH_EN: 0
; COMPUTE_PGM_RSRC2:USER_SGPR: 6
; COMPUTE_PGM_RSRC2:TRAP_HANDLER: 0
; COMPUTE_PGM_RSRC2:TGID_X_EN: 1
; COMPUTE_PGM_RSRC2:TGID_Y_EN: 1
; COMPUTE_PGM_RSRC2:TGID_Z_EN: 0
; COMPUTE_PGM_RSRC2:TIDIG_COMP_CNT: 1
; COMPUTE_PGM_RSRC3_GFX90A:ACCUM_OFFSET: 1
; COMPUTE_PGM_RSRC3_GFX90A:TG_SPLIT: 0
	.section	.text._ZN9rocsolver6v33100L16gesdd_flip_signsI19rocblas_complex_numIdEdEEviPT0_lPT_ilS7_ili,"axG",@progbits,_ZN9rocsolver6v33100L16gesdd_flip_signsI19rocblas_complex_numIdEdEEviPT0_lPT_ilS7_ili,comdat
	.globl	_ZN9rocsolver6v33100L16gesdd_flip_signsI19rocblas_complex_numIdEdEEviPT0_lPT_ilS7_ili ; -- Begin function _ZN9rocsolver6v33100L16gesdd_flip_signsI19rocblas_complex_numIdEdEEviPT0_lPT_ilS7_ili
	.p2align	8
	.type	_ZN9rocsolver6v33100L16gesdd_flip_signsI19rocblas_complex_numIdEdEEviPT0_lPT_ilS7_ili,@function
_ZN9rocsolver6v33100L16gesdd_flip_signsI19rocblas_complex_numIdEdEEviPT0_lPT_ilS7_ili: ; @_ZN9rocsolver6v33100L16gesdd_flip_signsI19rocblas_complex_numIdEdEEviPT0_lPT_ilS7_ili
; %bb.0:
	s_load_dword s33, s[4:5], 0x48
	s_waitcnt lgkmcnt(0)
	s_cmp_ge_i32 s7, s33
	s_cbranch_scc1 .LBB212_13
; %bb.1:
	s_load_dword s36, s[4:5], 0x0
	s_load_dwordx4 s[8:11], s[4:5], 0x8
	s_load_dwordx2 s[16:17], s[4:5], 0x40
	s_load_dwordx2 s[18:19], s[4:5], 0x50
	s_load_dword s0, s[4:5], 0x5c
	s_load_dwordx2 s[20:21], s[4:5], 0x18
	s_load_dword s22, s[4:5], 0x20
	s_load_dwordx4 s[12:15], s[4:5], 0x28
	s_load_dword s37, s[4:5], 0x38
	s_waitcnt lgkmcnt(0)
	s_and_b32 s4, s0, 0xffff
	s_cmp_gt_i32 s36, 0
	s_mul_i32 s6, s6, s4
	s_cselect_b64 s[2:3], -1, 0
	v_add_u32_e32 v4, s6, v0
	v_cndmask_b32_e64 v0, 0, 1, s[2:3]
	v_cmp_gt_i32_e64 s[0:1], s36, v4
	s_add_i32 s6, s22, 1
	s_mul_i32 s18, s18, s4
	s_lshl_b64 s[10:11], s[10:11], 3
	v_cmp_ne_u32_e64 s[2:3], 1, v0
	v_mov_b32_e32 v5, 0
	s_branch .LBB212_3
.LBB212_2:                              ;   in Loop: Header=BB212_3 Depth=1
	s_or_b64 exec, exec, s[22:23]
	s_add_i32 s7, s7, s19
	s_cmp_lt_i32 s7, s33
	s_cbranch_scc0 .LBB212_13
.LBB212_3:                              ; =>This Loop Header: Depth=1
                                        ;     Child Loop BB212_6 Depth 2
                                        ;       Child Loop BB212_9 Depth 3
	s_and_saveexec_b64 s[22:23], s[0:1]
	s_cbranch_execz .LBB212_2
; %bb.4:                                ;   in Loop: Header=BB212_3 Depth=1
	s_ashr_i32 s26, s7, 31
	s_mul_hi_u32 s4, s10, s7
	s_mul_i32 s5, s10, s26
	s_add_i32 s4, s4, s5
	s_mul_i32 s5, s11, s7
	s_add_i32 s4, s4, s5
	s_mul_i32 s5, s10, s7
	s_add_u32 s24, s8, s5
	s_addc_u32 s25, s9, s4
	s_mul_i32 s4, s7, s13
	s_mul_hi_u32 s5, s7, s12
	s_add_i32 s4, s5, s4
	s_mul_i32 s5, s26, s12
	s_add_i32 s5, s4, s5
	s_mul_i32 s4, s7, s12
	s_lshl_b64 s[4:5], s[4:5], 4
	s_add_u32 s38, s20, s4
	s_addc_u32 s39, s21, s5
	s_mul_i32 s4, s7, s17
	s_mul_hi_u32 s5, s7, s16
	s_add_i32 s4, s5, s4
	s_mul_i32 s26, s26, s16
	s_add_i32 s5, s4, s26
	s_mul_i32 s4, s7, s16
	s_lshl_b64 s[4:5], s[4:5], 4
	s_add_u32 s40, s14, s4
	s_addc_u32 s41, s15, s5
	s_mov_b64 s[26:27], 0
	v_mov_b32_e32 v6, v4
	s_branch .LBB212_6
.LBB212_5:                              ;   in Loop: Header=BB212_6 Depth=2
	v_add_u32_e32 v6, s18, v6
	v_cmp_le_i32_e32 vcc, s36, v6
	s_or_b64 s[26:27], vcc, s[26:27]
	s_andn2_b64 exec, exec, s[26:27]
	s_cbranch_execz .LBB212_2
.LBB212_6:                              ;   Parent Loop BB212_3 Depth=1
                                        ; =>  This Loop Header: Depth=2
                                        ;       Child Loop BB212_9 Depth 3
	s_and_b64 vcc, exec, s[2:3]
	s_cbranch_vccnz .LBB212_5
; %bb.7:                                ;   in Loop: Header=BB212_6 Depth=2
	s_mov_b32 s28, 0
	v_cmp_eq_u32_e64 s[4:5], 0, v6
	s_mov_b64 s[30:31], s[24:25]
	v_mov_b32_e32 v0, v6
	s_mov_b32 s42, s36
	s_branch .LBB212_9
.LBB212_8:                              ;   in Loop: Header=BB212_9 Depth=3
	s_or_b64 exec, exec, s[34:35]
	s_add_i32 s42, s42, -1
	s_add_i32 s28, s28, s6
	s_add_u32 s30, s30, 8
	s_addc_u32 s31, s31, 0
	s_cmp_lg_u32 s42, 0
	v_add_u32_e32 v0, s37, v0
	s_cbranch_scc0 .LBB212_5
.LBB212_9:                              ;   Parent Loop BB212_3 Depth=1
                                        ;     Parent Loop BB212_6 Depth=2
                                        ; =>    This Inner Loop Header: Depth=3
	s_ashr_i32 s29, s28, 31
	s_lshl_b64 s[34:35], s[28:29], 4
	s_add_u32 s34, s38, s34
	s_addc_u32 s35, s39, s35
	global_load_dwordx2 v[2:3], v5, s[34:35]
	s_waitcnt vmcnt(0)
	v_cmp_ngt_f64_e32 vcc, 0, v[2:3]
	s_cbranch_vccnz .LBB212_11
; %bb.10:                               ;   in Loop: Header=BB212_9 Depth=3
	v_ashrrev_i32_e32 v1, 31, v0
	v_lshlrev_b64 v[8:9], 4, v[0:1]
	v_mov_b32_e32 v1, s41
	v_add_co_u32_e32 v12, vcc, s40, v8
	v_addc_co_u32_e32 v13, vcc, v1, v9, vcc
	global_load_dwordx4 v[8:11], v[12:13], off
	s_waitcnt vmcnt(0)
	v_xor_b32_e32 v9, 0x80000000, v9
	v_xor_b32_e32 v11, 0x80000000, v11
	global_store_dwordx4 v[12:13], v[8:11], off
.LBB212_11:                             ;   in Loop: Header=BB212_9 Depth=3
	s_and_saveexec_b64 s[34:35], s[4:5]
	s_cbranch_execz .LBB212_8
; %bb.12:                               ;   in Loop: Header=BB212_9 Depth=3
	v_and_b32_e32 v3, 0x7fffffff, v3
	global_store_dwordx2 v5, v[2:3], s[30:31]
	s_branch .LBB212_8
.LBB212_13:
	s_endpgm
	.section	.rodata,"a",@progbits
	.p2align	6, 0x0
	.amdhsa_kernel _ZN9rocsolver6v33100L16gesdd_flip_signsI19rocblas_complex_numIdEdEEviPT0_lPT_ilS7_ili
		.amdhsa_group_segment_fixed_size 0
		.amdhsa_private_segment_fixed_size 0
		.amdhsa_kernarg_size 336
		.amdhsa_user_sgpr_count 6
		.amdhsa_user_sgpr_private_segment_buffer 1
		.amdhsa_user_sgpr_dispatch_ptr 0
		.amdhsa_user_sgpr_queue_ptr 0
		.amdhsa_user_sgpr_kernarg_segment_ptr 1
		.amdhsa_user_sgpr_dispatch_id 0
		.amdhsa_user_sgpr_flat_scratch_init 0
		.amdhsa_user_sgpr_kernarg_preload_length 0
		.amdhsa_user_sgpr_kernarg_preload_offset 0
		.amdhsa_user_sgpr_private_segment_size 0
		.amdhsa_uses_dynamic_stack 0
		.amdhsa_system_sgpr_private_segment_wavefront_offset 0
		.amdhsa_system_sgpr_workgroup_id_x 1
		.amdhsa_system_sgpr_workgroup_id_y 1
		.amdhsa_system_sgpr_workgroup_id_z 0
		.amdhsa_system_sgpr_workgroup_info 0
		.amdhsa_system_vgpr_workitem_id 0
		.amdhsa_next_free_vgpr 14
		.amdhsa_next_free_sgpr 43
		.amdhsa_accum_offset 16
		.amdhsa_reserve_vcc 1
		.amdhsa_reserve_flat_scratch 0
		.amdhsa_float_round_mode_32 0
		.amdhsa_float_round_mode_16_64 0
		.amdhsa_float_denorm_mode_32 3
		.amdhsa_float_denorm_mode_16_64 3
		.amdhsa_dx10_clamp 1
		.amdhsa_ieee_mode 1
		.amdhsa_fp16_overflow 0
		.amdhsa_tg_split 0
		.amdhsa_exception_fp_ieee_invalid_op 0
		.amdhsa_exception_fp_denorm_src 0
		.amdhsa_exception_fp_ieee_div_zero 0
		.amdhsa_exception_fp_ieee_overflow 0
		.amdhsa_exception_fp_ieee_underflow 0
		.amdhsa_exception_fp_ieee_inexact 0
		.amdhsa_exception_int_div_zero 0
	.end_amdhsa_kernel
	.section	.text._ZN9rocsolver6v33100L16gesdd_flip_signsI19rocblas_complex_numIdEdEEviPT0_lPT_ilS7_ili,"axG",@progbits,_ZN9rocsolver6v33100L16gesdd_flip_signsI19rocblas_complex_numIdEdEEviPT0_lPT_ilS7_ili,comdat
.Lfunc_end212:
	.size	_ZN9rocsolver6v33100L16gesdd_flip_signsI19rocblas_complex_numIdEdEEviPT0_lPT_ilS7_ili, .Lfunc_end212-_ZN9rocsolver6v33100L16gesdd_flip_signsI19rocblas_complex_numIdEdEEviPT0_lPT_ilS7_ili
                                        ; -- End function
	.section	.AMDGPU.csdata,"",@progbits
; Kernel info:
; codeLenInByte = 524
; NumSgprs: 47
; NumVgprs: 14
; NumAgprs: 0
; TotalNumVgprs: 14
; ScratchSize: 0
; MemoryBound: 0
; FloatMode: 240
; IeeeMode: 1
; LDSByteSize: 0 bytes/workgroup (compile time only)
; SGPRBlocks: 5
; VGPRBlocks: 1
; NumSGPRsForWavesPerEU: 47
; NumVGPRsForWavesPerEU: 14
; AccumOffset: 16
; Occupancy: 8
; WaveLimiterHint : 0
; COMPUTE_PGM_RSRC2:SCRATCH_EN: 0
; COMPUTE_PGM_RSRC2:USER_SGPR: 6
; COMPUTE_PGM_RSRC2:TRAP_HANDLER: 0
; COMPUTE_PGM_RSRC2:TGID_X_EN: 1
; COMPUTE_PGM_RSRC2:TGID_Y_EN: 1
; COMPUTE_PGM_RSRC2:TGID_Z_EN: 0
; COMPUTE_PGM_RSRC2:TIDIG_COMP_CNT: 0
; COMPUTE_PGM_RSRC3_GFX90A:ACCUM_OFFSET: 3
; COMPUTE_PGM_RSRC3_GFX90A:TG_SPLIT: 0
	.section	.text._ZN9rocsolver6v33100L16org2r_init_identI19rocblas_complex_numIdEPS3_EEviiiT0_iil,"axG",@progbits,_ZN9rocsolver6v33100L16org2r_init_identI19rocblas_complex_numIdEPS3_EEviiiT0_iil,comdat
	.globl	_ZN9rocsolver6v33100L16org2r_init_identI19rocblas_complex_numIdEPS3_EEviiiT0_iil ; -- Begin function _ZN9rocsolver6v33100L16org2r_init_identI19rocblas_complex_numIdEPS3_EEviiiT0_iil
	.p2align	8
	.type	_ZN9rocsolver6v33100L16org2r_init_identI19rocblas_complex_numIdEPS3_EEviiiT0_iil,@function
_ZN9rocsolver6v33100L16org2r_init_identI19rocblas_complex_numIdEPS3_EEviiiT0_iil: ; @_ZN9rocsolver6v33100L16org2r_init_identI19rocblas_complex_numIdEPS3_EEviiiT0_iil
; %bb.0:
	s_load_dword s0, s[4:5], 0x34
	s_load_dwordx4 s[12:15], s[4:5], 0x0
	v_bfe_u32 v1, v0, 10, 10
	v_and_b32_e32 v0, 0x3ff, v0
	s_waitcnt lgkmcnt(0)
	s_lshr_b32 s1, s0, 16
	s_and_b32 s0, s0, 0xffff
	s_mul_i32 s7, s7, s1
	s_mul_i32 s6, s6, s0
	v_add_u32_e32 v2, s7, v1
	v_add_u32_e32 v4, s6, v0
	v_cmp_gt_u32_e32 vcc, s12, v4
	v_cmp_gt_u32_e64 s[0:1], s13, v2
	s_and_b64 s[0:1], vcc, s[0:1]
	s_and_saveexec_b64 s[2:3], s[0:1]
	s_cbranch_execz .LBB213_5
; %bb.1:
	s_load_dwordx4 s[0:3], s[4:5], 0x10
	s_load_dwordx2 s[6:7], s[4:5], 0x20
	v_cmp_ne_u32_e32 vcc, v4, v2
                                        ; implicit-def: $vgpr0_vgpr1
	s_waitcnt lgkmcnt(0)
	s_ashr_i32 s5, s2, 31
	s_mov_b32 s4, s2
	s_mul_i32 s2, s8, s7
	s_mul_hi_u32 s7, s8, s6
	s_add_i32 s7, s7, s2
	s_mul_i32 s6, s8, s6
	s_lshl_b64 s[6:7], s[6:7], 4
	s_add_u32 s2, s0, s6
	s_addc_u32 s6, s1, s7
	s_lshl_b64 s[0:1], s[4:5], 4
	s_add_u32 s2, s2, s0
	s_addc_u32 s10, s6, s1
	s_mov_b64 s[4:5], 0
	s_and_saveexec_b64 s[0:1], vcc
	s_xor_b64 s[0:1], exec, s[0:1]
	s_cbranch_execnz .LBB213_6
; %bb.2:
	s_andn2_saveexec_b64 s[0:1], s[0:1]
	s_cbranch_execnz .LBB213_13
.LBB213_3:
	s_or_b64 exec, exec, s[0:1]
	s_and_b64 exec, exec, s[4:5]
	s_cbranch_execz .LBB213_5
.LBB213_4:
	v_mov_b32_e32 v2, 0
	v_mov_b32_e32 v3, v2
	global_store_dwordx2 v[0:1], v[2:3], off
.LBB213_5:
	s_endpgm
.LBB213_6:
	v_cmp_le_u32_e32 vcc, v2, v4
                                        ; implicit-def: $vgpr0_vgpr1
	s_and_saveexec_b64 s[6:7], vcc
	s_xor_b64 s[6:7], exec, s[6:7]
	s_cbranch_execz .LBB213_10
; %bb.7:
	v_cmp_le_u32_e32 vcc, s14, v2
                                        ; implicit-def: $vgpr0_vgpr1
	s_and_saveexec_b64 s[8:9], vcc
	s_xor_b64 s[8:9], exec, s[8:9]
	s_cbranch_execz .LBB213_9
; %bb.8:
	v_mad_u64_u32 v[2:3], s[12:13], v2, s3, v[4:5]
	v_mov_b32_e32 v3, 0
	v_lshlrev_b64 v[0:1], 4, v[2:3]
	v_mov_b32_e32 v2, s10
	v_add_co_u32_e32 v4, vcc, s2, v0
	v_addc_co_u32_e32 v5, vcc, v2, v1, vcc
	v_add_co_u32_e32 v0, vcc, 8, v4
	s_mov_b64 s[4:5], exec
	v_addc_co_u32_e32 v1, vcc, 0, v5, vcc
	v_mov_b32_e32 v2, v3
	global_store_dwordx2 v[4:5], v[2:3], off
.LBB213_9:
	s_or_b64 exec, exec, s[8:9]
	s_and_b64 s[4:5], s[4:5], exec
                                        ; implicit-def: $vgpr4
                                        ; implicit-def: $vgpr2
.LBB213_10:
	s_andn2_saveexec_b64 s[6:7], s[6:7]
	s_cbranch_execz .LBB213_12
; %bb.11:
	v_mad_u64_u32 v[0:1], s[8:9], v2, s3, v[4:5]
	v_mov_b32_e32 v1, 0
	v_lshlrev_b64 v[2:3], 4, v[0:1]
	v_mov_b32_e32 v0, s10
	v_add_co_u32_e32 v2, vcc, s2, v2
	v_addc_co_u32_e32 v3, vcc, v0, v3, vcc
	v_mov_b32_e32 v0, v1
	global_store_dwordx2 v[2:3], v[0:1], off
	v_add_co_u32_e32 v0, vcc, 8, v2
	v_addc_co_u32_e32 v1, vcc, 0, v3, vcc
	s_or_b64 s[4:5], s[4:5], exec
.LBB213_12:
	s_or_b64 exec, exec, s[6:7]
	s_and_b64 s[4:5], s[4:5], exec
                                        ; implicit-def: $vgpr2
	s_andn2_saveexec_b64 s[0:1], s[0:1]
	s_cbranch_execz .LBB213_3
.LBB213_13:
	v_mad_u64_u32 v[0:1], s[6:7], v2, s3, v[2:3]
	v_mov_b32_e32 v1, 0
	v_lshlrev_b64 v[2:3], 4, v[0:1]
	v_mov_b32_e32 v0, s10
	v_add_co_u32_e32 v2, vcc, s2, v2
	v_addc_co_u32_e32 v3, vcc, v0, v3, vcc
	v_add_co_u32_e32 v0, vcc, 8, v2
	v_mov_b32_e32 v5, 0x3ff00000
	v_mov_b32_e32 v4, v1
	v_addc_co_u32_e32 v1, vcc, 0, v3, vcc
	s_or_b64 s[4:5], s[4:5], exec
	global_store_dwordx2 v[2:3], v[4:5], off
	s_or_b64 exec, exec, s[0:1]
	s_and_b64 exec, exec, s[4:5]
	s_cbranch_execnz .LBB213_4
	s_branch .LBB213_5
	.section	.rodata,"a",@progbits
	.p2align	6, 0x0
	.amdhsa_kernel _ZN9rocsolver6v33100L16org2r_init_identI19rocblas_complex_numIdEPS3_EEviiiT0_iil
		.amdhsa_group_segment_fixed_size 0
		.amdhsa_private_segment_fixed_size 0
		.amdhsa_kernarg_size 296
		.amdhsa_user_sgpr_count 6
		.amdhsa_user_sgpr_private_segment_buffer 1
		.amdhsa_user_sgpr_dispatch_ptr 0
		.amdhsa_user_sgpr_queue_ptr 0
		.amdhsa_user_sgpr_kernarg_segment_ptr 1
		.amdhsa_user_sgpr_dispatch_id 0
		.amdhsa_user_sgpr_flat_scratch_init 0
		.amdhsa_user_sgpr_kernarg_preload_length 0
		.amdhsa_user_sgpr_kernarg_preload_offset 0
		.amdhsa_user_sgpr_private_segment_size 0
		.amdhsa_uses_dynamic_stack 0
		.amdhsa_system_sgpr_private_segment_wavefront_offset 0
		.amdhsa_system_sgpr_workgroup_id_x 1
		.amdhsa_system_sgpr_workgroup_id_y 1
		.amdhsa_system_sgpr_workgroup_id_z 1
		.amdhsa_system_sgpr_workgroup_info 0
		.amdhsa_system_vgpr_workitem_id 1
		.amdhsa_next_free_vgpr 6
		.amdhsa_next_free_sgpr 16
		.amdhsa_accum_offset 8
		.amdhsa_reserve_vcc 1
		.amdhsa_reserve_flat_scratch 0
		.amdhsa_float_round_mode_32 0
		.amdhsa_float_round_mode_16_64 0
		.amdhsa_float_denorm_mode_32 3
		.amdhsa_float_denorm_mode_16_64 3
		.amdhsa_dx10_clamp 1
		.amdhsa_ieee_mode 1
		.amdhsa_fp16_overflow 0
		.amdhsa_tg_split 0
		.amdhsa_exception_fp_ieee_invalid_op 0
		.amdhsa_exception_fp_denorm_src 0
		.amdhsa_exception_fp_ieee_div_zero 0
		.amdhsa_exception_fp_ieee_overflow 0
		.amdhsa_exception_fp_ieee_underflow 0
		.amdhsa_exception_fp_ieee_inexact 0
		.amdhsa_exception_int_div_zero 0
	.end_amdhsa_kernel
	.section	.text._ZN9rocsolver6v33100L16org2r_init_identI19rocblas_complex_numIdEPS3_EEviiiT0_iil,"axG",@progbits,_ZN9rocsolver6v33100L16org2r_init_identI19rocblas_complex_numIdEPS3_EEviiiT0_iil,comdat
.Lfunc_end213:
	.size	_ZN9rocsolver6v33100L16org2r_init_identI19rocblas_complex_numIdEPS3_EEviiiT0_iil, .Lfunc_end213-_ZN9rocsolver6v33100L16org2r_init_identI19rocblas_complex_numIdEPS3_EEviiiT0_iil
                                        ; -- End function
	.section	.AMDGPU.csdata,"",@progbits
; Kernel info:
; codeLenInByte = 472
; NumSgprs: 20
; NumVgprs: 6
; NumAgprs: 0
; TotalNumVgprs: 6
; ScratchSize: 0
; MemoryBound: 0
; FloatMode: 240
; IeeeMode: 1
; LDSByteSize: 0 bytes/workgroup (compile time only)
; SGPRBlocks: 2
; VGPRBlocks: 0
; NumSGPRsForWavesPerEU: 20
; NumVGPRsForWavesPerEU: 6
; AccumOffset: 8
; Occupancy: 8
; WaveLimiterHint : 0
; COMPUTE_PGM_RSRC2:SCRATCH_EN: 0
; COMPUTE_PGM_RSRC2:USER_SGPR: 6
; COMPUTE_PGM_RSRC2:TRAP_HANDLER: 0
; COMPUTE_PGM_RSRC2:TGID_X_EN: 1
; COMPUTE_PGM_RSRC2:TGID_Y_EN: 1
; COMPUTE_PGM_RSRC2:TGID_Z_EN: 1
; COMPUTE_PGM_RSRC2:TIDIG_COMP_CNT: 1
; COMPUTE_PGM_RSRC3_GFX90A:ACCUM_OFFSET: 1
; COMPUTE_PGM_RSRC3_GFX90A:TG_SPLIT: 0
	.section	.text._ZN9rocsolver6v33100L12subtract_tauI19rocblas_complex_numIdEPS3_EEviiT0_iilPT_l,"axG",@progbits,_ZN9rocsolver6v33100L12subtract_tauI19rocblas_complex_numIdEPS3_EEviiT0_iilPT_l,comdat
	.globl	_ZN9rocsolver6v33100L12subtract_tauI19rocblas_complex_numIdEPS3_EEviiT0_iilPT_l ; -- Begin function _ZN9rocsolver6v33100L12subtract_tauI19rocblas_complex_numIdEPS3_EEviiT0_iilPT_l
	.p2align	8
	.type	_ZN9rocsolver6v33100L12subtract_tauI19rocblas_complex_numIdEPS3_EEviiT0_iilPT_l,@function
_ZN9rocsolver6v33100L12subtract_tauI19rocblas_complex_numIdEPS3_EEviiT0_iilPT_l: ; @_ZN9rocsolver6v33100L12subtract_tauI19rocblas_complex_numIdEPS3_EEviiT0_iilPT_l
; %bb.0:
	s_load_dwordx2 s[12:13], s[4:5], 0x10
	s_load_dwordx4 s[8:11], s[4:5], 0x18
	s_load_dwordx4 s[0:3], s[4:5], 0x0
	s_load_dwordx2 s[14:15], s[4:5], 0x28
	v_mov_b32_e32 v4, 0
	s_waitcnt lgkmcnt(0)
	s_ashr_i32 s5, s12, 31
	s_mul_i32 s7, s6, s9
	s_mul_hi_u32 s9, s6, s8
	s_add_i32 s9, s9, s7
	s_mul_i32 s8, s6, s8
	s_lshl_b64 s[8:9], s[8:9], 4
	s_mov_b32 s4, s12
	s_add_u32 s7, s2, s8
	s_addc_u32 s8, s3, s9
	s_lshl_b64 s[2:3], s[4:5], 4
	s_add_u32 s9, s7, s2
	s_addc_u32 s8, s8, s3
	s_mul_i32 s2, s6, s15
	s_mul_hi_u32 s3, s6, s14
	s_add_i32 s3, s3, s2
	s_mul_i32 s2, s6, s14
	s_lshl_b64 s[2:3], s[2:3], 4
	s_add_u32 s2, s10, s2
	s_addc_u32 s3, s11, s3
	s_load_dwordx4 s[4:7], s[2:3], 0x0
	s_mul_i32 s1, s13, s1
	s_add_i32 s0, s1, s0
	s_ashr_i32 s1, s0, 31
	s_lshl_b64 s[0:1], s[0:1], 4
	s_waitcnt lgkmcnt(0)
	s_xor_b32 s10, s5, 0x80000000
	s_xor_b32 s7, s7, 0x80000000
	v_mov_b32_e32 v0, s4
	v_mov_b32_e32 v1, s10
	v_mov_b32_e32 v2, s6
	v_mov_b32_e32 v3, s7
	s_add_u32 s0, s9, s0
	global_store_dwordx4 v4, v[0:3], s[2:3]
	s_addc_u32 s1, s8, s1
	v_add_f64 v[0:1], -s[4:5], 1.0
	global_store_dwordx4 v4, v[0:3], s[0:1]
	s_endpgm
	.section	.rodata,"a",@progbits
	.p2align	6, 0x0
	.amdhsa_kernel _ZN9rocsolver6v33100L12subtract_tauI19rocblas_complex_numIdEPS3_EEviiT0_iilPT_l
		.amdhsa_group_segment_fixed_size 0
		.amdhsa_private_segment_fixed_size 0
		.amdhsa_kernarg_size 48
		.amdhsa_user_sgpr_count 6
		.amdhsa_user_sgpr_private_segment_buffer 1
		.amdhsa_user_sgpr_dispatch_ptr 0
		.amdhsa_user_sgpr_queue_ptr 0
		.amdhsa_user_sgpr_kernarg_segment_ptr 1
		.amdhsa_user_sgpr_dispatch_id 0
		.amdhsa_user_sgpr_flat_scratch_init 0
		.amdhsa_user_sgpr_kernarg_preload_length 0
		.amdhsa_user_sgpr_kernarg_preload_offset 0
		.amdhsa_user_sgpr_private_segment_size 0
		.amdhsa_uses_dynamic_stack 0
		.amdhsa_system_sgpr_private_segment_wavefront_offset 0
		.amdhsa_system_sgpr_workgroup_id_x 1
		.amdhsa_system_sgpr_workgroup_id_y 0
		.amdhsa_system_sgpr_workgroup_id_z 0
		.amdhsa_system_sgpr_workgroup_info 0
		.amdhsa_system_vgpr_workitem_id 0
		.amdhsa_next_free_vgpr 5
		.amdhsa_next_free_sgpr 16
		.amdhsa_accum_offset 8
		.amdhsa_reserve_vcc 0
		.amdhsa_reserve_flat_scratch 0
		.amdhsa_float_round_mode_32 0
		.amdhsa_float_round_mode_16_64 0
		.amdhsa_float_denorm_mode_32 3
		.amdhsa_float_denorm_mode_16_64 3
		.amdhsa_dx10_clamp 1
		.amdhsa_ieee_mode 1
		.amdhsa_fp16_overflow 0
		.amdhsa_tg_split 0
		.amdhsa_exception_fp_ieee_invalid_op 0
		.amdhsa_exception_fp_denorm_src 0
		.amdhsa_exception_fp_ieee_div_zero 0
		.amdhsa_exception_fp_ieee_overflow 0
		.amdhsa_exception_fp_ieee_underflow 0
		.amdhsa_exception_fp_ieee_inexact 0
		.amdhsa_exception_int_div_zero 0
	.end_amdhsa_kernel
	.section	.text._ZN9rocsolver6v33100L12subtract_tauI19rocblas_complex_numIdEPS3_EEviiT0_iilPT_l,"axG",@progbits,_ZN9rocsolver6v33100L12subtract_tauI19rocblas_complex_numIdEPS3_EEviiT0_iilPT_l,comdat
.Lfunc_end214:
	.size	_ZN9rocsolver6v33100L12subtract_tauI19rocblas_complex_numIdEPS3_EEviiT0_iilPT_l, .Lfunc_end214-_ZN9rocsolver6v33100L12subtract_tauI19rocblas_complex_numIdEPS3_EEviiT0_iilPT_l
                                        ; -- End function
	.section	.AMDGPU.csdata,"",@progbits
; Kernel info:
; codeLenInByte = 212
; NumSgprs: 20
; NumVgprs: 5
; NumAgprs: 0
; TotalNumVgprs: 5
; ScratchSize: 0
; MemoryBound: 0
; FloatMode: 240
; IeeeMode: 1
; LDSByteSize: 0 bytes/workgroup (compile time only)
; SGPRBlocks: 2
; VGPRBlocks: 0
; NumSGPRsForWavesPerEU: 20
; NumVGPRsForWavesPerEU: 5
; AccumOffset: 8
; Occupancy: 8
; WaveLimiterHint : 0
; COMPUTE_PGM_RSRC2:SCRATCH_EN: 0
; COMPUTE_PGM_RSRC2:USER_SGPR: 6
; COMPUTE_PGM_RSRC2:TRAP_HANDLER: 0
; COMPUTE_PGM_RSRC2:TGID_X_EN: 1
; COMPUTE_PGM_RSRC2:TGID_Y_EN: 0
; COMPUTE_PGM_RSRC2:TGID_Z_EN: 0
; COMPUTE_PGM_RSRC2:TIDIG_COMP_CNT: 0
; COMPUTE_PGM_RSRC3_GFX90A:ACCUM_OFFSET: 1
; COMPUTE_PGM_RSRC3_GFX90A:TG_SPLIT: 0
	.section	.text._ZN9rocsolver6v33100L6restauI19rocblas_complex_numIdEEEviPT_l,"axG",@progbits,_ZN9rocsolver6v33100L6restauI19rocblas_complex_numIdEEEviPT_l,comdat
	.globl	_ZN9rocsolver6v33100L6restauI19rocblas_complex_numIdEEEviPT_l ; -- Begin function _ZN9rocsolver6v33100L6restauI19rocblas_complex_numIdEEEviPT_l
	.p2align	8
	.type	_ZN9rocsolver6v33100L6restauI19rocblas_complex_numIdEEEviPT_l,@function
_ZN9rocsolver6v33100L6restauI19rocblas_complex_numIdEEEviPT_l: ; @_ZN9rocsolver6v33100L6restauI19rocblas_complex_numIdEEEviPT_l
; %bb.0:
	s_load_dword s0, s[4:5], 0x24
	s_load_dword s1, s[4:5], 0x0
	s_waitcnt lgkmcnt(0)
	s_and_b32 s0, s0, 0xffff
	s_mul_i32 s6, s6, s0
	v_add_u32_e32 v0, s6, v0
	v_cmp_gt_u32_e32 vcc, s1, v0
	s_and_saveexec_b64 s[0:1], vcc
	s_cbranch_execz .LBB215_2
; %bb.1:
	s_load_dwordx4 s[0:3], s[4:5], 0x8
	v_mov_b32_e32 v1, 0
	v_lshlrev_b64 v[0:1], 4, v[0:1]
	s_waitcnt lgkmcnt(0)
	s_mul_i32 s3, s7, s3
	s_mul_hi_u32 s4, s7, s2
	s_mul_i32 s2, s7, s2
	s_add_i32 s3, s4, s3
	s_lshl_b64 s[2:3], s[2:3], 4
	s_add_u32 s0, s0, s2
	s_addc_u32 s1, s1, s3
	v_mov_b32_e32 v2, s1
	v_add_co_u32_e32 v4, vcc, s0, v0
	v_addc_co_u32_e32 v5, vcc, v2, v1, vcc
	global_load_dwordx4 v[0:3], v[4:5], off
	s_waitcnt vmcnt(0)
	v_xor_b32_e32 v1, 0x80000000, v1
	v_xor_b32_e32 v3, 0x80000000, v3
	global_store_dwordx4 v[4:5], v[0:3], off
.LBB215_2:
	s_endpgm
	.section	.rodata,"a",@progbits
	.p2align	6, 0x0
	.amdhsa_kernel _ZN9rocsolver6v33100L6restauI19rocblas_complex_numIdEEEviPT_l
		.amdhsa_group_segment_fixed_size 0
		.amdhsa_private_segment_fixed_size 0
		.amdhsa_kernarg_size 280
		.amdhsa_user_sgpr_count 6
		.amdhsa_user_sgpr_private_segment_buffer 1
		.amdhsa_user_sgpr_dispatch_ptr 0
		.amdhsa_user_sgpr_queue_ptr 0
		.amdhsa_user_sgpr_kernarg_segment_ptr 1
		.amdhsa_user_sgpr_dispatch_id 0
		.amdhsa_user_sgpr_flat_scratch_init 0
		.amdhsa_user_sgpr_kernarg_preload_length 0
		.amdhsa_user_sgpr_kernarg_preload_offset 0
		.amdhsa_user_sgpr_private_segment_size 0
		.amdhsa_uses_dynamic_stack 0
		.amdhsa_system_sgpr_private_segment_wavefront_offset 0
		.amdhsa_system_sgpr_workgroup_id_x 1
		.amdhsa_system_sgpr_workgroup_id_y 1
		.amdhsa_system_sgpr_workgroup_id_z 0
		.amdhsa_system_sgpr_workgroup_info 0
		.amdhsa_system_vgpr_workitem_id 0
		.amdhsa_next_free_vgpr 6
		.amdhsa_next_free_sgpr 8
		.amdhsa_accum_offset 8
		.amdhsa_reserve_vcc 1
		.amdhsa_reserve_flat_scratch 0
		.amdhsa_float_round_mode_32 0
		.amdhsa_float_round_mode_16_64 0
		.amdhsa_float_denorm_mode_32 3
		.amdhsa_float_denorm_mode_16_64 3
		.amdhsa_dx10_clamp 1
		.amdhsa_ieee_mode 1
		.amdhsa_fp16_overflow 0
		.amdhsa_tg_split 0
		.amdhsa_exception_fp_ieee_invalid_op 0
		.amdhsa_exception_fp_denorm_src 0
		.amdhsa_exception_fp_ieee_div_zero 0
		.amdhsa_exception_fp_ieee_overflow 0
		.amdhsa_exception_fp_ieee_underflow 0
		.amdhsa_exception_fp_ieee_inexact 0
		.amdhsa_exception_int_div_zero 0
	.end_amdhsa_kernel
	.section	.text._ZN9rocsolver6v33100L6restauI19rocblas_complex_numIdEEEviPT_l,"axG",@progbits,_ZN9rocsolver6v33100L6restauI19rocblas_complex_numIdEEEviPT_l,comdat
.Lfunc_end215:
	.size	_ZN9rocsolver6v33100L6restauI19rocblas_complex_numIdEEEviPT_l, .Lfunc_end215-_ZN9rocsolver6v33100L6restauI19rocblas_complex_numIdEEEviPT_l
                                        ; -- End function
	.section	.AMDGPU.csdata,"",@progbits
; Kernel info:
; codeLenInByte = 152
; NumSgprs: 12
; NumVgprs: 6
; NumAgprs: 0
; TotalNumVgprs: 6
; ScratchSize: 0
; MemoryBound: 0
; FloatMode: 240
; IeeeMode: 1
; LDSByteSize: 0 bytes/workgroup (compile time only)
; SGPRBlocks: 1
; VGPRBlocks: 0
; NumSGPRsForWavesPerEU: 12
; NumVGPRsForWavesPerEU: 6
; AccumOffset: 8
; Occupancy: 8
; WaveLimiterHint : 0
; COMPUTE_PGM_RSRC2:SCRATCH_EN: 0
; COMPUTE_PGM_RSRC2:USER_SGPR: 6
; COMPUTE_PGM_RSRC2:TRAP_HANDLER: 0
; COMPUTE_PGM_RSRC2:TGID_X_EN: 1
; COMPUTE_PGM_RSRC2:TGID_Y_EN: 1
; COMPUTE_PGM_RSRC2:TGID_Z_EN: 0
; COMPUTE_PGM_RSRC2:TIDIG_COMP_CNT: 0
; COMPUTE_PGM_RSRC3_GFX90A:ACCUM_OFFSET: 1
; COMPUTE_PGM_RSRC3_GFX90A:TG_SPLIT: 0
	.section	.text._ZN9rocsolver6v33100L14copy_trans_matI19rocblas_complex_numIdES3_PS3_S4_NS0_7no_maskEEEv18rocblas_operation_iiT1_iilT2_iilT3_13rocblas_fill_17rocblas_diagonal_,"axG",@progbits,_ZN9rocsolver6v33100L14copy_trans_matI19rocblas_complex_numIdES3_PS3_S4_NS0_7no_maskEEEv18rocblas_operation_iiT1_iilT2_iilT3_13rocblas_fill_17rocblas_diagonal_,comdat
	.globl	_ZN9rocsolver6v33100L14copy_trans_matI19rocblas_complex_numIdES3_PS3_S4_NS0_7no_maskEEEv18rocblas_operation_iiT1_iilT2_iilT3_13rocblas_fill_17rocblas_diagonal_ ; -- Begin function _ZN9rocsolver6v33100L14copy_trans_matI19rocblas_complex_numIdES3_PS3_S4_NS0_7no_maskEEEv18rocblas_operation_iiT1_iilT2_iilT3_13rocblas_fill_17rocblas_diagonal_
	.p2align	8
	.type	_ZN9rocsolver6v33100L14copy_trans_matI19rocblas_complex_numIdES3_PS3_S4_NS0_7no_maskEEEv18rocblas_operation_iiT1_iilT2_iilT3_13rocblas_fill_17rocblas_diagonal_,@function
_ZN9rocsolver6v33100L14copy_trans_matI19rocblas_complex_numIdES3_PS3_S4_NS0_7no_maskEEEv18rocblas_operation_iiT1_iilT2_iilT3_13rocblas_fill_17rocblas_diagonal_: ; @_ZN9rocsolver6v33100L14copy_trans_matI19rocblas_complex_numIdES3_PS3_S4_NS0_7no_maskEEEv18rocblas_operation_iiT1_iilT2_iilT3_13rocblas_fill_17rocblas_diagonal_
; %bb.0:
	s_load_dword s0, s[4:5], 0x5c
	s_load_dwordx4 s[12:15], s[4:5], 0x0
	v_bfe_u32 v1, v0, 10, 10
	v_and_b32_e32 v0, 0x3ff, v0
	s_waitcnt lgkmcnt(0)
	s_lshr_b32 s1, s0, 16
	s_and_b32 s0, s0, 0xffff
	s_mul_i32 s7, s7, s1
	s_mul_i32 s6, s6, s0
	v_add_u32_e32 v2, s7, v1
	v_add_u32_e32 v0, s6, v0
	v_cmp_gt_u32_e32 vcc, s13, v0
	v_cmp_gt_u32_e64 s[0:1], s14, v2
	s_and_b64 s[0:1], s[0:1], vcc
	s_and_saveexec_b64 s[2:3], s[0:1]
	s_cbranch_execz .LBB216_18
; %bb.1:
	s_load_dwordx2 s[2:3], s[4:5], 0x44
	s_waitcnt lgkmcnt(0)
	s_cmpk_lt_i32 s2, 0x7a
	s_cbranch_scc1 .LBB216_4
; %bb.2:
	s_cmpk_gt_i32 s2, 0x7a
	s_cbranch_scc0 .LBB216_5
; %bb.3:
	s_cmpk_lg_i32 s2, 0x7b
	s_mov_b64 s[6:7], -1
	s_cselect_b64 s[10:11], -1, 0
	s_cbranch_execz .LBB216_6
	s_branch .LBB216_7
.LBB216_4:
	s_mov_b64 s[10:11], 0
	s_mov_b64 s[6:7], 0
	s_cbranch_execnz .LBB216_8
	s_branch .LBB216_10
.LBB216_5:
	s_mov_b64 s[6:7], 0
	s_mov_b64 s[10:11], 0
.LBB216_6:
	v_cmp_gt_u32_e32 vcc, v0, v2
	v_cmp_le_u32_e64 s[0:1], v0, v2
	s_andn2_b64 s[6:7], s[6:7], exec
	s_and_b64 s[14:15], vcc, exec
	s_andn2_b64 s[10:11], s[10:11], exec
	s_and_b64 s[0:1], s[0:1], exec
	s_or_b64 s[6:7], s[6:7], s[14:15]
	s_or_b64 s[10:11], s[10:11], s[0:1]
.LBB216_7:
	s_branch .LBB216_10
.LBB216_8:
	s_cmpk_eq_i32 s2, 0x79
	s_mov_b64 s[10:11], -1
	s_cbranch_scc0 .LBB216_10
; %bb.9:
	v_cmp_gt_u32_e32 vcc, v2, v0
	v_cmp_le_u32_e64 s[0:1], v2, v0
	s_andn2_b64 s[6:7], s[6:7], exec
	s_and_b64 s[10:11], vcc, exec
	s_or_b64 s[6:7], s[6:7], s[10:11]
	s_orn2_b64 s[10:11], s[0:1], exec
.LBB216_10:
	s_and_saveexec_b64 s[0:1], s[10:11]
; %bb.11:
	s_cmpk_eq_i32 s3, 0x83
	s_cselect_b64 s[2:3], -1, 0
	v_cmp_eq_u32_e32 vcc, v0, v2
	s_and_b64 s[2:3], s[2:3], vcc
	s_andn2_b64 s[6:7], s[6:7], exec
	s_and_b64 s[2:3], s[2:3], exec
	s_or_b64 s[6:7], s[6:7], s[2:3]
; %bb.12:
	s_or_b64 exec, exec, s[0:1]
	s_and_b64 exec, exec, s[6:7]
	s_cbranch_execz .LBB216_18
; %bb.13:
	s_load_dwordx8 s[16:23], s[4:5], 0x10
	s_load_dwordx4 s[0:3], s[4:5], 0x30
	s_waitcnt lgkmcnt(0)
	s_mul_i32 s6, s8, s21
	s_mul_hi_u32 s7, s8, s20
	s_add_i32 s7, s7, s6
	s_mul_i32 s6, s8, s20
	s_ashr_i32 s5, s18, 31
	s_lshl_b64 s[6:7], s[6:7], 4
	s_mov_b32 s4, s18
	s_add_u32 s6, s16, s6
	s_addc_u32 s7, s17, s7
	s_lshl_b64 s[4:5], s[4:5], 4
	s_add_u32 s6, s6, s4
	s_addc_u32 s7, s7, s5
	s_ashr_i32 s5, s0, 31
	s_mov_b32 s4, s0
	s_mul_i32 s0, s8, s3
	s_mul_hi_u32 s3, s8, s2
	s_add_i32 s3, s3, s0
	s_mul_i32 s2, s8, s2
	s_lshl_b64 s[2:3], s[2:3], 4
	s_add_u32 s0, s22, s2
	s_addc_u32 s8, s23, s3
	s_lshl_b64 s[2:3], s[4:5], 4
	s_add_u32 s0, s0, s2
	s_addc_u32 s8, s8, s3
	v_mad_u64_u32 v[4:5], s[2:3], v2, s19, v[0:1]
	v_mov_b32_e32 v5, 0
	v_lshlrev_b64 v[4:5], 4, v[4:5]
	v_mov_b32_e32 v1, s7
	v_add_co_u32_e32 v4, vcc, s6, v4
	v_addc_co_u32_e32 v5, vcc, v1, v5, vcc
	s_mov_b64 s[6:7], -1
	s_mov_b64 s[2:3], 0
	s_cmpk_lt_i32 s12, 0x71
	s_mov_b64 s[4:5], 0
	s_cbranch_scc0 .LBB216_19
; %bb.14:
	s_and_b64 vcc, exec, s[6:7]
	s_cbranch_vccnz .LBB216_22
.LBB216_15:
	s_andn2_b64 vcc, exec, s[4:5]
	s_cbranch_vccz .LBB216_23
.LBB216_16:
	s_andn2_b64 vcc, exec, s[2:3]
	s_cbranch_vccnz .LBB216_18
.LBB216_17:
	global_load_dwordx4 v[4:7], v[4:5], off
	v_mad_u64_u32 v[0:1], s[2:3], v0, s1, v[2:3]
	v_mov_b32_e32 v1, 0
	v_lshlrev_b64 v[0:1], 4, v[0:1]
	v_mov_b32_e32 v2, s8
	v_add_co_u32_e32 v0, vcc, s0, v0
	v_addc_co_u32_e32 v1, vcc, v2, v1, vcc
	s_waitcnt vmcnt(0)
	global_store_dwordx4 v[0:1], v[4:7], off
.LBB216_18:
	s_endpgm
.LBB216_19:
	s_cmpk_eq_i32 s12, 0x71
	s_mov_b64 s[4:5], -1
	s_cbranch_scc0 .LBB216_21
; %bb.20:
	global_load_dwordx4 v[6:9], v[4:5], off
	v_mad_u64_u32 v[10:11], s[4:5], v0, s1, v[2:3]
	v_mov_b32_e32 v11, 0
	v_lshlrev_b64 v[10:11], 4, v[10:11]
	v_mov_b32_e32 v1, s8
	v_add_co_u32_e32 v10, vcc, s0, v10
	v_addc_co_u32_e32 v11, vcc, v1, v11, vcc
	s_mov_b64 s[4:5], 0
	s_waitcnt vmcnt(0)
	v_xor_b32_e32 v9, 0x80000000, v9
	global_store_dwordx4 v[10:11], v[6:9], off
.LBB216_21:
	s_branch .LBB216_15
.LBB216_22:
	s_cmpk_lg_i32 s12, 0x70
	s_mov_b64 s[2:3], -1
	s_cselect_b64 s[4:5], -1, 0
	s_andn2_b64 vcc, exec, s[4:5]
	s_cbranch_vccnz .LBB216_16
.LBB216_23:
	global_load_dwordx4 v[6:9], v[4:5], off
	v_mad_u64_u32 v[10:11], s[2:3], v2, s1, v[0:1]
	v_mov_b32_e32 v11, 0
	v_lshlrev_b64 v[10:11], 4, v[10:11]
	v_mov_b32_e32 v1, s8
	v_add_co_u32_e32 v10, vcc, s0, v10
	v_addc_co_u32_e32 v11, vcc, v1, v11, vcc
	s_waitcnt vmcnt(0)
	global_store_dwordx4 v[10:11], v[6:9], off
	s_cbranch_execz .LBB216_17
	s_branch .LBB216_18
	.section	.rodata,"a",@progbits
	.p2align	6, 0x0
	.amdhsa_kernel _ZN9rocsolver6v33100L14copy_trans_matI19rocblas_complex_numIdES3_PS3_S4_NS0_7no_maskEEEv18rocblas_operation_iiT1_iilT2_iilT3_13rocblas_fill_17rocblas_diagonal_
		.amdhsa_group_segment_fixed_size 0
		.amdhsa_private_segment_fixed_size 0
		.amdhsa_kernarg_size 336
		.amdhsa_user_sgpr_count 6
		.amdhsa_user_sgpr_private_segment_buffer 1
		.amdhsa_user_sgpr_dispatch_ptr 0
		.amdhsa_user_sgpr_queue_ptr 0
		.amdhsa_user_sgpr_kernarg_segment_ptr 1
		.amdhsa_user_sgpr_dispatch_id 0
		.amdhsa_user_sgpr_flat_scratch_init 0
		.amdhsa_user_sgpr_kernarg_preload_length 0
		.amdhsa_user_sgpr_kernarg_preload_offset 0
		.amdhsa_user_sgpr_private_segment_size 0
		.amdhsa_uses_dynamic_stack 0
		.amdhsa_system_sgpr_private_segment_wavefront_offset 0
		.amdhsa_system_sgpr_workgroup_id_x 1
		.amdhsa_system_sgpr_workgroup_id_y 1
		.amdhsa_system_sgpr_workgroup_id_z 1
		.amdhsa_system_sgpr_workgroup_info 0
		.amdhsa_system_vgpr_workitem_id 1
		.amdhsa_next_free_vgpr 12
		.amdhsa_next_free_sgpr 24
		.amdhsa_accum_offset 12
		.amdhsa_reserve_vcc 1
		.amdhsa_reserve_flat_scratch 0
		.amdhsa_float_round_mode_32 0
		.amdhsa_float_round_mode_16_64 0
		.amdhsa_float_denorm_mode_32 3
		.amdhsa_float_denorm_mode_16_64 3
		.amdhsa_dx10_clamp 1
		.amdhsa_ieee_mode 1
		.amdhsa_fp16_overflow 0
		.amdhsa_tg_split 0
		.amdhsa_exception_fp_ieee_invalid_op 0
		.amdhsa_exception_fp_denorm_src 0
		.amdhsa_exception_fp_ieee_div_zero 0
		.amdhsa_exception_fp_ieee_overflow 0
		.amdhsa_exception_fp_ieee_underflow 0
		.amdhsa_exception_fp_ieee_inexact 0
		.amdhsa_exception_int_div_zero 0
	.end_amdhsa_kernel
	.section	.text._ZN9rocsolver6v33100L14copy_trans_matI19rocblas_complex_numIdES3_PS3_S4_NS0_7no_maskEEEv18rocblas_operation_iiT1_iilT2_iilT3_13rocblas_fill_17rocblas_diagonal_,"axG",@progbits,_ZN9rocsolver6v33100L14copy_trans_matI19rocblas_complex_numIdES3_PS3_S4_NS0_7no_maskEEEv18rocblas_operation_iiT1_iilT2_iilT3_13rocblas_fill_17rocblas_diagonal_,comdat
.Lfunc_end216:
	.size	_ZN9rocsolver6v33100L14copy_trans_matI19rocblas_complex_numIdES3_PS3_S4_NS0_7no_maskEEEv18rocblas_operation_iiT1_iilT2_iilT3_13rocblas_fill_17rocblas_diagonal_, .Lfunc_end216-_ZN9rocsolver6v33100L14copy_trans_matI19rocblas_complex_numIdES3_PS3_S4_NS0_7no_maskEEEv18rocblas_operation_iiT1_iilT2_iilT3_13rocblas_fill_17rocblas_diagonal_
                                        ; -- End function
	.section	.AMDGPU.csdata,"",@progbits
; Kernel info:
; codeLenInByte = 692
; NumSgprs: 28
; NumVgprs: 12
; NumAgprs: 0
; TotalNumVgprs: 12
; ScratchSize: 0
; MemoryBound: 0
; FloatMode: 240
; IeeeMode: 1
; LDSByteSize: 0 bytes/workgroup (compile time only)
; SGPRBlocks: 3
; VGPRBlocks: 1
; NumSGPRsForWavesPerEU: 28
; NumVGPRsForWavesPerEU: 12
; AccumOffset: 12
; Occupancy: 8
; WaveLimiterHint : 0
; COMPUTE_PGM_RSRC2:SCRATCH_EN: 0
; COMPUTE_PGM_RSRC2:USER_SGPR: 6
; COMPUTE_PGM_RSRC2:TRAP_HANDLER: 0
; COMPUTE_PGM_RSRC2:TGID_X_EN: 1
; COMPUTE_PGM_RSRC2:TGID_Y_EN: 1
; COMPUTE_PGM_RSRC2:TGID_Z_EN: 1
; COMPUTE_PGM_RSRC2:TIDIG_COMP_CNT: 1
; COMPUTE_PGM_RSRC3_GFX90A:ACCUM_OFFSET: 2
; COMPUTE_PGM_RSRC3_GFX90A:TG_SPLIT: 0
	.section	.text._ZN9rocsolver6v33100L16orgl2_init_identI19rocblas_complex_numIdEPS3_EEviiiT0_iil,"axG",@progbits,_ZN9rocsolver6v33100L16orgl2_init_identI19rocblas_complex_numIdEPS3_EEviiiT0_iil,comdat
	.globl	_ZN9rocsolver6v33100L16orgl2_init_identI19rocblas_complex_numIdEPS3_EEviiiT0_iil ; -- Begin function _ZN9rocsolver6v33100L16orgl2_init_identI19rocblas_complex_numIdEPS3_EEviiiT0_iil
	.p2align	8
	.type	_ZN9rocsolver6v33100L16orgl2_init_identI19rocblas_complex_numIdEPS3_EEviiiT0_iil,@function
_ZN9rocsolver6v33100L16orgl2_init_identI19rocblas_complex_numIdEPS3_EEviiiT0_iil: ; @_ZN9rocsolver6v33100L16orgl2_init_identI19rocblas_complex_numIdEPS3_EEviiiT0_iil
; %bb.0:
	s_load_dword s0, s[4:5], 0x34
	s_load_dwordx4 s[12:15], s[4:5], 0x0
	v_bfe_u32 v1, v0, 10, 10
	v_and_b32_e32 v0, 0x3ff, v0
	s_waitcnt lgkmcnt(0)
	s_lshr_b32 s1, s0, 16
	s_and_b32 s0, s0, 0xffff
	s_mul_i32 s7, s7, s1
	s_mul_i32 s6, s6, s0
	v_add_u32_e32 v2, s7, v1
	v_add_u32_e32 v4, s6, v0
	v_cmp_gt_u32_e32 vcc, s12, v4
	v_cmp_gt_u32_e64 s[0:1], s13, v2
	s_and_b64 s[0:1], vcc, s[0:1]
	s_and_saveexec_b64 s[2:3], s[0:1]
	s_cbranch_execz .LBB217_5
; %bb.1:
	s_load_dwordx4 s[0:3], s[4:5], 0x10
	s_load_dwordx2 s[6:7], s[4:5], 0x20
	v_cmp_ne_u32_e32 vcc, v4, v2
                                        ; implicit-def: $vgpr0_vgpr1
	s_waitcnt lgkmcnt(0)
	s_ashr_i32 s5, s2, 31
	s_mov_b32 s4, s2
	s_mul_i32 s2, s8, s7
	s_mul_hi_u32 s7, s8, s6
	s_add_i32 s7, s7, s2
	s_mul_i32 s6, s8, s6
	s_lshl_b64 s[6:7], s[6:7], 4
	s_add_u32 s2, s0, s6
	s_addc_u32 s6, s1, s7
	s_lshl_b64 s[0:1], s[4:5], 4
	s_add_u32 s2, s2, s0
	s_addc_u32 s10, s6, s1
	s_mov_b64 s[4:5], 0
	s_and_saveexec_b64 s[0:1], vcc
	s_xor_b64 s[0:1], exec, s[0:1]
	s_cbranch_execnz .LBB217_6
; %bb.2:
	s_andn2_saveexec_b64 s[0:1], s[0:1]
	s_cbranch_execnz .LBB217_13
.LBB217_3:
	s_or_b64 exec, exec, s[0:1]
	s_and_b64 exec, exec, s[4:5]
	s_cbranch_execz .LBB217_5
.LBB217_4:
	v_mov_b32_e32 v2, 0
	v_mov_b32_e32 v3, v2
	global_store_dwordx2 v[0:1], v[2:3], off
.LBB217_5:
	s_endpgm
.LBB217_6:
	v_cmp_ge_u32_e32 vcc, v2, v4
                                        ; implicit-def: $vgpr0_vgpr1
	s_and_saveexec_b64 s[6:7], vcc
	s_xor_b64 s[6:7], exec, s[6:7]
	s_cbranch_execz .LBB217_10
; %bb.7:
	v_cmp_le_u32_e32 vcc, s14, v4
                                        ; implicit-def: $vgpr0_vgpr1
	s_and_saveexec_b64 s[8:9], vcc
	s_xor_b64 s[8:9], exec, s[8:9]
	s_cbranch_execz .LBB217_9
; %bb.8:
	v_mad_u64_u32 v[2:3], s[12:13], v2, s3, v[4:5]
	v_mov_b32_e32 v3, 0
	v_lshlrev_b64 v[0:1], 4, v[2:3]
	v_mov_b32_e32 v2, s10
	v_add_co_u32_e32 v4, vcc, s2, v0
	v_addc_co_u32_e32 v5, vcc, v2, v1, vcc
	v_add_co_u32_e32 v0, vcc, 8, v4
	s_mov_b64 s[4:5], exec
	v_addc_co_u32_e32 v1, vcc, 0, v5, vcc
	v_mov_b32_e32 v2, v3
	global_store_dwordx2 v[4:5], v[2:3], off
.LBB217_9:
	s_or_b64 exec, exec, s[8:9]
	s_and_b64 s[4:5], s[4:5], exec
                                        ; implicit-def: $vgpr4
                                        ; implicit-def: $vgpr2
.LBB217_10:
	s_andn2_saveexec_b64 s[6:7], s[6:7]
	s_cbranch_execz .LBB217_12
; %bb.11:
	v_mad_u64_u32 v[0:1], s[8:9], v2, s3, v[4:5]
	v_mov_b32_e32 v1, 0
	v_lshlrev_b64 v[2:3], 4, v[0:1]
	v_mov_b32_e32 v0, s10
	v_add_co_u32_e32 v2, vcc, s2, v2
	v_addc_co_u32_e32 v3, vcc, v0, v3, vcc
	v_mov_b32_e32 v0, v1
	global_store_dwordx2 v[2:3], v[0:1], off
	v_add_co_u32_e32 v0, vcc, 8, v2
	v_addc_co_u32_e32 v1, vcc, 0, v3, vcc
	s_or_b64 s[4:5], s[4:5], exec
.LBB217_12:
	s_or_b64 exec, exec, s[6:7]
	s_and_b64 s[4:5], s[4:5], exec
                                        ; implicit-def: $vgpr2
	s_andn2_saveexec_b64 s[0:1], s[0:1]
	s_cbranch_execz .LBB217_3
.LBB217_13:
	v_mad_u64_u32 v[0:1], s[6:7], v2, s3, v[2:3]
	v_mov_b32_e32 v1, 0
	v_lshlrev_b64 v[2:3], 4, v[0:1]
	v_mov_b32_e32 v0, s10
	v_add_co_u32_e32 v2, vcc, s2, v2
	v_addc_co_u32_e32 v3, vcc, v0, v3, vcc
	v_add_co_u32_e32 v0, vcc, 8, v2
	v_mov_b32_e32 v5, 0x3ff00000
	v_mov_b32_e32 v4, v1
	v_addc_co_u32_e32 v1, vcc, 0, v3, vcc
	s_or_b64 s[4:5], s[4:5], exec
	global_store_dwordx2 v[2:3], v[4:5], off
	s_or_b64 exec, exec, s[0:1]
	s_and_b64 exec, exec, s[4:5]
	s_cbranch_execnz .LBB217_4
	s_branch .LBB217_5
	.section	.rodata,"a",@progbits
	.p2align	6, 0x0
	.amdhsa_kernel _ZN9rocsolver6v33100L16orgl2_init_identI19rocblas_complex_numIdEPS3_EEviiiT0_iil
		.amdhsa_group_segment_fixed_size 0
		.amdhsa_private_segment_fixed_size 0
		.amdhsa_kernarg_size 296
		.amdhsa_user_sgpr_count 6
		.amdhsa_user_sgpr_private_segment_buffer 1
		.amdhsa_user_sgpr_dispatch_ptr 0
		.amdhsa_user_sgpr_queue_ptr 0
		.amdhsa_user_sgpr_kernarg_segment_ptr 1
		.amdhsa_user_sgpr_dispatch_id 0
		.amdhsa_user_sgpr_flat_scratch_init 0
		.amdhsa_user_sgpr_kernarg_preload_length 0
		.amdhsa_user_sgpr_kernarg_preload_offset 0
		.amdhsa_user_sgpr_private_segment_size 0
		.amdhsa_uses_dynamic_stack 0
		.amdhsa_system_sgpr_private_segment_wavefront_offset 0
		.amdhsa_system_sgpr_workgroup_id_x 1
		.amdhsa_system_sgpr_workgroup_id_y 1
		.amdhsa_system_sgpr_workgroup_id_z 1
		.amdhsa_system_sgpr_workgroup_info 0
		.amdhsa_system_vgpr_workitem_id 1
		.amdhsa_next_free_vgpr 6
		.amdhsa_next_free_sgpr 16
		.amdhsa_accum_offset 8
		.amdhsa_reserve_vcc 1
		.amdhsa_reserve_flat_scratch 0
		.amdhsa_float_round_mode_32 0
		.amdhsa_float_round_mode_16_64 0
		.amdhsa_float_denorm_mode_32 3
		.amdhsa_float_denorm_mode_16_64 3
		.amdhsa_dx10_clamp 1
		.amdhsa_ieee_mode 1
		.amdhsa_fp16_overflow 0
		.amdhsa_tg_split 0
		.amdhsa_exception_fp_ieee_invalid_op 0
		.amdhsa_exception_fp_denorm_src 0
		.amdhsa_exception_fp_ieee_div_zero 0
		.amdhsa_exception_fp_ieee_overflow 0
		.amdhsa_exception_fp_ieee_underflow 0
		.amdhsa_exception_fp_ieee_inexact 0
		.amdhsa_exception_int_div_zero 0
	.end_amdhsa_kernel
	.section	.text._ZN9rocsolver6v33100L16orgl2_init_identI19rocblas_complex_numIdEPS3_EEviiiT0_iil,"axG",@progbits,_ZN9rocsolver6v33100L16orgl2_init_identI19rocblas_complex_numIdEPS3_EEviiiT0_iil,comdat
.Lfunc_end217:
	.size	_ZN9rocsolver6v33100L16orgl2_init_identI19rocblas_complex_numIdEPS3_EEviiiT0_iil, .Lfunc_end217-_ZN9rocsolver6v33100L16orgl2_init_identI19rocblas_complex_numIdEPS3_EEviiiT0_iil
                                        ; -- End function
	.section	.AMDGPU.csdata,"",@progbits
; Kernel info:
; codeLenInByte = 472
; NumSgprs: 20
; NumVgprs: 6
; NumAgprs: 0
; TotalNumVgprs: 6
; ScratchSize: 0
; MemoryBound: 0
; FloatMode: 240
; IeeeMode: 1
; LDSByteSize: 0 bytes/workgroup (compile time only)
; SGPRBlocks: 2
; VGPRBlocks: 0
; NumSGPRsForWavesPerEU: 20
; NumVGPRsForWavesPerEU: 6
; AccumOffset: 8
; Occupancy: 8
; WaveLimiterHint : 0
; COMPUTE_PGM_RSRC2:SCRATCH_EN: 0
; COMPUTE_PGM_RSRC2:USER_SGPR: 6
; COMPUTE_PGM_RSRC2:TRAP_HANDLER: 0
; COMPUTE_PGM_RSRC2:TGID_X_EN: 1
; COMPUTE_PGM_RSRC2:TGID_Y_EN: 1
; COMPUTE_PGM_RSRC2:TGID_Z_EN: 1
; COMPUTE_PGM_RSRC2:TIDIG_COMP_CNT: 1
; COMPUTE_PGM_RSRC3_GFX90A:ACCUM_OFFSET: 1
; COMPUTE_PGM_RSRC3_GFX90A:TG_SPLIT: 0
	.text
	.p2alignl 6, 3212836864
	.fill 256, 4, 3212836864
	.type	__hip_cuid_1eead853baa2637,@object ; @__hip_cuid_1eead853baa2637
	.section	.bss,"aw",@nobits
	.globl	__hip_cuid_1eead853baa2637
__hip_cuid_1eead853baa2637:
	.byte	0                               ; 0x0
	.size	__hip_cuid_1eead853baa2637, 1

	.type	llvm.amdgcn.lds.offset.table,@object ; @llvm.amdgcn.lds.offset.table
	.section	.data.rel.ro,"aw",@progbits
	.p2align	4, 0x0
llvm.amdgcn.lds.offset.table:
	.long	0+16
	.long	0+20
	.long	0
	.long	0+24
	.long	0+28
	;; [unrolled: 1-line block ×8, first 2 shown]
	.long	0
	.long	0+24
	.long	0+28
	;; [unrolled: 1-line block ×6, first 2 shown]
	.size	llvm.amdgcn.lds.offset.table, 72

	.ident	"AMD clang version 19.0.0git (https://github.com/RadeonOpenCompute/llvm-project roc-6.4.0 25133 c7fe45cf4b819c5991fe208aaa96edf142730f1d)"
	.section	".note.GNU-stack","",@progbits
	.addrsig
	.addrsig_sym __hip_cuid_1eead853baa2637
	.amdgpu_metadata
---
amdhsa.kernels:
  - .agpr_count:     0
    .args:
      - .offset:         0
        .size:           4
        .value_kind:     by_value
      - .offset:         4
        .size:           4
        .value_kind:     by_value
      - .offset:         8
        .size:           4
        .value_kind:     by_value
      - .address_space:  global
        .offset:         16
        .size:           8
        .value_kind:     global_buffer
      - .offset:         24
        .size:           4
        .value_kind:     hidden_block_count_x
      - .offset:         28
        .size:           4
        .value_kind:     hidden_block_count_y
      - .offset:         32
        .size:           4
        .value_kind:     hidden_block_count_z
      - .offset:         36
        .size:           2
        .value_kind:     hidden_group_size_x
      - .offset:         38
        .size:           2
        .value_kind:     hidden_group_size_y
      - .offset:         40
        .size:           2
        .value_kind:     hidden_group_size_z
      - .offset:         42
        .size:           2
        .value_kind:     hidden_remainder_x
      - .offset:         44
        .size:           2
        .value_kind:     hidden_remainder_y
      - .offset:         46
        .size:           2
        .value_kind:     hidden_remainder_z
      - .offset:         64
        .size:           8
        .value_kind:     hidden_global_offset_x
      - .offset:         72
        .size:           8
        .value_kind:     hidden_global_offset_y
      - .offset:         80
        .size:           8
        .value_kind:     hidden_global_offset_z
      - .offset:         88
        .size:           2
        .value_kind:     hidden_grid_dims
    .group_segment_fixed_size: 0
    .kernarg_segment_align: 8
    .kernarg_segment_size: 280
    .language:       OpenCL C
    .language_version:
      - 2
      - 0
    .max_flat_workgroup_size: 512
    .name:           _ZN9rocsolver6v33100L19stedc_update_splitsEiiiPi
    .private_segment_fixed_size: 0
    .sgpr_count:     30
    .sgpr_spill_count: 0
    .symbol:         _ZN9rocsolver6v33100L19stedc_update_splitsEiiiPi.kd
    .uniform_work_group_size: 1
    .uses_dynamic_stack: false
    .vgpr_count:     18
    .vgpr_spill_count: 0
    .wavefront_size: 64
  - .agpr_count:     0
    .args:
      - .address_space:  global
        .offset:         0
        .size:           8
        .value_kind:     global_buffer
      - .offset:         8
        .size:           4
        .value_kind:     by_value
      - .offset:         12
        .size:           4
        .value_kind:     by_value
    .group_segment_fixed_size: 0
    .kernarg_segment_align: 8
    .kernarg_segment_size: 16
    .language:       OpenCL C
    .language_version:
      - 2
      - 0
    .max_flat_workgroup_size: 32
    .name:           _ZN9rocsolver6v33100L6iota_nIfEEvPT_jS2_
    .private_segment_fixed_size: 0
    .sgpr_count:     10
    .sgpr_spill_count: 0
    .symbol:         _ZN9rocsolver6v33100L6iota_nIfEEvPT_jS2_.kd
    .uniform_work_group_size: 1
    .uses_dynamic_stack: false
    .vgpr_count:     2
    .vgpr_spill_count: 0
    .wavefront_size: 64
  - .agpr_count:     0
    .args:
      - .address_space:  global
        .offset:         0
        .size:           8
        .value_kind:     global_buffer
      - .offset:         8
        .size:           4
        .value_kind:     by_value
      - .offset:         12
        .size:           4
        .value_kind:     by_value
      - .offset:         16
        .size:           4
        .value_kind:     by_value
      - .offset:         24
        .size:           4
        .value_kind:     hidden_block_count_x
      - .offset:         28
        .size:           4
        .value_kind:     hidden_block_count_y
      - .offset:         32
        .size:           4
        .value_kind:     hidden_block_count_z
      - .offset:         36
        .size:           2
        .value_kind:     hidden_group_size_x
      - .offset:         38
        .size:           2
        .value_kind:     hidden_group_size_y
      - .offset:         40
        .size:           2
        .value_kind:     hidden_group_size_z
      - .offset:         42
        .size:           2
        .value_kind:     hidden_remainder_x
      - .offset:         44
        .size:           2
        .value_kind:     hidden_remainder_y
      - .offset:         46
        .size:           2
        .value_kind:     hidden_remainder_z
      - .offset:         64
        .size:           8
        .value_kind:     hidden_global_offset_x
      - .offset:         72
        .size:           8
        .value_kind:     hidden_global_offset_y
      - .offset:         80
        .size:           8
        .value_kind:     hidden_global_offset_z
      - .offset:         88
        .size:           2
        .value_kind:     hidden_grid_dims
    .group_segment_fixed_size: 0
    .kernarg_segment_align: 8
    .kernarg_segment_size: 280
    .language:       OpenCL C
    .language_version:
      - 2
      - 0
    .max_flat_workgroup_size: 1024
    .name:           _ZN9rocsolver6v33100L10reset_infoIiiiEEvPT_T0_T1_S4_
    .private_segment_fixed_size: 0
    .sgpr_count:     12
    .sgpr_spill_count: 0
    .symbol:         _ZN9rocsolver6v33100L10reset_infoIiiiEEvPT_T0_T1_S4_.kd
    .uniform_work_group_size: 1
    .uses_dynamic_stack: false
    .vgpr_count:     4
    .vgpr_spill_count: 0
    .wavefront_size: 64
  - .agpr_count:     0
    .args:
      - .offset:         0
        .size:           4
        .value_kind:     by_value
      - .address_space:  global
        .offset:         8
        .size:           8
        .value_kind:     global_buffer
      - .offset:         16
        .size:           8
        .value_kind:     by_value
      - .address_space:  global
        .offset:         24
        .size:           8
        .value_kind:     global_buffer
      - .offset:         32
        .size:           8
        .value_kind:     by_value
      - .offset:         40
        .size:           4
        .value_kind:     by_value
      - .offset:         48
        .size:           4
        .value_kind:     hidden_block_count_x
      - .offset:         52
        .size:           4
        .value_kind:     hidden_block_count_y
      - .offset:         56
        .size:           4
        .value_kind:     hidden_block_count_z
      - .offset:         60
        .size:           2
        .value_kind:     hidden_group_size_x
      - .offset:         62
        .size:           2
        .value_kind:     hidden_group_size_y
      - .offset:         64
        .size:           2
        .value_kind:     hidden_group_size_z
      - .offset:         66
        .size:           2
        .value_kind:     hidden_remainder_x
      - .offset:         68
        .size:           2
        .value_kind:     hidden_remainder_y
      - .offset:         70
        .size:           2
        .value_kind:     hidden_remainder_z
      - .offset:         88
        .size:           8
        .value_kind:     hidden_global_offset_x
      - .offset:         96
        .size:           8
        .value_kind:     hidden_global_offset_y
      - .offset:         104
        .size:           8
        .value_kind:     hidden_global_offset_z
      - .offset:         112
        .size:           2
        .value_kind:     hidden_grid_dims
    .group_segment_fixed_size: 0
    .kernarg_segment_align: 8
    .kernarg_segment_size: 304
    .language:       OpenCL C
    .language_version:
      - 2
      - 0
    .max_flat_workgroup_size: 1024
    .name:           _ZN9rocsolver6v33100L16syev_scalar_caseIfPfTnNSt9enable_ifIXnt18rocblas_is_complexIT_EEiE4typeELi0EEEv14rocblas_evect_T0_lPS4_li
    .private_segment_fixed_size: 0
    .sgpr_count:     20
    .sgpr_spill_count: 0
    .symbol:         _ZN9rocsolver6v33100L16syev_scalar_caseIfPfTnNSt9enable_ifIXnt18rocblas_is_complexIT_EEiE4typeELi0EEEv14rocblas_evect_T0_lPS4_li.kd
    .uniform_work_group_size: 1
    .uses_dynamic_stack: false
    .vgpr_count:     7
    .vgpr_spill_count: 0
    .wavefront_size: 64
  - .agpr_count:     0
    .args:
      - .offset:         0
        .size:           4
        .value_kind:     by_value
      - .address_space:  global
        .offset:         8
        .size:           8
        .value_kind:     global_buffer
      - .offset:         16
        .size:           8
        .value_kind:     by_value
      - .offset:         24
        .size:           4
        .value_kind:     by_value
      - .offset:         32
        .size:           8
        .value_kind:     by_value
      - .address_space:  global
        .offset:         40
        .size:           8
        .value_kind:     global_buffer
      - .offset:         48
        .size:           8
        .value_kind:     by_value
      - .address_space:  global
        .offset:         56
        .size:           8
        .value_kind:     global_buffer
      - .offset:         64
        .size:           8
        .value_kind:     by_value
      - .address_space:  global
        .offset:         72
        .size:           8
        .value_kind:     global_buffer
      - .offset:         80
        .size:           8
        .value_kind:     by_value
    .group_segment_fixed_size: 0
    .kernarg_segment_align: 8
    .kernarg_segment_size: 88
    .language:       OpenCL C
    .language_version:
      - 2
      - 0
    .max_flat_workgroup_size: 256
    .name:           _ZN9rocsolver6v33100L24sytd2_lower_kernel_smallILi256EfifPfEEvT1_T3_lS3_lPT2_lS6_lPT0_l
    .private_segment_fixed_size: 0
    .sgpr_count:     50
    .sgpr_spill_count: 0
    .symbol:         _ZN9rocsolver6v33100L24sytd2_lower_kernel_smallILi256EfifPfEEvT1_T3_lS3_lPT2_lS6_lPT0_l.kd
    .uniform_work_group_size: 1
    .uses_dynamic_stack: false
    .vgpr_count:     28
    .vgpr_spill_count: 0
    .wavefront_size: 64
  - .agpr_count:     0
    .args:
      - .address_space:  global
        .offset:         0
        .size:           8
        .value_kind:     global_buffer
      - .offset:         8
        .size:           8
        .value_kind:     by_value
      - .offset:         16
        .size:           4
        .value_kind:     by_value
      - .offset:         20
        .size:           4
        .value_kind:     by_value
      - .offset:         24
        .size:           4
        .value_kind:     hidden_block_count_x
      - .offset:         28
        .size:           4
        .value_kind:     hidden_block_count_y
      - .offset:         32
        .size:           4
        .value_kind:     hidden_block_count_z
      - .offset:         36
        .size:           2
        .value_kind:     hidden_group_size_x
      - .offset:         38
        .size:           2
        .value_kind:     hidden_group_size_y
      - .offset:         40
        .size:           2
        .value_kind:     hidden_group_size_z
      - .offset:         42
        .size:           2
        .value_kind:     hidden_remainder_x
      - .offset:         44
        .size:           2
        .value_kind:     hidden_remainder_y
      - .offset:         46
        .size:           2
        .value_kind:     hidden_remainder_z
      - .offset:         64
        .size:           8
        .value_kind:     hidden_global_offset_x
      - .offset:         72
        .size:           8
        .value_kind:     hidden_global_offset_y
      - .offset:         80
        .size:           8
        .value_kind:     hidden_global_offset_z
      - .offset:         88
        .size:           2
        .value_kind:     hidden_grid_dims
    .group_segment_fixed_size: 0
    .kernarg_segment_align: 8
    .kernarg_segment_size: 280
    .language:       OpenCL C
    .language_version:
      - 2
      - 0
    .max_flat_workgroup_size: 1024
    .name:           _ZN9rocsolver6v33100L16reset_batch_infoIfiiPfEEvT2_lT0_T1_
    .private_segment_fixed_size: 0
    .sgpr_count:     16
    .sgpr_spill_count: 0
    .symbol:         _ZN9rocsolver6v33100L16reset_batch_infoIfiiPfEEvT2_lT0_T1_.kd
    .uniform_work_group_size: 1
    .uses_dynamic_stack: false
    .vgpr_count:     4
    .vgpr_spill_count: 0
    .wavefront_size: 64
  - .agpr_count:     0
    .args:
      - .address_space:  global
        .offset:         0
        .size:           8
        .value_kind:     global_buffer
      - .offset:         8
        .size:           8
        .value_kind:     by_value
      - .offset:         16
        .size:           8
        .value_kind:     by_value
      - .address_space:  global
        .offset:         24
        .size:           8
        .value_kind:     global_buffer
      - .offset:         32
        .size:           8
        .value_kind:     by_value
      - .offset:         40
        .size:           4
        .value_kind:     by_value
      - .offset:         48
        .size:           8
        .value_kind:     by_value
      - .offset:         56
        .size:           4
        .value_kind:     by_value
      - .offset:         60
        .size:           1
        .value_kind:     by_value
      - .offset:         64
        .size:           4
        .value_kind:     hidden_block_count_x
      - .offset:         68
        .size:           4
        .value_kind:     hidden_block_count_y
      - .offset:         72
        .size:           4
        .value_kind:     hidden_block_count_z
      - .offset:         76
        .size:           2
        .value_kind:     hidden_group_size_x
      - .offset:         78
        .size:           2
        .value_kind:     hidden_group_size_y
      - .offset:         80
        .size:           2
        .value_kind:     hidden_group_size_z
      - .offset:         82
        .size:           2
        .value_kind:     hidden_remainder_x
      - .offset:         84
        .size:           2
        .value_kind:     hidden_remainder_y
      - .offset:         86
        .size:           2
        .value_kind:     hidden_remainder_z
      - .offset:         104
        .size:           8
        .value_kind:     hidden_global_offset_x
      - .offset:         112
        .size:           8
        .value_kind:     hidden_global_offset_y
      - .offset:         120
        .size:           8
        .value_kind:     hidden_global_offset_z
      - .offset:         128
        .size:           2
        .value_kind:     hidden_grid_dims
    .group_segment_fixed_size: 0
    .kernarg_segment_align: 8
    .kernarg_segment_size: 320
    .language:       OpenCL C
    .language_version:
      - 2
      - 0
    .max_flat_workgroup_size: 1024
    .name:           _ZN9rocsolver6v33100L8set_diagIfifPfTnNSt9enable_ifIXoont18rocblas_is_complexIT_E18rocblas_is_complexIT1_EEiE4typeELi0EEEvPS5_llT2_lT0_lSA_b
    .private_segment_fixed_size: 0
    .sgpr_count:     23
    .sgpr_spill_count: 0
    .symbol:         _ZN9rocsolver6v33100L8set_diagIfifPfTnNSt9enable_ifIXoont18rocblas_is_complexIT_E18rocblas_is_complexIT1_EEiE4typeELi0EEEvPS5_llT2_lT0_lSA_b.kd
    .uniform_work_group_size: 1
    .uses_dynamic_stack: false
    .vgpr_count:     6
    .vgpr_spill_count: 0
    .wavefront_size: 64
  - .agpr_count:     0
    .args:
      - .address_space:  global
        .offset:         0
        .size:           8
        .value_kind:     global_buffer
      - .offset:         8
        .size:           8
        .value_kind:     by_value
      - .address_space:  global
        .offset:         16
        .size:           8
        .value_kind:     global_buffer
      - .address_space:  global
        .offset:         24
        .size:           8
        .value_kind:     global_buffer
      - .offset:         32
        .size:           8
        .value_kind:     by_value
      - .offset:         40
        .size:           8
        .value_kind:     by_value
      - .address_space:  global
        .offset:         48
        .size:           8
        .value_kind:     global_buffer
      - .offset:         56
        .size:           8
        .value_kind:     by_value
      - .offset:         64
        .size:           8
        .value_kind:     by_value
    .group_segment_fixed_size: 0
    .kernarg_segment_align: 8
    .kernarg_segment_size: 72
    .language:       OpenCL C
    .language_version:
      - 2
      - 0
    .max_flat_workgroup_size: 1024
    .name:           _ZN9rocsolver6v33100L11set_taubetaIfifPfEEvPT_lS4_T2_llPT1_ll
    .private_segment_fixed_size: 0
    .sgpr_count:     28
    .sgpr_spill_count: 0
    .symbol:         _ZN9rocsolver6v33100L11set_taubetaIfifPfEEvPT_lS4_T2_llPT1_ll.kd
    .uniform_work_group_size: 1
    .uses_dynamic_stack: false
    .vgpr_count:     8
    .vgpr_spill_count: 0
    .wavefront_size: 64
  - .agpr_count:     0
    .args:
      - .offset:         0
        .size:           4
        .value_kind:     by_value
      - .address_space:  global
        .offset:         8
        .size:           8
        .value_kind:     global_buffer
      - .offset:         16
        .size:           8
        .value_kind:     by_value
      - .offset:         24
        .size:           8
        .value_kind:     by_value
      - .address_space:  global
        .offset:         32
        .size:           8
        .value_kind:     global_buffer
      - .offset:         40
        .size:           8
        .value_kind:     by_value
      - .offset:         48
        .size:           8
        .value_kind:     by_value
      - .address_space:  global
        .offset:         56
        .size:           8
        .value_kind:     global_buffer
      - .offset:         64
        .size:           8
        .value_kind:     by_value
    .group_segment_fixed_size: 516
    .kernarg_segment_align: 8
    .kernarg_segment_size: 72
    .language:       OpenCL C
    .language_version:
      - 2
      - 0
    .max_flat_workgroup_size: 64
    .name:           _ZN9rocsolver6v33100L20latrd_dot_scale_axpyILi64EfiPfEEvT1_T2_llPT0_llS6_l
    .private_segment_fixed_size: 0
    .sgpr_count:     38
    .sgpr_spill_count: 0
    .symbol:         _ZN9rocsolver6v33100L20latrd_dot_scale_axpyILi64EfiPfEEvT1_T2_llPT0_llS6_l.kd
    .uniform_work_group_size: 1
    .uses_dynamic_stack: false
    .vgpr_count:     11
    .vgpr_spill_count: 0
    .wavefront_size: 64
  - .agpr_count:     0
    .args:
      - .offset:         0
        .size:           4
        .value_kind:     by_value
      - .address_space:  global
        .offset:         8
        .size:           8
        .value_kind:     global_buffer
      - .address_space:  global
        .offset:         16
        .size:           8
        .value_kind:     global_buffer
      - .offset:         24
        .size:           8
        .value_kind:     by_value
      - .offset:         32
        .size:           4
        .value_kind:     hidden_block_count_x
      - .offset:         36
        .size:           4
        .value_kind:     hidden_block_count_y
      - .offset:         40
        .size:           4
        .value_kind:     hidden_block_count_z
      - .offset:         44
        .size:           2
        .value_kind:     hidden_group_size_x
      - .offset:         46
        .size:           2
        .value_kind:     hidden_group_size_y
      - .offset:         48
        .size:           2
        .value_kind:     hidden_group_size_z
      - .offset:         50
        .size:           2
        .value_kind:     hidden_remainder_x
      - .offset:         52
        .size:           2
        .value_kind:     hidden_remainder_y
      - .offset:         54
        .size:           2
        .value_kind:     hidden_remainder_z
      - .offset:         72
        .size:           8
        .value_kind:     hidden_global_offset_x
      - .offset:         80
        .size:           8
        .value_kind:     hidden_global_offset_y
      - .offset:         88
        .size:           8
        .value_kind:     hidden_global_offset_z
      - .offset:         96
        .size:           2
        .value_kind:     hidden_grid_dims
    .group_segment_fixed_size: 0
    .kernarg_segment_align: 8
    .kernarg_segment_size: 288
    .language:       OpenCL C
    .language_version:
      - 2
      - 0
    .max_flat_workgroup_size: 1024
    .name:           _ZN9rocsolver6v33100L7set_tauIfEEviPT_S3_l
    .private_segment_fixed_size: 0
    .sgpr_count:     12
    .sgpr_spill_count: 0
    .symbol:         _ZN9rocsolver6v33100L7set_tauIfEEviPT_S3_l.kd
    .uniform_work_group_size: 1
    .uses_dynamic_stack: false
    .vgpr_count:     5
    .vgpr_spill_count: 0
    .wavefront_size: 64
  - .agpr_count:     0
    .args:
      - .offset:         0
        .size:           4
        .value_kind:     by_value
      - .address_space:  global
        .offset:         8
        .size:           8
        .value_kind:     global_buffer
      - .offset:         16
        .size:           8
        .value_kind:     by_value
      - .offset:         24
        .size:           4
        .value_kind:     by_value
      - .offset:         32
        .size:           8
        .value_kind:     by_value
      - .address_space:  global
        .offset:         40
        .size:           8
        .value_kind:     global_buffer
      - .offset:         48
        .size:           8
        .value_kind:     by_value
      - .address_space:  global
        .offset:         56
        .size:           8
        .value_kind:     global_buffer
      - .offset:         64
        .size:           8
        .value_kind:     by_value
      - .address_space:  global
        .offset:         72
        .size:           8
        .value_kind:     global_buffer
      - .offset:         80
        .size:           8
        .value_kind:     by_value
    .group_segment_fixed_size: 0
    .kernarg_segment_align: 8
    .kernarg_segment_size: 88
    .language:       OpenCL C
    .language_version:
      - 2
      - 0
    .max_flat_workgroup_size: 256
    .name:           _ZN9rocsolver6v33100L24sytd2_upper_kernel_smallILi256EfifPfEEvT1_T3_lS3_lPT2_lS6_lPT0_l
    .private_segment_fixed_size: 0
    .sgpr_count:     50
    .sgpr_spill_count: 0
    .symbol:         _ZN9rocsolver6v33100L24sytd2_upper_kernel_smallILi256EfifPfEEvT1_T3_lS3_lPT2_lS6_lPT0_l.kd
    .uniform_work_group_size: 1
    .uses_dynamic_stack: false
    .vgpr_count:     27
    .vgpr_spill_count: 0
    .wavefront_size: 64
  - .agpr_count:     0
    .args:
      - .offset:         0
        .size:           4
        .value_kind:     by_value
      - .offset:         4
        .size:           4
        .value_kind:     by_value
      - .offset:         8
        .size:           4
        .value_kind:     by_value
      - .address_space:  global
        .offset:         16
        .size:           8
        .value_kind:     global_buffer
      - .offset:         24
        .size:           4
        .value_kind:     by_value
      - .offset:         28
        .size:           4
        .value_kind:     by_value
      - .offset:         32
        .size:           8
        .value_kind:     by_value
      - .address_space:  global
        .offset:         40
        .size:           8
        .value_kind:     global_buffer
      - .offset:         48
        .size:           1
        .value_kind:     by_value
      - .offset:         52
        .size:           4
        .value_kind:     by_value
      - .offset:         56
        .size:           4
        .value_kind:     by_value
      - .offset:         64
        .size:           4
        .value_kind:     hidden_block_count_x
      - .offset:         68
        .size:           4
        .value_kind:     hidden_block_count_y
      - .offset:         72
        .size:           4
        .value_kind:     hidden_block_count_z
      - .offset:         76
        .size:           2
        .value_kind:     hidden_group_size_x
      - .offset:         78
        .size:           2
        .value_kind:     hidden_group_size_y
      - .offset:         80
        .size:           2
        .value_kind:     hidden_group_size_z
      - .offset:         82
        .size:           2
        .value_kind:     hidden_remainder_x
      - .offset:         84
        .size:           2
        .value_kind:     hidden_remainder_y
      - .offset:         86
        .size:           2
        .value_kind:     hidden_remainder_z
      - .offset:         104
        .size:           8
        .value_kind:     hidden_global_offset_x
      - .offset:         112
        .size:           8
        .value_kind:     hidden_global_offset_y
      - .offset:         120
        .size:           8
        .value_kind:     hidden_global_offset_z
      - .offset:         128
        .size:           2
        .value_kind:     hidden_grid_dims
    .group_segment_fixed_size: 0
    .kernarg_segment_align: 8
    .kernarg_segment_size: 320
    .language:       OpenCL C
    .language_version:
      - 2
      - 0
    .max_flat_workgroup_size: 1024
    .name:           _ZN9rocsolver6v33100L8copy_matIfPfNS0_7no_maskEEEvNS0_17copymat_directionEiiT0_iilPT_T1_13rocblas_fill_17rocblas_diagonal_
    .private_segment_fixed_size: 0
    .sgpr_count:     22
    .sgpr_spill_count: 0
    .symbol:         _ZN9rocsolver6v33100L8copy_matIfPfNS0_7no_maskEEEvNS0_17copymat_directionEiiT0_iilPT_T1_13rocblas_fill_17rocblas_diagonal_.kd
    .uniform_work_group_size: 1
    .uses_dynamic_stack: false
    .vgpr_count:     6
    .vgpr_spill_count: 0
    .wavefront_size: 64
  - .agpr_count:     0
    .args:
      - .offset:         0
        .size:           4
        .value_kind:     by_value
      - .offset:         4
        .size:           4
        .value_kind:     by_value
      - .address_space:  global
        .offset:         8
        .size:           8
        .value_kind:     global_buffer
      - .offset:         16
        .size:           4
        .value_kind:     by_value
      - .offset:         20
        .size:           4
        .value_kind:     by_value
      - .offset:         24
        .size:           8
        .value_kind:     by_value
      - .address_space:  global
        .offset:         32
        .size:           8
        .value_kind:     global_buffer
      - .offset:         40
        .size:           4
        .value_kind:     by_value
      - .offset:         44
        .size:           4
        .value_kind:     by_value
      - .offset:         48
        .size:           8
        .value_kind:     by_value
      - .offset:         56
        .size:           4
        .value_kind:     hidden_block_count_x
      - .offset:         60
        .size:           4
        .value_kind:     hidden_block_count_y
      - .offset:         64
        .size:           4
        .value_kind:     hidden_block_count_z
      - .offset:         68
        .size:           2
        .value_kind:     hidden_group_size_x
      - .offset:         70
        .size:           2
        .value_kind:     hidden_group_size_y
      - .offset:         72
        .size:           2
        .value_kind:     hidden_group_size_z
      - .offset:         74
        .size:           2
        .value_kind:     hidden_remainder_x
      - .offset:         76
        .size:           2
        .value_kind:     hidden_remainder_y
      - .offset:         78
        .size:           2
        .value_kind:     hidden_remainder_z
      - .offset:         96
        .size:           8
        .value_kind:     hidden_global_offset_x
      - .offset:         104
        .size:           8
        .value_kind:     hidden_global_offset_y
      - .offset:         112
        .size:           8
        .value_kind:     hidden_global_offset_z
      - .offset:         120
        .size:           2
        .value_kind:     hidden_grid_dims
      - .offset:         176
        .size:           4
        .value_kind:     hidden_dynamic_lds_size
    .group_segment_fixed_size: 0
    .kernarg_segment_align: 8
    .kernarg_segment_size: 312
    .language:       OpenCL C
    .language_version:
      - 2
      - 0
    .max_flat_workgroup_size: 1024
    .name:           _ZN9rocsolver6v33100L26latrd_lower_updateA_kernelIfPfEEviiT0_iilPT_iil
    .private_segment_fixed_size: 0
    .sgpr_count:     39
    .sgpr_spill_count: 0
    .symbol:         _ZN9rocsolver6v33100L26latrd_lower_updateA_kernelIfPfEEviiT0_iilPT_iil.kd
    .uniform_work_group_size: 1
    .uses_dynamic_stack: false
    .vgpr_count:     22
    .vgpr_spill_count: 0
    .wavefront_size: 64
  - .agpr_count:     0
    .args:
      - .offset:         0
        .size:           4
        .value_kind:     by_value
      - .offset:         4
        .size:           4
        .value_kind:     by_value
      - .address_space:  global
        .offset:         8
        .size:           8
        .value_kind:     global_buffer
      - .offset:         16
        .size:           4
        .value_kind:     by_value
      - .offset:         20
        .size:           4
        .value_kind:     by_value
      - .offset:         24
        .size:           8
        .value_kind:     by_value
      - .address_space:  global
        .offset:         32
        .size:           8
        .value_kind:     global_buffer
      - .offset:         40
        .size:           4
        .value_kind:     by_value
      - .offset:         44
        .size:           4
        .value_kind:     by_value
      - .offset:         48
        .size:           8
        .value_kind:     by_value
      - .address_space:  global
        .offset:         56
        .size:           8
        .value_kind:     global_buffer
      - .offset:         64
        .size:           4
        .value_kind:     by_value
      - .offset:         68
        .size:           4
        .value_kind:     by_value
      - .offset:         72
        .size:           8
        .value_kind:     by_value
      - .address_space:  global
        .offset:         80
        .size:           8
        .value_kind:     global_buffer
      - .offset:         88
        .size:           8
        .value_kind:     by_value
    .group_segment_fixed_size: 1024
    .kernarg_segment_align: 8
    .kernarg_segment_size: 96
    .language:       OpenCL C
    .language_version:
      - 2
      - 0
    .max_flat_workgroup_size: 1024
    .name:           _ZN9rocsolver6v33100L33latrd_lower_computeW_gemvt_kernelILi256EfPfEEviiT1_iilPT0_iilS5_iilS5_l
    .private_segment_fixed_size: 0
    .sgpr_count:     36
    .sgpr_spill_count: 0
    .symbol:         _ZN9rocsolver6v33100L33latrd_lower_computeW_gemvt_kernelILi256EfPfEEviiT1_iilPT0_iilS5_iilS5_l.kd
    .uniform_work_group_size: 1
    .uses_dynamic_stack: false
    .vgpr_count:     10
    .vgpr_spill_count: 0
    .wavefront_size: 64
  - .agpr_count:     0
    .args:
      - .offset:         0
        .size:           4
        .value_kind:     by_value
      - .offset:         4
        .size:           4
        .value_kind:     by_value
      - .address_space:  global
        .offset:         8
        .size:           8
        .value_kind:     global_buffer
      - .offset:         16
        .size:           4
        .value_kind:     by_value
      - .offset:         20
        .size:           4
        .value_kind:     by_value
      - .offset:         24
        .size:           8
        .value_kind:     by_value
      - .address_space:  global
        .offset:         32
        .size:           8
        .value_kind:     global_buffer
      - .offset:         40
        .size:           4
        .value_kind:     by_value
      - .offset:         44
        .size:           4
        .value_kind:     by_value
      - .offset:         48
        .size:           8
        .value_kind:     by_value
      - .address_space:  global
        .offset:         56
        .size:           8
        .value_kind:     global_buffer
      - .offset:         64
        .size:           8
        .value_kind:     by_value
      - .address_space:  global
        .offset:         72
        .size:           8
        .value_kind:     global_buffer
      - .offset:         80
        .size:           8
        .value_kind:     by_value
      - .offset:         88
        .size:           4
        .value_kind:     hidden_block_count_x
      - .offset:         92
        .size:           4
        .value_kind:     hidden_block_count_y
      - .offset:         96
        .size:           4
        .value_kind:     hidden_block_count_z
      - .offset:         100
        .size:           2
        .value_kind:     hidden_group_size_x
      - .offset:         102
        .size:           2
        .value_kind:     hidden_group_size_y
      - .offset:         104
        .size:           2
        .value_kind:     hidden_group_size_z
      - .offset:         106
        .size:           2
        .value_kind:     hidden_remainder_x
      - .offset:         108
        .size:           2
        .value_kind:     hidden_remainder_y
      - .offset:         110
        .size:           2
        .value_kind:     hidden_remainder_z
      - .offset:         128
        .size:           8
        .value_kind:     hidden_global_offset_x
      - .offset:         136
        .size:           8
        .value_kind:     hidden_global_offset_y
      - .offset:         144
        .size:           8
        .value_kind:     hidden_global_offset_z
      - .offset:         152
        .size:           2
        .value_kind:     hidden_grid_dims
      - .offset:         208
        .size:           4
        .value_kind:     hidden_dynamic_lds_size
    .group_segment_fixed_size: 0
    .kernarg_segment_align: 8
    .kernarg_segment_size: 344
    .language:       OpenCL C
    .language_version:
      - 2
      - 0
    .max_flat_workgroup_size: 1024
    .name:           _ZN9rocsolver6v33100L26latrd_lower_updateW_kernelIfPfEEviiT0_iilPT_iilS5_lS5_l
    .private_segment_fixed_size: 0
    .sgpr_count:     45
    .sgpr_spill_count: 0
    .symbol:         _ZN9rocsolver6v33100L26latrd_lower_updateW_kernelIfPfEEviiT0_iilPT_iilS5_lS5_l.kd
    .uniform_work_group_size: 1
    .uses_dynamic_stack: false
    .vgpr_count:     24
    .vgpr_spill_count: 0
    .wavefront_size: 64
  - .agpr_count:     0
    .args:
      - .offset:         0
        .size:           4
        .value_kind:     by_value
      - .address_space:  global
        .offset:         8
        .size:           8
        .value_kind:     global_buffer
      - .offset:         16
        .size:           8
        .value_kind:     by_value
      - .offset:         24
        .size:           8
        .value_kind:     by_value
      - .address_space:  global
        .offset:         32
        .size:           8
        .value_kind:     global_buffer
      - .offset:         40
        .size:           8
        .value_kind:     by_value
      - .offset:         48
        .size:           8
        .value_kind:     by_value
      - .address_space:  global
        .offset:         56
        .size:           8
        .value_kind:     global_buffer
      - .offset:         64
        .size:           8
        .value_kind:     by_value
    .group_segment_fixed_size: 8256
    .kernarg_segment_align: 8
    .kernarg_segment_size: 72
    .language:       OpenCL C
    .language_version:
      - 2
      - 0
    .max_flat_workgroup_size: 1024
    .name:           _ZN9rocsolver6v33100L20latrd_dot_scale_axpyILi1024EfiPfEEvT1_T2_llPT0_llS6_l
    .private_segment_fixed_size: 0
    .sgpr_count:     35
    .sgpr_spill_count: 0
    .symbol:         _ZN9rocsolver6v33100L20latrd_dot_scale_axpyILi1024EfiPfEEvT1_T2_llPT0_llS6_l.kd
    .uniform_work_group_size: 1
    .uses_dynamic_stack: false
    .vgpr_count:     12
    .vgpr_spill_count: 0
    .wavefront_size: 64
  - .agpr_count:     0
    .args:
      - .offset:         0
        .size:           4
        .value_kind:     by_value
      - .offset:         4
        .size:           4
        .value_kind:     by_value
      - .offset:         8
        .size:           4
        .value_kind:     by_value
      - .address_space:  global
        .offset:         16
        .size:           8
        .value_kind:     global_buffer
      - .offset:         24
        .size:           4
        .value_kind:     by_value
      - .offset:         28
        .size:           4
        .value_kind:     by_value
      - .offset:         32
        .size:           8
        .value_kind:     by_value
      - .address_space:  global
        .offset:         40
        .size:           8
        .value_kind:     global_buffer
      - .offset:         48
        .size:           4
        .value_kind:     by_value
      - .offset:         52
        .size:           4
        .value_kind:     by_value
      - .offset:         56
        .size:           8
        .value_kind:     by_value
      - .offset:         64
        .size:           4
        .value_kind:     hidden_block_count_x
      - .offset:         68
        .size:           4
        .value_kind:     hidden_block_count_y
      - .offset:         72
        .size:           4
        .value_kind:     hidden_block_count_z
      - .offset:         76
        .size:           2
        .value_kind:     hidden_group_size_x
      - .offset:         78
        .size:           2
        .value_kind:     hidden_group_size_y
      - .offset:         80
        .size:           2
        .value_kind:     hidden_group_size_z
      - .offset:         82
        .size:           2
        .value_kind:     hidden_remainder_x
      - .offset:         84
        .size:           2
        .value_kind:     hidden_remainder_y
      - .offset:         86
        .size:           2
        .value_kind:     hidden_remainder_z
      - .offset:         104
        .size:           8
        .value_kind:     hidden_global_offset_x
      - .offset:         112
        .size:           8
        .value_kind:     hidden_global_offset_y
      - .offset:         120
        .size:           8
        .value_kind:     hidden_global_offset_z
      - .offset:         128
        .size:           2
        .value_kind:     hidden_grid_dims
      - .offset:         184
        .size:           4
        .value_kind:     hidden_dynamic_lds_size
    .group_segment_fixed_size: 0
    .kernarg_segment_align: 8
    .kernarg_segment_size: 320
    .language:       OpenCL C
    .language_version:
      - 2
      - 0
    .max_flat_workgroup_size: 1024
    .name:           _ZN9rocsolver6v33100L26latrd_upper_updateA_kernelIfPfEEviiiT0_iilPT_iil
    .private_segment_fixed_size: 0
    .sgpr_count:     45
    .sgpr_spill_count: 0
    .symbol:         _ZN9rocsolver6v33100L26latrd_upper_updateA_kernelIfPfEEviiiT0_iilPT_iil.kd
    .uniform_work_group_size: 1
    .uses_dynamic_stack: false
    .vgpr_count:     22
    .vgpr_spill_count: 0
    .wavefront_size: 64
  - .agpr_count:     0
    .args:
      - .offset:         0
        .size:           4
        .value_kind:     by_value
      - .offset:         4
        .size:           4
        .value_kind:     by_value
      - .offset:         8
        .size:           4
        .value_kind:     by_value
      - .address_space:  global
        .offset:         16
        .size:           8
        .value_kind:     global_buffer
      - .offset:         24
        .size:           4
        .value_kind:     by_value
      - .offset:         28
        .size:           4
        .value_kind:     by_value
      - .offset:         32
        .size:           8
        .value_kind:     by_value
      - .address_space:  global
        .offset:         40
        .size:           8
        .value_kind:     global_buffer
      - .offset:         48
        .size:           4
        .value_kind:     by_value
      - .offset:         52
        .size:           4
        .value_kind:     by_value
      - .offset:         56
        .size:           8
        .value_kind:     by_value
      - .address_space:  global
        .offset:         64
        .size:           8
        .value_kind:     global_buffer
      - .offset:         72
        .size:           4
        .value_kind:     by_value
      - .offset:         76
        .size:           4
        .value_kind:     by_value
      - .offset:         80
        .size:           8
        .value_kind:     by_value
      - .address_space:  global
        .offset:         88
        .size:           8
        .value_kind:     global_buffer
      - .offset:         96
        .size:           8
        .value_kind:     by_value
    .group_segment_fixed_size: 1024
    .kernarg_segment_align: 8
    .kernarg_segment_size: 104
    .language:       OpenCL C
    .language_version:
      - 2
      - 0
    .max_flat_workgroup_size: 1024
    .name:           _ZN9rocsolver6v33100L33latrd_upper_computeW_gemvt_kernelILi256EfPfEEviiiT1_iilPT0_iilS5_iilS5_l
    .private_segment_fixed_size: 0
    .sgpr_count:     36
    .sgpr_spill_count: 0
    .symbol:         _ZN9rocsolver6v33100L33latrd_upper_computeW_gemvt_kernelILi256EfPfEEviiiT1_iilPT0_iilS5_iilS5_l.kd
    .uniform_work_group_size: 1
    .uses_dynamic_stack: false
    .vgpr_count:     10
    .vgpr_spill_count: 0
    .wavefront_size: 64
  - .agpr_count:     0
    .args:
      - .offset:         0
        .size:           4
        .value_kind:     by_value
      - .offset:         4
        .size:           4
        .value_kind:     by_value
      - .offset:         8
        .size:           4
        .value_kind:     by_value
      - .address_space:  global
        .offset:         16
        .size:           8
        .value_kind:     global_buffer
      - .offset:         24
        .size:           4
        .value_kind:     by_value
      - .offset:         28
        .size:           4
        .value_kind:     by_value
      - .offset:         32
        .size:           8
        .value_kind:     by_value
      - .address_space:  global
        .offset:         40
        .size:           8
        .value_kind:     global_buffer
      - .offset:         48
        .size:           4
        .value_kind:     by_value
      - .offset:         52
        .size:           4
        .value_kind:     by_value
      - .offset:         56
        .size:           8
        .value_kind:     by_value
      - .address_space:  global
        .offset:         64
        .size:           8
        .value_kind:     global_buffer
      - .offset:         72
        .size:           8
        .value_kind:     by_value
      - .address_space:  global
        .offset:         80
        .size:           8
        .value_kind:     global_buffer
      - .offset:         88
        .size:           8
        .value_kind:     by_value
      - .offset:         96
        .size:           4
        .value_kind:     hidden_block_count_x
      - .offset:         100
        .size:           4
        .value_kind:     hidden_block_count_y
      - .offset:         104
        .size:           4
        .value_kind:     hidden_block_count_z
      - .offset:         108
        .size:           2
        .value_kind:     hidden_group_size_x
      - .offset:         110
        .size:           2
        .value_kind:     hidden_group_size_y
      - .offset:         112
        .size:           2
        .value_kind:     hidden_group_size_z
      - .offset:         114
        .size:           2
        .value_kind:     hidden_remainder_x
      - .offset:         116
        .size:           2
        .value_kind:     hidden_remainder_y
      - .offset:         118
        .size:           2
        .value_kind:     hidden_remainder_z
      - .offset:         136
        .size:           8
        .value_kind:     hidden_global_offset_x
      - .offset:         144
        .size:           8
        .value_kind:     hidden_global_offset_y
      - .offset:         152
        .size:           8
        .value_kind:     hidden_global_offset_z
      - .offset:         160
        .size:           2
        .value_kind:     hidden_grid_dims
      - .offset:         216
        .size:           4
        .value_kind:     hidden_dynamic_lds_size
    .group_segment_fixed_size: 0
    .kernarg_segment_align: 8
    .kernarg_segment_size: 352
    .language:       OpenCL C
    .language_version:
      - 2
      - 0
    .max_flat_workgroup_size: 1024
    .name:           _ZN9rocsolver6v33100L26latrd_upper_updateW_kernelIfPfEEviiiT0_iilPT_iilS5_lS5_l
    .private_segment_fixed_size: 0
    .sgpr_count:     45
    .sgpr_spill_count: 0
    .symbol:         _ZN9rocsolver6v33100L26latrd_upper_updateW_kernelIfPfEEviiiT0_iilPT_iilS5_lS5_l.kd
    .uniform_work_group_size: 1
    .uses_dynamic_stack: false
    .vgpr_count:     24
    .vgpr_spill_count: 0
    .wavefront_size: 64
  - .agpr_count:     0
    .args:
      - .offset:         0
        .size:           4
        .value_kind:     by_value
      - .offset:         4
        .size:           4
        .value_kind:     by_value
      - .address_space:  global
        .offset:         8
        .size:           8
        .value_kind:     global_buffer
      - .offset:         16
        .size:           4
        .value_kind:     by_value
      - .offset:         20
        .size:           4
        .value_kind:     by_value
      - .offset:         24
        .size:           8
        .value_kind:     by_value
      - .address_space:  global
        .offset:         32
        .size:           8
        .value_kind:     global_buffer
      - .offset:         40
        .size:           8
        .value_kind:     by_value
      - .address_space:  global
        .offset:         48
        .size:           8
        .value_kind:     global_buffer
      - .offset:         56
        .size:           8
        .value_kind:     by_value
      - .offset:         64
        .size:           4
        .value_kind:     hidden_block_count_x
      - .offset:         68
        .size:           4
        .value_kind:     hidden_block_count_y
      - .offset:         72
        .size:           4
        .value_kind:     hidden_block_count_z
      - .offset:         76
        .size:           2
        .value_kind:     hidden_group_size_x
      - .offset:         78
        .size:           2
        .value_kind:     hidden_group_size_y
      - .offset:         80
        .size:           2
        .value_kind:     hidden_group_size_z
      - .offset:         82
        .size:           2
        .value_kind:     hidden_remainder_x
      - .offset:         84
        .size:           2
        .value_kind:     hidden_remainder_y
      - .offset:         86
        .size:           2
        .value_kind:     hidden_remainder_z
      - .offset:         104
        .size:           8
        .value_kind:     hidden_global_offset_x
      - .offset:         112
        .size:           8
        .value_kind:     hidden_global_offset_y
      - .offset:         120
        .size:           8
        .value_kind:     hidden_global_offset_z
      - .offset:         128
        .size:           2
        .value_kind:     hidden_grid_dims
    .group_segment_fixed_size: 0
    .kernarg_segment_align: 8
    .kernarg_segment_size: 320
    .language:       OpenCL C
    .language_version:
      - 2
      - 0
    .max_flat_workgroup_size: 1024
    .name:           _ZN9rocsolver6v33100L11set_tridiagIffPfTnNSt9enable_ifIXnt18rocblas_is_complexIT_EEiE4typeELi0EEEv13rocblas_fill_iT1_iilPT0_lSA_l
    .private_segment_fixed_size: 0
    .sgpr_count:     26
    .sgpr_spill_count: 0
    .symbol:         _ZN9rocsolver6v33100L11set_tridiagIffPfTnNSt9enable_ifIXnt18rocblas_is_complexIT_EEiE4typeELi0EEEv13rocblas_fill_iT1_iilPT0_lSA_l.kd
    .uniform_work_group_size: 1
    .uses_dynamic_stack: false
    .vgpr_count:     8
    .vgpr_spill_count: 0
    .wavefront_size: 64
  - .agpr_count:     0
    .args:
      - .offset:         0
        .size:           4
        .value_kind:     by_value
      - .address_space:  global
        .offset:         8
        .size:           8
        .value_kind:     global_buffer
      - .offset:         16
        .size:           8
        .value_kind:     by_value
      - .address_space:  global
        .offset:         24
        .size:           8
        .value_kind:     global_buffer
      - .offset:         32
        .size:           8
        .value_kind:     by_value
      - .address_space:  global
        .offset:         40
        .size:           8
        .value_kind:     global_buffer
      - .address_space:  global
        .offset:         48
        .size:           8
        .value_kind:     global_buffer
      - .offset:         56
        .size:           4
        .value_kind:     by_value
      - .offset:         60
        .size:           4
        .value_kind:     by_value
      - .offset:         64
        .size:           4
        .value_kind:     by_value
      - .offset:         68
        .size:           4
        .value_kind:     by_value
    .group_segment_fixed_size: 0
    .kernarg_segment_align: 8
    .kernarg_segment_size: 72
    .language:       OpenCL C
    .language_version:
      - 2
      - 0
    .max_flat_workgroup_size: 1024
    .name:           _ZN9rocsolver6v33100L12sterf_kernelIfEEviPT_lS3_lPiS4_iS2_S2_S2_
    .private_segment_fixed_size: 0
    .sgpr_count:     80
    .sgpr_spill_count: 0
    .symbol:         _ZN9rocsolver6v33100L12sterf_kernelIfEEviPT_lS3_lPiS4_iS2_S2_S2_.kd
    .uniform_work_group_size: 1
    .uses_dynamic_stack: false
    .vgpr_count:     28
    .vgpr_spill_count: 0
    .wavefront_size: 64
  - .agpr_count:     0
    .args:
      - .offset:         0
        .size:           4
        .value_kind:     by_value
      - .offset:         4
        .size:           4
        .value_kind:     by_value
      - .offset:         8
        .size:           4
        .value_kind:     by_value
      - .offset:         12
        .size:           4
        .value_kind:     by_value
      - .offset:         16
        .size:           4
        .value_kind:     by_value
      - .address_space:  global
        .offset:         24
        .size:           8
        .value_kind:     global_buffer
      - .offset:         32
        .size:           8
        .value_kind:     by_value
      - .address_space:  global
        .offset:         40
        .size:           8
        .value_kind:     global_buffer
      - .offset:         48
        .size:           8
        .value_kind:     by_value
      - .address_space:  global
        .offset:         56
        .size:           8
        .value_kind:     global_buffer
      - .offset:         64
        .size:           8
        .value_kind:     by_value
      - .offset:         72
        .size:           4
        .value_kind:     by_value
      - .offset:         80
        .size:           8
        .value_kind:     by_value
      - .offset:         88
        .size:           4
        .value_kind:     by_value
      - .offset:         96
        .size:           4
        .value_kind:     hidden_block_count_x
      - .offset:         100
        .size:           4
        .value_kind:     hidden_block_count_y
      - .offset:         104
        .size:           4
        .value_kind:     hidden_block_count_z
      - .offset:         108
        .size:           2
        .value_kind:     hidden_group_size_x
      - .offset:         110
        .size:           2
        .value_kind:     hidden_group_size_y
      - .offset:         112
        .size:           2
        .value_kind:     hidden_group_size_z
      - .offset:         114
        .size:           2
        .value_kind:     hidden_remainder_x
      - .offset:         116
        .size:           2
        .value_kind:     hidden_remainder_y
      - .offset:         118
        .size:           2
        .value_kind:     hidden_remainder_z
      - .offset:         136
        .size:           8
        .value_kind:     hidden_global_offset_x
      - .offset:         144
        .size:           8
        .value_kind:     hidden_global_offset_y
      - .offset:         152
        .size:           8
        .value_kind:     hidden_global_offset_z
      - .offset:         160
        .size:           2
        .value_kind:     hidden_grid_dims
    .group_segment_fixed_size: 0
    .kernarg_segment_align: 8
    .kernarg_segment_size: 352
    .language:       OpenCL C
    .language_version:
      - 2
      - 0
    .max_flat_workgroup_size: 64
    .name:           _ZN9rocsolver6v33100L11lasr_kernelIffPfiEEv13rocblas_side_14rocblas_pivot_15rocblas_direct_T2_S6_PT0_lS8_lT1_lS6_lS6_
    .private_segment_fixed_size: 0
    .sgpr_count:     100
    .sgpr_spill_count: 10
    .symbol:         _ZN9rocsolver6v33100L11lasr_kernelIffPfiEEv13rocblas_side_14rocblas_pivot_15rocblas_direct_T2_S6_PT0_lS8_lT1_lS6_lS6_.kd
    .uniform_work_group_size: 1
    .uses_dynamic_stack: false
    .vgpr_count:     43
    .vgpr_spill_count: 0
    .wavefront_size: 64
  - .agpr_count:     0
    .args:
      - .offset:         0
        .size:           4
        .value_kind:     by_value
      - .address_space:  global
        .offset:         8
        .size:           8
        .value_kind:     global_buffer
      - .offset:         16
        .size:           4
        .value_kind:     by_value
      - .address_space:  global
        .offset:         24
        .size:           8
        .value_kind:     global_buffer
      - .offset:         32
        .size:           4
        .value_kind:     by_value
      - .offset:         40
        .size:           4
        .value_kind:     hidden_block_count_x
      - .offset:         44
        .size:           4
        .value_kind:     hidden_block_count_y
      - .offset:         48
        .size:           4
        .value_kind:     hidden_block_count_z
      - .offset:         52
        .size:           2
        .value_kind:     hidden_group_size_x
      - .offset:         54
        .size:           2
        .value_kind:     hidden_group_size_y
      - .offset:         56
        .size:           2
        .value_kind:     hidden_group_size_z
      - .offset:         58
        .size:           2
        .value_kind:     hidden_remainder_x
      - .offset:         60
        .size:           2
        .value_kind:     hidden_remainder_y
      - .offset:         62
        .size:           2
        .value_kind:     hidden_remainder_z
      - .offset:         80
        .size:           8
        .value_kind:     hidden_global_offset_x
      - .offset:         88
        .size:           8
        .value_kind:     hidden_global_offset_y
      - .offset:         96
        .size:           8
        .value_kind:     hidden_global_offset_z
      - .offset:         104
        .size:           2
        .value_kind:     hidden_grid_dims
    .group_segment_fixed_size: 0
    .kernarg_segment_align: 8
    .kernarg_segment_size: 296
    .language:       OpenCL C
    .language_version:
      - 2
      - 0
    .max_flat_workgroup_size: 1024
    .name:           _ZN9rocsolver6v33100L11swap_kernelIfiEEvT0_PT_S2_S4_S2_
    .private_segment_fixed_size: 0
    .sgpr_count:     21
    .sgpr_spill_count: 0
    .symbol:         _ZN9rocsolver6v33100L11swap_kernelIfiEEvT0_PT_S2_S4_S2_.kd
    .uniform_work_group_size: 1
    .uses_dynamic_stack: false
    .vgpr_count:     12
    .vgpr_spill_count: 0
    .wavefront_size: 64
  - .agpr_count:     36
    .args:
      - .offset:         0
        .size:           4
        .value_kind:     by_value
      - .address_space:  global
        .offset:         8
        .size:           8
        .value_kind:     global_buffer
      - .offset:         16
        .size:           8
        .value_kind:     by_value
      - .address_space:  global
        .offset:         24
        .size:           8
        .value_kind:     global_buffer
      - .offset:         32
        .size:           8
        .value_kind:     by_value
      - .address_space:  global
        .offset:         40
        .size:           8
        .value_kind:     global_buffer
      - .offset:         48
        .size:           4
        .value_kind:     by_value
      - .offset:         52
        .size:           4
        .value_kind:     by_value
      - .offset:         56
        .size:           8
        .value_kind:     by_value
      - .address_space:  global
        .offset:         64
        .size:           8
        .value_kind:     global_buffer
      - .address_space:  global
        .offset:         72
        .size:           8
        .value_kind:     global_buffer
      - .offset:         80
        .size:           4
        .value_kind:     by_value
      - .offset:         84
        .size:           4
        .value_kind:     by_value
      - .offset:         88
        .size:           4
        .value_kind:     by_value
      - .offset:         92
        .size:           4
        .value_kind:     by_value
      - .offset:         96
        .size:           4
        .value_kind:     hidden_block_count_x
      - .offset:         100
        .size:           4
        .value_kind:     hidden_block_count_y
      - .offset:         104
        .size:           4
        .value_kind:     hidden_block_count_z
      - .offset:         108
        .size:           2
        .value_kind:     hidden_group_size_x
      - .offset:         110
        .size:           2
        .value_kind:     hidden_group_size_y
      - .offset:         112
        .size:           2
        .value_kind:     hidden_group_size_z
      - .offset:         114
        .size:           2
        .value_kind:     hidden_remainder_x
      - .offset:         116
        .size:           2
        .value_kind:     hidden_remainder_y
      - .offset:         118
        .size:           2
        .value_kind:     hidden_remainder_z
      - .offset:         136
        .size:           8
        .value_kind:     hidden_global_offset_x
      - .offset:         144
        .size:           8
        .value_kind:     hidden_global_offset_y
      - .offset:         152
        .size:           8
        .value_kind:     hidden_global_offset_z
      - .offset:         160
        .size:           2
        .value_kind:     hidden_grid_dims
    .group_segment_fixed_size: 36
    .kernarg_segment_align: 8
    .kernarg_segment_size: 352
    .language:       OpenCL C
    .language_version:
      - 2
      - 0
    .max_flat_workgroup_size: 1024
    .name:           _ZN9rocsolver6v33100L12steqr_kernelIffPfEEviPT0_lS4_lT1_iilPiS4_iS3_S3_S3_
    .private_segment_fixed_size: 80
    .sgpr_count:     55
    .sgpr_spill_count: 0
    .symbol:         _ZN9rocsolver6v33100L12steqr_kernelIffPfEEviPT0_lS4_lT1_iilPiS4_iS3_S3_S3_.kd
    .uniform_work_group_size: 1
    .uses_dynamic_stack: false
    .vgpr_count:     100
    .vgpr_spill_count: 0
    .wavefront_size: 64
  - .agpr_count:     0
    .args:
      - .offset:         0
        .size:           4
        .value_kind:     by_value
      - .offset:         4
        .size:           4
        .value_kind:     by_value
      - .address_space:  global
        .offset:         8
        .size:           8
        .value_kind:     global_buffer
      - .offset:         16
        .size:           4
        .value_kind:     by_value
      - .offset:         20
        .size:           4
        .value_kind:     by_value
      - .offset:         24
        .size:           8
        .value_kind:     by_value
      - .offset:         32
        .size:           4
        .value_kind:     hidden_block_count_x
      - .offset:         36
        .size:           4
        .value_kind:     hidden_block_count_y
      - .offset:         40
        .size:           4
        .value_kind:     hidden_block_count_z
      - .offset:         44
        .size:           2
        .value_kind:     hidden_group_size_x
      - .offset:         46
        .size:           2
        .value_kind:     hidden_group_size_y
      - .offset:         48
        .size:           2
        .value_kind:     hidden_group_size_z
      - .offset:         50
        .size:           2
        .value_kind:     hidden_remainder_x
      - .offset:         52
        .size:           2
        .value_kind:     hidden_remainder_y
      - .offset:         54
        .size:           2
        .value_kind:     hidden_remainder_z
      - .offset:         72
        .size:           8
        .value_kind:     hidden_global_offset_x
      - .offset:         80
        .size:           8
        .value_kind:     hidden_global_offset_y
      - .offset:         88
        .size:           8
        .value_kind:     hidden_global_offset_z
      - .offset:         96
        .size:           2
        .value_kind:     hidden_grid_dims
    .group_segment_fixed_size: 0
    .kernarg_segment_align: 8
    .kernarg_segment_size: 288
    .language:       OpenCL C
    .language_version:
      - 2
      - 0
    .max_flat_workgroup_size: 1024
    .name:           _ZN9rocsolver6v33100L10init_identIfPfEEviiT0_iil
    .private_segment_fixed_size: 0
    .sgpr_count:     13
    .sgpr_spill_count: 0
    .symbol:         _ZN9rocsolver6v33100L10init_identIfPfEEviiT0_iil.kd
    .uniform_work_group_size: 1
    .uses_dynamic_stack: false
    .vgpr_count:     4
    .vgpr_spill_count: 0
    .wavefront_size: 64
  - .agpr_count:     0
    .args:
      - .offset:         0
        .size:           4
        .value_kind:     by_value
      - .offset:         4
        .size:           4
        .value_kind:     by_value
      - .offset:         8
        .size:           4
        .value_kind:     by_value
      - .address_space:  global
        .offset:         16
        .size:           8
        .value_kind:     global_buffer
      - .offset:         24
        .size:           8
        .value_kind:     by_value
      - .address_space:  global
        .offset:         32
        .size:           8
        .value_kind:     global_buffer
      - .offset:         40
        .size:           8
        .value_kind:     by_value
      - .offset:         48
        .size:           4
        .value_kind:     by_value
      - .address_space:  global
        .offset:         56
        .size:           8
        .value_kind:     global_buffer
      - .offset:         64
        .size:           4
        .value_kind:     hidden_block_count_x
      - .offset:         68
        .size:           4
        .value_kind:     hidden_block_count_y
      - .offset:         72
        .size:           4
        .value_kind:     hidden_block_count_z
      - .offset:         76
        .size:           2
        .value_kind:     hidden_group_size_x
      - .offset:         78
        .size:           2
        .value_kind:     hidden_group_size_y
      - .offset:         80
        .size:           2
        .value_kind:     hidden_group_size_z
      - .offset:         82
        .size:           2
        .value_kind:     hidden_remainder_x
      - .offset:         84
        .size:           2
        .value_kind:     hidden_remainder_y
      - .offset:         86
        .size:           2
        .value_kind:     hidden_remainder_z
      - .offset:         104
        .size:           8
        .value_kind:     hidden_global_offset_x
      - .offset:         112
        .size:           8
        .value_kind:     hidden_global_offset_y
      - .offset:         120
        .size:           8
        .value_kind:     hidden_global_offset_z
      - .offset:         128
        .size:           2
        .value_kind:     hidden_grid_dims
    .group_segment_fixed_size: 0
    .kernarg_segment_align: 8
    .kernarg_segment_size: 320
    .language:       OpenCL C
    .language_version:
      - 2
      - 0
    .max_flat_workgroup_size: 512
    .name:           _ZN9rocsolver6v33100L19stedc_divide_kernelIfEEviiiPT_lS3_liPi
    .private_segment_fixed_size: 0
    .sgpr_count:     24
    .sgpr_spill_count: 0
    .symbol:         _ZN9rocsolver6v33100L19stedc_divide_kernelIfEEviiiPT_lS3_liPi.kd
    .uniform_work_group_size: 1
    .uses_dynamic_stack: false
    .vgpr_count:     16
    .vgpr_spill_count: 0
    .wavefront_size: 64
  - .agpr_count:     36
    .args:
      - .offset:         0
        .size:           4
        .value_kind:     by_value
      - .offset:         4
        .size:           4
        .value_kind:     by_value
      - .address_space:  global
        .offset:         8
        .size:           8
        .value_kind:     global_buffer
      - .offset:         16
        .size:           8
        .value_kind:     by_value
      - .address_space:  global
        .offset:         24
        .size:           8
        .value_kind:     global_buffer
      - .offset:         32
        .size:           8
        .value_kind:     by_value
      - .address_space:  global
        .offset:         40
        .size:           8
        .value_kind:     global_buffer
      - .offset:         48
        .size:           4
        .value_kind:     by_value
      - .offset:         52
        .size:           4
        .value_kind:     by_value
      - .offset:         56
        .size:           8
        .value_kind:     by_value
      - .address_space:  global
        .offset:         64
        .size:           8
        .value_kind:     global_buffer
      - .address_space:  global
        .offset:         72
        .size:           8
        .value_kind:     global_buffer
      - .address_space:  global
        .offset:         80
        .size:           8
        .value_kind:     global_buffer
      - .offset:         88
        .size:           4
        .value_kind:     by_value
      - .offset:         92
        .size:           4
        .value_kind:     by_value
      - .offset:         96
        .size:           4
        .value_kind:     by_value
      - .offset:         104
        .size:           4
        .value_kind:     hidden_block_count_x
      - .offset:         108
        .size:           4
        .value_kind:     hidden_block_count_y
      - .offset:         112
        .size:           4
        .value_kind:     hidden_block_count_z
      - .offset:         116
        .size:           2
        .value_kind:     hidden_group_size_x
      - .offset:         118
        .size:           2
        .value_kind:     hidden_group_size_y
      - .offset:         120
        .size:           2
        .value_kind:     hidden_group_size_z
      - .offset:         122
        .size:           2
        .value_kind:     hidden_remainder_x
      - .offset:         124
        .size:           2
        .value_kind:     hidden_remainder_y
      - .offset:         126
        .size:           2
        .value_kind:     hidden_remainder_z
      - .offset:         144
        .size:           8
        .value_kind:     hidden_global_offset_x
      - .offset:         152
        .size:           8
        .value_kind:     hidden_global_offset_y
      - .offset:         160
        .size:           8
        .value_kind:     hidden_global_offset_z
      - .offset:         168
        .size:           2
        .value_kind:     hidden_grid_dims
    .group_segment_fixed_size: 36
    .kernarg_segment_align: 8
    .kernarg_segment_size: 360
    .language:       OpenCL C
    .language_version:
      - 2
      - 0
    .max_flat_workgroup_size: 512
    .name:           _ZN9rocsolver6v33100L18stedc_solve_kernelIfEEviiPT_lS3_lS3_iilPiS3_S4_S2_S2_S2_
    .private_segment_fixed_size: 80
    .sgpr_count:     55
    .sgpr_spill_count: 0
    .symbol:         _ZN9rocsolver6v33100L18stedc_solve_kernelIfEEviiPT_lS3_lS3_iilPiS3_S4_S2_S2_S2_.kd
    .uniform_work_group_size: 1
    .uses_dynamic_stack: false
    .vgpr_count:     100
    .vgpr_spill_count: 0
    .wavefront_size: 64
  - .agpr_count:     0
    .args:
      - .offset:         0
        .size:           4
        .value_kind:     by_value
      - .offset:         4
        .size:           4
        .value_kind:     by_value
      - .address_space:  global
        .offset:         8
        .size:           8
        .value_kind:     global_buffer
      - .offset:         16
        .size:           8
        .value_kind:     by_value
      - .address_space:  global
        .offset:         24
        .size:           8
        .value_kind:     global_buffer
      - .offset:         32
        .size:           8
        .value_kind:     by_value
      - .address_space:  global
        .offset:         40
        .size:           8
        .value_kind:     global_buffer
      - .offset:         48
        .size:           4
        .value_kind:     by_value
      - .offset:         52
        .size:           4
        .value_kind:     by_value
      - .offset:         56
        .size:           8
        .value_kind:     by_value
      - .address_space:  global
        .offset:         64
        .size:           8
        .value_kind:     global_buffer
      - .address_space:  global
        .offset:         72
        .size:           8
        .value_kind:     global_buffer
      - .offset:         80
        .size:           4
        .value_kind:     by_value
      - .offset:         88
        .size:           4
        .value_kind:     hidden_block_count_x
      - .offset:         92
        .size:           4
        .value_kind:     hidden_block_count_y
      - .offset:         96
        .size:           4
        .value_kind:     hidden_block_count_z
      - .offset:         100
        .size:           2
        .value_kind:     hidden_group_size_x
      - .offset:         102
        .size:           2
        .value_kind:     hidden_group_size_y
      - .offset:         104
        .size:           2
        .value_kind:     hidden_group_size_z
      - .offset:         106
        .size:           2
        .value_kind:     hidden_remainder_x
      - .offset:         108
        .size:           2
        .value_kind:     hidden_remainder_y
      - .offset:         110
        .size:           2
        .value_kind:     hidden_remainder_z
      - .offset:         128
        .size:           8
        .value_kind:     hidden_global_offset_x
      - .offset:         136
        .size:           8
        .value_kind:     hidden_global_offset_y
      - .offset:         144
        .size:           8
        .value_kind:     hidden_global_offset_z
      - .offset:         152
        .size:           2
        .value_kind:     hidden_grid_dims
    .group_segment_fixed_size: 4096
    .kernarg_segment_align: 8
    .kernarg_segment_size: 344
    .language:       OpenCL C
    .language_version:
      - 2
      - 0
    .max_flat_workgroup_size: 512
    .name:           _ZN9rocsolver6v33100L37stedc_mergePrepare_DeflateZero_kernelIfEEviiPT_lS3_lS3_iilS3_PiS2_
    .private_segment_fixed_size: 0
    .sgpr_count:     46
    .sgpr_spill_count: 0
    .symbol:         _ZN9rocsolver6v33100L37stedc_mergePrepare_DeflateZero_kernelIfEEviiPT_lS3_lS3_iilS3_PiS2_.kd
    .uniform_work_group_size: 1
    .uses_dynamic_stack: false
    .vgpr_count:     20
    .vgpr_spill_count: 0
    .wavefront_size: 64
  - .agpr_count:     0
    .args:
      - .offset:         0
        .size:           4
        .value_kind:     by_value
      - .offset:         4
        .size:           4
        .value_kind:     by_value
      - .address_space:  global
        .offset:         8
        .size:           8
        .value_kind:     global_buffer
      - .offset:         16
        .size:           8
        .value_kind:     by_value
      - .address_space:  global
        .offset:         24
        .size:           8
        .value_kind:     global_buffer
      - .address_space:  global
        .offset:         32
        .size:           8
        .value_kind:     global_buffer
      - .offset:         40
        .size:           4
        .value_kind:     hidden_block_count_x
      - .offset:         44
        .size:           4
        .value_kind:     hidden_block_count_y
      - .offset:         48
        .size:           4
        .value_kind:     hidden_block_count_z
      - .offset:         52
        .size:           2
        .value_kind:     hidden_group_size_x
      - .offset:         54
        .size:           2
        .value_kind:     hidden_group_size_y
      - .offset:         56
        .size:           2
        .value_kind:     hidden_group_size_z
      - .offset:         58
        .size:           2
        .value_kind:     hidden_remainder_x
      - .offset:         60
        .size:           2
        .value_kind:     hidden_remainder_y
      - .offset:         62
        .size:           2
        .value_kind:     hidden_remainder_z
      - .offset:         80
        .size:           8
        .value_kind:     hidden_global_offset_x
      - .offset:         88
        .size:           8
        .value_kind:     hidden_global_offset_y
      - .offset:         96
        .size:           8
        .value_kind:     hidden_global_offset_z
      - .offset:         104
        .size:           2
        .value_kind:     hidden_grid_dims
    .group_segment_fixed_size: 4096
    .kernarg_segment_align: 8
    .kernarg_segment_size: 296
    .language:       OpenCL C
    .language_version:
      - 2
      - 0
    .max_flat_workgroup_size: 512
    .name:           _ZN9rocsolver6v33100L31stedc_mergePrepare_SortD_kernelIfEEviiPT_lS3_Pi
    .private_segment_fixed_size: 0
    .sgpr_count:     56
    .sgpr_spill_count: 0
    .symbol:         _ZN9rocsolver6v33100L31stedc_mergePrepare_SortD_kernelIfEEviiPT_lS3_Pi.kd
    .uniform_work_group_size: 1
    .uses_dynamic_stack: false
    .vgpr_count:     28
    .vgpr_spill_count: 0
    .wavefront_size: 64
  - .agpr_count:     0
    .args:
      - .offset:         0
        .size:           4
        .value_kind:     by_value
      - .offset:         4
        .size:           4
        .value_kind:     by_value
      - .address_space:  global
        .offset:         8
        .size:           8
        .value_kind:     global_buffer
      - .offset:         16
        .size:           8
        .value_kind:     by_value
      - .address_space:  global
        .offset:         24
        .size:           8
        .value_kind:     global_buffer
      - .address_space:  global
        .offset:         32
        .size:           8
        .value_kind:     global_buffer
      - .offset:         40
        .size:           4
        .value_kind:     hidden_block_count_x
      - .offset:         44
        .size:           4
        .value_kind:     hidden_block_count_y
      - .offset:         48
        .size:           4
        .value_kind:     hidden_block_count_z
      - .offset:         52
        .size:           2
        .value_kind:     hidden_group_size_x
      - .offset:         54
        .size:           2
        .value_kind:     hidden_group_size_y
      - .offset:         56
        .size:           2
        .value_kind:     hidden_group_size_z
      - .offset:         58
        .size:           2
        .value_kind:     hidden_remainder_x
      - .offset:         60
        .size:           2
        .value_kind:     hidden_remainder_y
      - .offset:         62
        .size:           2
        .value_kind:     hidden_remainder_z
      - .offset:         80
        .size:           8
        .value_kind:     hidden_global_offset_x
      - .offset:         88
        .size:           8
        .value_kind:     hidden_global_offset_y
      - .offset:         96
        .size:           8
        .value_kind:     hidden_global_offset_z
      - .offset:         104
        .size:           2
        .value_kind:     hidden_grid_dims
    .group_segment_fixed_size: 0
    .kernarg_segment_align: 8
    .kernarg_segment_size: 296
    .language:       OpenCL C
    .language_version:
      - 2
      - 0
    .max_flat_workgroup_size: 512
    .name:           _ZN9rocsolver6v33100L38stedc_mergePrepare_SetCandFlags_kernelIfEEviiPT_lS3_Pi
    .private_segment_fixed_size: 0
    .sgpr_count:     17
    .sgpr_spill_count: 0
    .symbol:         _ZN9rocsolver6v33100L38stedc_mergePrepare_SetCandFlags_kernelIfEEviiPT_lS3_Pi.kd
    .uniform_work_group_size: 1
    .uses_dynamic_stack: false
    .vgpr_count:     16
    .vgpr_spill_count: 0
    .wavefront_size: 64
  - .agpr_count:     0
    .args:
      - .offset:         0
        .size:           4
        .value_kind:     by_value
      - .offset:         4
        .size:           4
        .value_kind:     by_value
      - .address_space:  global
        .offset:         8
        .size:           8
        .value_kind:     global_buffer
      - .offset:         16
        .size:           8
        .value_kind:     by_value
      - .address_space:  global
        .offset:         24
        .size:           8
        .value_kind:     global_buffer
      - .address_space:  global
        .offset:         32
        .size:           8
        .value_kind:     global_buffer
      - .offset:         40
        .size:           4
        .value_kind:     hidden_block_count_x
      - .offset:         44
        .size:           4
        .value_kind:     hidden_block_count_y
      - .offset:         48
        .size:           4
        .value_kind:     hidden_block_count_z
      - .offset:         52
        .size:           2
        .value_kind:     hidden_group_size_x
      - .offset:         54
        .size:           2
        .value_kind:     hidden_group_size_y
      - .offset:         56
        .size:           2
        .value_kind:     hidden_group_size_z
      - .offset:         58
        .size:           2
        .value_kind:     hidden_remainder_x
      - .offset:         60
        .size:           2
        .value_kind:     hidden_remainder_y
      - .offset:         62
        .size:           2
        .value_kind:     hidden_remainder_z
      - .offset:         80
        .size:           8
        .value_kind:     hidden_global_offset_x
      - .offset:         88
        .size:           8
        .value_kind:     hidden_global_offset_y
      - .offset:         96
        .size:           8
        .value_kind:     hidden_global_offset_z
      - .offset:         104
        .size:           2
        .value_kind:     hidden_grid_dims
    .group_segment_fixed_size: 32768
    .kernarg_segment_align: 8
    .kernarg_segment_size: 296
    .language:       OpenCL C
    .language_version:
      - 2
      - 0
    .max_flat_workgroup_size: 512
    .name:           _ZN9rocsolver6v33100L38stedc_mergePrepare_DeflateCount_kernelIfEEviiPT_lS3_Pi
    .private_segment_fixed_size: 0
    .sgpr_count:     33
    .sgpr_spill_count: 0
    .symbol:         _ZN9rocsolver6v33100L38stedc_mergePrepare_DeflateCount_kernelIfEEviiPT_lS3_Pi.kd
    .uniform_work_group_size: 1
    .uses_dynamic_stack: false
    .vgpr_count:     16
    .vgpr_spill_count: 0
    .wavefront_size: 64
  - .agpr_count:     0
    .args:
      - .offset:         0
        .size:           4
        .value_kind:     by_value
      - .offset:         4
        .size:           4
        .value_kind:     by_value
      - .address_space:  global
        .offset:         8
        .size:           8
        .value_kind:     global_buffer
      - .offset:         16
        .size:           8
        .value_kind:     by_value
      - .address_space:  global
        .offset:         24
        .size:           8
        .value_kind:     global_buffer
      - .address_space:  global
        .offset:         32
        .size:           8
        .value_kind:     global_buffer
      - .offset:         40
        .size:           4
        .value_kind:     hidden_block_count_x
      - .offset:         44
        .size:           4
        .value_kind:     hidden_block_count_y
      - .offset:         48
        .size:           4
        .value_kind:     hidden_block_count_z
      - .offset:         52
        .size:           2
        .value_kind:     hidden_group_size_x
      - .offset:         54
        .size:           2
        .value_kind:     hidden_group_size_y
      - .offset:         56
        .size:           2
        .value_kind:     hidden_group_size_z
      - .offset:         58
        .size:           2
        .value_kind:     hidden_remainder_x
      - .offset:         60
        .size:           2
        .value_kind:     hidden_remainder_y
      - .offset:         62
        .size:           2
        .value_kind:     hidden_remainder_z
      - .offset:         80
        .size:           8
        .value_kind:     hidden_global_offset_x
      - .offset:         88
        .size:           8
        .value_kind:     hidden_global_offset_y
      - .offset:         96
        .size:           8
        .value_kind:     hidden_global_offset_z
      - .offset:         104
        .size:           2
        .value_kind:     hidden_grid_dims
    .group_segment_fixed_size: 32768
    .kernarg_segment_align: 8
    .kernarg_segment_size: 296
    .language:       OpenCL C
    .language_version:
      - 2
      - 0
    .max_flat_workgroup_size: 512
    .name:           _ZN9rocsolver6v33100L38stedc_mergePrepare_DeflateApply_kernelIfEEviiPT_lS3_Pi
    .private_segment_fixed_size: 0
    .sgpr_count:     28
    .sgpr_spill_count: 0
    .symbol:         _ZN9rocsolver6v33100L38stedc_mergePrepare_DeflateApply_kernelIfEEviiPT_lS3_Pi.kd
    .uniform_work_group_size: 1
    .uses_dynamic_stack: false
    .vgpr_count:     25
    .vgpr_spill_count: 0
    .wavefront_size: 64
  - .agpr_count:     0
    .args:
      - .offset:         0
        .size:           4
        .value_kind:     by_value
      - .offset:         4
        .size:           4
        .value_kind:     by_value
      - .address_space:  global
        .offset:         8
        .size:           8
        .value_kind:     global_buffer
      - .offset:         16
        .size:           4
        .value_kind:     by_value
      - .offset:         20
        .size:           4
        .value_kind:     by_value
      - .offset:         24
        .size:           8
        .value_kind:     by_value
      - .address_space:  global
        .offset:         32
        .size:           8
        .value_kind:     global_buffer
      - .address_space:  global
        .offset:         40
        .size:           8
        .value_kind:     global_buffer
      - .offset:         48
        .size:           4
        .value_kind:     hidden_block_count_x
      - .offset:         52
        .size:           4
        .value_kind:     hidden_block_count_y
      - .offset:         56
        .size:           4
        .value_kind:     hidden_block_count_z
      - .offset:         60
        .size:           2
        .value_kind:     hidden_group_size_x
      - .offset:         62
        .size:           2
        .value_kind:     hidden_group_size_y
      - .offset:         64
        .size:           2
        .value_kind:     hidden_group_size_z
      - .offset:         66
        .size:           2
        .value_kind:     hidden_remainder_x
      - .offset:         68
        .size:           2
        .value_kind:     hidden_remainder_y
      - .offset:         70
        .size:           2
        .value_kind:     hidden_remainder_z
      - .offset:         88
        .size:           8
        .value_kind:     hidden_global_offset_x
      - .offset:         96
        .size:           8
        .value_kind:     hidden_global_offset_y
      - .offset:         104
        .size:           8
        .value_kind:     hidden_global_offset_z
      - .offset:         112
        .size:           2
        .value_kind:     hidden_grid_dims
    .group_segment_fixed_size: 0
    .kernarg_segment_align: 8
    .kernarg_segment_size: 304
    .language:       OpenCL C
    .language_version:
      - 2
      - 0
    .max_flat_workgroup_size: 512
    .name:           _ZN9rocsolver6v33100L24stedc_mergeRotate_kernelIfEEviiPT_iilS3_Pi
    .private_segment_fixed_size: 0
    .sgpr_count:     63
    .sgpr_spill_count: 0
    .symbol:         _ZN9rocsolver6v33100L24stedc_mergeRotate_kernelIfEEviiPT_iilS3_Pi.kd
    .uniform_work_group_size: 1
    .uses_dynamic_stack: false
    .vgpr_count:     118
    .vgpr_spill_count: 0
    .wavefront_size: 64
  - .agpr_count:     0
    .args:
      - .offset:         0
        .size:           4
        .value_kind:     by_value
      - .offset:         4
        .size:           4
        .value_kind:     by_value
      - .address_space:  global
        .offset:         8
        .size:           8
        .value_kind:     global_buffer
      - .offset:         16
        .size:           8
        .value_kind:     by_value
      - .address_space:  global
        .offset:         24
        .size:           8
        .value_kind:     global_buffer
      - .address_space:  global
        .offset:         32
        .size:           8
        .value_kind:     global_buffer
      - .offset:         40
        .size:           4
        .value_kind:     hidden_block_count_x
      - .offset:         44
        .size:           4
        .value_kind:     hidden_block_count_y
      - .offset:         48
        .size:           4
        .value_kind:     hidden_block_count_z
      - .offset:         52
        .size:           2
        .value_kind:     hidden_group_size_x
      - .offset:         54
        .size:           2
        .value_kind:     hidden_group_size_y
      - .offset:         56
        .size:           2
        .value_kind:     hidden_group_size_z
      - .offset:         58
        .size:           2
        .value_kind:     hidden_remainder_x
      - .offset:         60
        .size:           2
        .value_kind:     hidden_remainder_y
      - .offset:         62
        .size:           2
        .value_kind:     hidden_remainder_z
      - .offset:         80
        .size:           8
        .value_kind:     hidden_global_offset_x
      - .offset:         88
        .size:           8
        .value_kind:     hidden_global_offset_y
      - .offset:         96
        .size:           8
        .value_kind:     hidden_global_offset_z
      - .offset:         104
        .size:           2
        .value_kind:     hidden_grid_dims
    .group_segment_fixed_size: 4096
    .kernarg_segment_align: 8
    .kernarg_segment_size: 296
    .language:       OpenCL C
    .language_version:
      - 2
      - 0
    .max_flat_workgroup_size: 512
    .name:           _ZN9rocsolver6v33100L31stedc_mergeValues_SortDZ_kernelIfEEviiPT_lS3_Pi
    .private_segment_fixed_size: 0
    .sgpr_count:     63
    .sgpr_spill_count: 0
    .symbol:         _ZN9rocsolver6v33100L31stedc_mergeValues_SortDZ_kernelIfEEviiPT_lS3_Pi.kd
    .uniform_work_group_size: 1
    .uses_dynamic_stack: false
    .vgpr_count:     30
    .vgpr_spill_count: 0
    .wavefront_size: 64
  - .agpr_count:     0
    .args:
      - .offset:         0
        .size:           4
        .value_kind:     by_value
      - .offset:         4
        .size:           4
        .value_kind:     by_value
      - .address_space:  global
        .offset:         8
        .size:           8
        .value_kind:     global_buffer
      - .offset:         16
        .size:           8
        .value_kind:     by_value
      - .address_space:  global
        .offset:         24
        .size:           8
        .value_kind:     global_buffer
      - .address_space:  global
        .offset:         32
        .size:           8
        .value_kind:     global_buffer
      - .address_space:  global
        .offset:         40
        .size:           8
        .value_kind:     global_buffer
      - .offset:         48
        .size:           4
        .value_kind:     hidden_block_count_x
      - .offset:         52
        .size:           4
        .value_kind:     hidden_block_count_y
      - .offset:         56
        .size:           4
        .value_kind:     hidden_block_count_z
      - .offset:         60
        .size:           2
        .value_kind:     hidden_group_size_x
      - .offset:         62
        .size:           2
        .value_kind:     hidden_group_size_y
      - .offset:         64
        .size:           2
        .value_kind:     hidden_group_size_z
      - .offset:         66
        .size:           2
        .value_kind:     hidden_remainder_x
      - .offset:         68
        .size:           2
        .value_kind:     hidden_remainder_y
      - .offset:         70
        .size:           2
        .value_kind:     hidden_remainder_z
      - .offset:         88
        .size:           8
        .value_kind:     hidden_global_offset_x
      - .offset:         96
        .size:           8
        .value_kind:     hidden_global_offset_y
      - .offset:         104
        .size:           8
        .value_kind:     hidden_global_offset_z
      - .offset:         112
        .size:           2
        .value_kind:     hidden_grid_dims
    .group_segment_fixed_size: 0
    .kernarg_segment_align: 8
    .kernarg_segment_size: 304
    .language:       OpenCL C
    .language_version:
      - 2
      - 0
    .max_flat_workgroup_size: 512
    .name:           _ZN9rocsolver6v33100L30stedc_mergeValues_copyD_kernelIfEEviiPT_lS3_S3_Pi
    .private_segment_fixed_size: 0
    .sgpr_count:     27
    .sgpr_spill_count: 0
    .symbol:         _ZN9rocsolver6v33100L30stedc_mergeValues_copyD_kernelIfEEviiPT_lS3_S3_Pi.kd
    .uniform_work_group_size: 1
    .uses_dynamic_stack: false
    .vgpr_count:     6
    .vgpr_spill_count: 0
    .wavefront_size: 64
  - .agpr_count:     0
    .args:
      - .offset:         0
        .size:           4
        .value_kind:     by_value
      - .address_space:  global
        .offset:         8
        .size:           8
        .value_kind:     global_buffer
      - .offset:         16
        .size:           4
        .value_kind:     by_value
      - .offset:         20
        .size:           4
        .value_kind:     by_value
      - .offset:         24
        .size:           8
        .value_kind:     by_value
      - .address_space:  global
        .offset:         32
        .size:           8
        .value_kind:     global_buffer
      - .offset:         40
        .size:           4
        .value_kind:     by_value
      - .offset:         44
        .size:           4
        .value_kind:     by_value
      - .offset:         48
        .size:           8
        .value_kind:     by_value
      - .offset:         56
        .size:           4
        .value_kind:     hidden_block_count_x
      - .offset:         60
        .size:           4
        .value_kind:     hidden_block_count_y
      - .offset:         64
        .size:           4
        .value_kind:     hidden_block_count_z
      - .offset:         68
        .size:           2
        .value_kind:     hidden_group_size_x
      - .offset:         70
        .size:           2
        .value_kind:     hidden_group_size_y
      - .offset:         72
        .size:           2
        .value_kind:     hidden_group_size_z
      - .offset:         74
        .size:           2
        .value_kind:     hidden_remainder_x
      - .offset:         76
        .size:           2
        .value_kind:     hidden_remainder_y
      - .offset:         78
        .size:           2
        .value_kind:     hidden_remainder_z
      - .offset:         96
        .size:           8
        .value_kind:     hidden_global_offset_x
      - .offset:         104
        .size:           8
        .value_kind:     hidden_global_offset_y
      - .offset:         112
        .size:           8
        .value_kind:     hidden_global_offset_z
      - .offset:         120
        .size:           2
        .value_kind:     hidden_grid_dims
    .group_segment_fixed_size: 0
    .kernarg_segment_align: 8
    .kernarg_segment_size: 312
    .language:       OpenCL C
    .language_version:
      - 2
      - 0
    .max_flat_workgroup_size: 512
    .name:           _ZN9rocsolver6v33100L11stedc_copyCIfPfS2_EEviT0_iilT1_iil
    .private_segment_fixed_size: 0
    .sgpr_count:     61
    .sgpr_spill_count: 0
    .symbol:         _ZN9rocsolver6v33100L11stedc_copyCIfPfS2_EEviT0_iilT1_iil.kd
    .uniform_work_group_size: 1
    .uses_dynamic_stack: false
    .vgpr_count:     50
    .vgpr_spill_count: 0
    .wavefront_size: 64
  - .agpr_count:     0
    .args:
      - .offset:         0
        .size:           4
        .value_kind:     by_value
      - .address_space:  global
        .offset:         8
        .size:           8
        .value_kind:     global_buffer
      - .offset:         16
        .size:           4
        .value_kind:     by_value
      - .offset:         20
        .size:           4
        .value_kind:     by_value
      - .offset:         24
        .size:           8
        .value_kind:     by_value
      - .address_space:  global
        .offset:         32
        .size:           8
        .value_kind:     global_buffer
      - .offset:         40
        .size:           4
        .value_kind:     by_value
      - .offset:         44
        .size:           4
        .value_kind:     by_value
      - .offset:         48
        .size:           8
        .value_kind:     by_value
      - .address_space:  global
        .offset:         56
        .size:           8
        .value_kind:     global_buffer
      - .offset:         64
        .size:           4
        .value_kind:     hidden_block_count_x
      - .offset:         68
        .size:           4
        .value_kind:     hidden_block_count_y
      - .offset:         72
        .size:           4
        .value_kind:     hidden_block_count_z
      - .offset:         76
        .size:           2
        .value_kind:     hidden_group_size_x
      - .offset:         78
        .size:           2
        .value_kind:     hidden_group_size_y
      - .offset:         80
        .size:           2
        .value_kind:     hidden_group_size_z
      - .offset:         82
        .size:           2
        .value_kind:     hidden_remainder_x
      - .offset:         84
        .size:           2
        .value_kind:     hidden_remainder_y
      - .offset:         86
        .size:           2
        .value_kind:     hidden_remainder_z
      - .offset:         104
        .size:           8
        .value_kind:     hidden_global_offset_x
      - .offset:         112
        .size:           8
        .value_kind:     hidden_global_offset_y
      - .offset:         120
        .size:           8
        .value_kind:     hidden_global_offset_z
      - .offset:         128
        .size:           2
        .value_kind:     hidden_grid_dims
    .group_segment_fixed_size: 0
    .kernarg_segment_align: 8
    .kernarg_segment_size: 320
    .language:       OpenCL C
    .language_version:
      - 2
      - 0
    .max_flat_workgroup_size: 512
    .name:           _ZN9rocsolver6v33100L16stedc_reshuffleCIfPfS2_EEviT0_iilT1_iilPi
    .private_segment_fixed_size: 0
    .sgpr_count:     61
    .sgpr_spill_count: 0
    .symbol:         _ZN9rocsolver6v33100L16stedc_reshuffleCIfPfS2_EEviT0_iilT1_iilPi.kd
    .uniform_work_group_size: 1
    .uses_dynamic_stack: false
    .vgpr_count:     50
    .vgpr_spill_count: 0
    .wavefront_size: 64
  - .agpr_count:     0
    .args:
      - .offset:         0
        .size:           4
        .value_kind:     by_value
      - .offset:         4
        .size:           4
        .value_kind:     by_value
      - .address_space:  global
        .offset:         8
        .size:           8
        .value_kind:     global_buffer
      - .offset:         16
        .size:           8
        .value_kind:     by_value
      - .address_space:  global
        .offset:         24
        .size:           8
        .value_kind:     global_buffer
      - .offset:         32
        .size:           8
        .value_kind:     by_value
      - .address_space:  global
        .offset:         40
        .size:           8
        .value_kind:     global_buffer
      - .address_space:  global
        .offset:         48
        .size:           8
        .value_kind:     global_buffer
      - .address_space:  global
        .offset:         56
        .size:           8
        .value_kind:     global_buffer
      - .offset:         64
        .size:           4
        .value_kind:     by_value
      - .offset:         68
        .size:           4
        .value_kind:     by_value
      - .offset:         72
        .size:           4
        .value_kind:     by_value
      - .offset:         80
        .size:           4
        .value_kind:     hidden_block_count_x
      - .offset:         84
        .size:           4
        .value_kind:     hidden_block_count_y
      - .offset:         88
        .size:           4
        .value_kind:     hidden_block_count_z
      - .offset:         92
        .size:           2
        .value_kind:     hidden_group_size_x
      - .offset:         94
        .size:           2
        .value_kind:     hidden_group_size_y
      - .offset:         96
        .size:           2
        .value_kind:     hidden_group_size_z
      - .offset:         98
        .size:           2
        .value_kind:     hidden_remainder_x
      - .offset:         100
        .size:           2
        .value_kind:     hidden_remainder_y
      - .offset:         102
        .size:           2
        .value_kind:     hidden_remainder_z
      - .offset:         120
        .size:           8
        .value_kind:     hidden_global_offset_x
      - .offset:         128
        .size:           8
        .value_kind:     hidden_global_offset_y
      - .offset:         136
        .size:           8
        .value_kind:     hidden_global_offset_z
      - .offset:         144
        .size:           2
        .value_kind:     hidden_grid_dims
    .group_segment_fixed_size: 0
    .kernarg_segment_align: 8
    .kernarg_segment_size: 336
    .language:       OpenCL C
    .language_version:
      - 2
      - 0
    .max_flat_workgroup_size: 4
    .name:           _ZN9rocsolver6v33100L30stedc_mergeValues_Solve_kernelIfEEviiPT_lS3_lS3_S3_PiS2_S2_S2_
    .private_segment_fixed_size: 0
    .sgpr_count:     49
    .sgpr_spill_count: 0
    .symbol:         _ZN9rocsolver6v33100L30stedc_mergeValues_Solve_kernelIfEEviiPT_lS3_lS3_S3_PiS2_S2_S2_.kd
    .uniform_work_group_size: 1
    .uses_dynamic_stack: false
    .vgpr_count:     49
    .vgpr_spill_count: 0
    .wavefront_size: 64
  - .agpr_count:     0
    .args:
      - .offset:         0
        .size:           4
        .value_kind:     by_value
      - .offset:         4
        .size:           4
        .value_kind:     by_value
      - .address_space:  global
        .offset:         8
        .size:           8
        .value_kind:     global_buffer
      - .offset:         16
        .size:           8
        .value_kind:     by_value
      - .address_space:  global
        .offset:         24
        .size:           8
        .value_kind:     global_buffer
      - .offset:         32
        .size:           8
        .value_kind:     by_value
      - .address_space:  global
        .offset:         40
        .size:           8
        .value_kind:     global_buffer
      - .address_space:  global
        .offset:         48
        .size:           8
        .value_kind:     global_buffer
      - .address_space:  global
        .offset:         56
        .size:           8
        .value_kind:     global_buffer
      - .offset:         64
        .size:           4
        .value_kind:     by_value
      - .offset:         68
        .size:           4
        .value_kind:     by_value
      - .offset:         72
        .size:           4
        .value_kind:     by_value
      - .offset:         80
        .size:           4
        .value_kind:     hidden_block_count_x
      - .offset:         84
        .size:           4
        .value_kind:     hidden_block_count_y
      - .offset:         88
        .size:           4
        .value_kind:     hidden_block_count_z
      - .offset:         92
        .size:           2
        .value_kind:     hidden_group_size_x
      - .offset:         94
        .size:           2
        .value_kind:     hidden_group_size_y
      - .offset:         96
        .size:           2
        .value_kind:     hidden_group_size_z
      - .offset:         98
        .size:           2
        .value_kind:     hidden_remainder_x
      - .offset:         100
        .size:           2
        .value_kind:     hidden_remainder_y
      - .offset:         102
        .size:           2
        .value_kind:     hidden_remainder_z
      - .offset:         120
        .size:           8
        .value_kind:     hidden_global_offset_x
      - .offset:         128
        .size:           8
        .value_kind:     hidden_global_offset_y
      - .offset:         136
        .size:           8
        .value_kind:     hidden_global_offset_z
      - .offset:         144
        .size:           2
        .value_kind:     hidden_grid_dims
    .group_segment_fixed_size: 2048
    .kernarg_segment_align: 8
    .kernarg_segment_size: 336
    .language:       OpenCL C
    .language_version:
      - 2
      - 0
    .max_flat_workgroup_size: 512
    .name:           _ZN9rocsolver6v33100L32stedc_mergeValues_Rescale_kernelIfEEviiPT_lS3_lS3_S3_PiS2_S2_S2_
    .private_segment_fixed_size: 0
    .sgpr_count:     30
    .sgpr_spill_count: 0
    .symbol:         _ZN9rocsolver6v33100L32stedc_mergeValues_Rescale_kernelIfEEviiPT_lS3_lS3_S3_PiS2_S2_S2_.kd
    .uniform_work_group_size: 1
    .uses_dynamic_stack: false
    .vgpr_count:     12
    .vgpr_spill_count: 0
    .wavefront_size: 64
  - .agpr_count:     0
    .args:
      - .offset:         0
        .size:           4
        .value_kind:     by_value
      - .offset:         4
        .size:           4
        .value_kind:     by_value
      - .address_space:  global
        .offset:         8
        .size:           8
        .value_kind:     global_buffer
      - .offset:         16
        .size:           4
        .value_kind:     by_value
      - .offset:         20
        .size:           4
        .value_kind:     by_value
      - .offset:         24
        .size:           8
        .value_kind:     by_value
      - .address_space:  global
        .offset:         32
        .size:           8
        .value_kind:     global_buffer
      - .address_space:  global
        .offset:         40
        .size:           8
        .value_kind:     global_buffer
      - .address_space:  global
        .offset:         48
        .size:           8
        .value_kind:     global_buffer
      - .offset:         56
        .size:           4
        .value_kind:     hidden_block_count_x
      - .offset:         60
        .size:           4
        .value_kind:     hidden_block_count_y
      - .offset:         64
        .size:           4
        .value_kind:     hidden_block_count_z
      - .offset:         68
        .size:           2
        .value_kind:     hidden_group_size_x
      - .offset:         70
        .size:           2
        .value_kind:     hidden_group_size_y
      - .offset:         72
        .size:           2
        .value_kind:     hidden_group_size_z
      - .offset:         74
        .size:           2
        .value_kind:     hidden_remainder_x
      - .offset:         76
        .size:           2
        .value_kind:     hidden_remainder_y
      - .offset:         78
        .size:           2
        .value_kind:     hidden_remainder_z
      - .offset:         96
        .size:           8
        .value_kind:     hidden_global_offset_x
      - .offset:         104
        .size:           8
        .value_kind:     hidden_global_offset_y
      - .offset:         112
        .size:           8
        .value_kind:     hidden_global_offset_z
      - .offset:         120
        .size:           2
        .value_kind:     hidden_grid_dims
    .group_segment_fixed_size: 2048
    .kernarg_segment_align: 8
    .kernarg_segment_size: 312
    .language:       OpenCL C
    .language_version:
      - 2
      - 0
    .max_flat_workgroup_size: 512
    .name:           _ZN9rocsolver6v33100L25stedc_mergeVectors_kernelILb1EfEEviiPT0_iilS3_S3_Pi
    .private_segment_fixed_size: 0
    .sgpr_count:     29
    .sgpr_spill_count: 0
    .symbol:         _ZN9rocsolver6v33100L25stedc_mergeVectors_kernelILb1EfEEviiPT0_iilS3_S3_Pi.kd
    .uniform_work_group_size: 1
    .uses_dynamic_stack: false
    .vgpr_count:     18
    .vgpr_spill_count: 0
    .wavefront_size: 64
  - .agpr_count:     0
    .args:
      - .offset:         0
        .size:           4
        .value_kind:     by_value
      - .offset:         4
        .size:           4
        .value_kind:     by_value
      - .address_space:  global
        .offset:         8
        .size:           8
        .value_kind:     global_buffer
      - .offset:         16
        .size:           8
        .value_kind:     by_value
      - .address_space:  global
        .offset:         24
        .size:           8
        .value_kind:     global_buffer
      - .offset:         32
        .size:           4
        .value_kind:     by_value
      - .offset:         36
        .size:           4
        .value_kind:     by_value
      - .offset:         40
        .size:           8
        .value_kind:     by_value
      - .address_space:  global
        .offset:         48
        .size:           8
        .value_kind:     global_buffer
      - .address_space:  global
        .offset:         56
        .size:           8
        .value_kind:     global_buffer
      - .address_space:  global
        .offset:         64
        .size:           8
        .value_kind:     global_buffer
      - .offset:         72
        .size:           4
        .value_kind:     hidden_block_count_x
      - .offset:         76
        .size:           4
        .value_kind:     hidden_block_count_y
      - .offset:         80
        .size:           4
        .value_kind:     hidden_block_count_z
      - .offset:         84
        .size:           2
        .value_kind:     hidden_group_size_x
      - .offset:         86
        .size:           2
        .value_kind:     hidden_group_size_y
      - .offset:         88
        .size:           2
        .value_kind:     hidden_group_size_z
      - .offset:         90
        .size:           2
        .value_kind:     hidden_remainder_x
      - .offset:         92
        .size:           2
        .value_kind:     hidden_remainder_y
      - .offset:         94
        .size:           2
        .value_kind:     hidden_remainder_z
      - .offset:         112
        .size:           8
        .value_kind:     hidden_global_offset_x
      - .offset:         120
        .size:           8
        .value_kind:     hidden_global_offset_y
      - .offset:         128
        .size:           8
        .value_kind:     hidden_global_offset_z
      - .offset:         136
        .size:           2
        .value_kind:     hidden_grid_dims
    .group_segment_fixed_size: 0
    .kernarg_segment_align: 8
    .kernarg_segment_size: 328
    .language:       OpenCL C
    .language_version:
      - 2
      - 0
    .max_flat_workgroup_size: 512
    .name:           _ZN9rocsolver6v33100L24stedc_mergeUpdate_kernelIfEEviiPT_lS3_iilS3_S3_Pi
    .private_segment_fixed_size: 0
    .sgpr_count:     32
    .sgpr_spill_count: 0
    .symbol:         _ZN9rocsolver6v33100L24stedc_mergeUpdate_kernelIfEEviiPT_lS3_iilS3_S3_Pi.kd
    .uniform_work_group_size: 1
    .uses_dynamic_stack: false
    .vgpr_count:     6
    .vgpr_spill_count: 0
    .wavefront_size: 64
  - .agpr_count:     0
    .args:
      - .offset:         0
        .size:           4
        .value_kind:     by_value
      - .address_space:  global
        .offset:         8
        .size:           8
        .value_kind:     global_buffer
      - .offset:         16
        .size:           8
        .value_kind:     by_value
      - .address_space:  global
        .offset:         24
        .size:           8
        .value_kind:     global_buffer
      - .offset:         32
        .size:           8
        .value_kind:     by_value
      - .offset:         40
        .size:           4
        .value_kind:     hidden_block_count_x
      - .offset:         44
        .size:           4
        .value_kind:     hidden_block_count_y
      - .offset:         48
        .size:           4
        .value_kind:     hidden_block_count_z
      - .offset:         52
        .size:           2
        .value_kind:     hidden_group_size_x
      - .offset:         54
        .size:           2
        .value_kind:     hidden_group_size_y
      - .offset:         56
        .size:           2
        .value_kind:     hidden_group_size_z
      - .offset:         58
        .size:           2
        .value_kind:     hidden_remainder_x
      - .offset:         60
        .size:           2
        .value_kind:     hidden_remainder_y
      - .offset:         62
        .size:           2
        .value_kind:     hidden_remainder_z
      - .offset:         80
        .size:           8
        .value_kind:     hidden_global_offset_x
      - .offset:         88
        .size:           8
        .value_kind:     hidden_global_offset_y
      - .offset:         96
        .size:           8
        .value_kind:     hidden_global_offset_z
      - .offset:         104
        .size:           2
        .value_kind:     hidden_grid_dims
    .group_segment_fixed_size: 0
    .kernarg_segment_align: 8
    .kernarg_segment_size: 296
    .language:       OpenCL C
    .language_version:
      - 2
      - 0
    .max_flat_workgroup_size: 512
    .name:           _ZN9rocsolver6v33100L11stedc_copyDIfEEviPT_lS3_l
    .private_segment_fixed_size: 0
    .sgpr_count:     61
    .sgpr_spill_count: 0
    .symbol:         _ZN9rocsolver6v33100L11stedc_copyDIfEEviPT_lS3_l.kd
    .uniform_work_group_size: 1
    .uses_dynamic_stack: false
    .vgpr_count:     50
    .vgpr_spill_count: 0
    .wavefront_size: 64
  - .agpr_count:     0
    .args:
      - .offset:         0
        .size:           4
        .value_kind:     by_value
      - .address_space:  global
        .offset:         8
        .size:           8
        .value_kind:     global_buffer
      - .offset:         16
        .size:           8
        .value_kind:     by_value
      - .address_space:  global
        .offset:         24
        .size:           8
        .value_kind:     global_buffer
      - .offset:         32
        .size:           8
        .value_kind:     by_value
      - .address_space:  global
        .offset:         40
        .size:           8
        .value_kind:     global_buffer
      - .offset:         48
        .size:           4
        .value_kind:     by_value
      - .offset:         52
        .size:           4
        .value_kind:     by_value
      - .offset:         56
        .size:           8
        .value_kind:     by_value
      - .address_space:  global
        .offset:         64
        .size:           8
        .value_kind:     global_buffer
      - .offset:         72
        .size:           4
        .value_kind:     by_value
      - .offset:         76
        .size:           4
        .value_kind:     by_value
      - .offset:         80
        .size:           8
        .value_kind:     by_value
      - .offset:         88
        .size:           4
        .value_kind:     hidden_block_count_x
      - .offset:         92
        .size:           4
        .value_kind:     hidden_block_count_y
      - .offset:         96
        .size:           4
        .value_kind:     hidden_block_count_z
      - .offset:         100
        .size:           2
        .value_kind:     hidden_group_size_x
      - .offset:         102
        .size:           2
        .value_kind:     hidden_group_size_y
      - .offset:         104
        .size:           2
        .value_kind:     hidden_group_size_z
      - .offset:         106
        .size:           2
        .value_kind:     hidden_remainder_x
      - .offset:         108
        .size:           2
        .value_kind:     hidden_remainder_y
      - .offset:         110
        .size:           2
        .value_kind:     hidden_remainder_z
      - .offset:         128
        .size:           8
        .value_kind:     hidden_global_offset_x
      - .offset:         136
        .size:           8
        .value_kind:     hidden_global_offset_y
      - .offset:         144
        .size:           8
        .value_kind:     hidden_global_offset_z
      - .offset:         152
        .size:           2
        .value_kind:     hidden_grid_dims
    .group_segment_fixed_size: 2048
    .kernarg_segment_align: 8
    .kernarg_segment_size: 344
    .language:       OpenCL C
    .language_version:
      - 2
      - 0
    .max_flat_workgroup_size: 512
    .name:           _ZN9rocsolver6v33100L10stedc_sortIffPfS2_EEviPT0_lS4_lT1_iilT2_iil
    .private_segment_fixed_size: 0
    .sgpr_count:     76
    .sgpr_spill_count: 0
    .symbol:         _ZN9rocsolver6v33100L10stedc_sortIffPfS2_EEviPT0_lS4_lT1_iilT2_iil.kd
    .uniform_work_group_size: 1
    .uses_dynamic_stack: false
    .vgpr_count:     54
    .vgpr_spill_count: 0
    .wavefront_size: 64
  - .agpr_count:     0
    .args:
      - .offset:         0
        .size:           4
        .value_kind:     by_value
      - .offset:         4
        .size:           4
        .value_kind:     by_value
      - .address_space:  global
        .offset:         8
        .size:           8
        .value_kind:     global_buffer
      - .offset:         16
        .size:           8
        .value_kind:     by_value
      - .offset:         24
        .size:           4
        .value_kind:     by_value
      - .offset:         32
        .size:           8
        .value_kind:     by_value
    .group_segment_fixed_size: 0
    .kernarg_segment_align: 8
    .kernarg_segment_size: 40
    .language:       OpenCL C
    .language_version:
      - 2
      - 0
    .max_flat_workgroup_size: 1024
    .name:           _ZN9rocsolver6v33100L13conj_in_placeIfiPfTnNSt9enable_ifIXnt18rocblas_is_complexIT_EEiE4typeELi0EEEvT0_S7_T1_lS7_l
    .private_segment_fixed_size: 0
    .sgpr_count:     4
    .sgpr_spill_count: 0
    .symbol:         _ZN9rocsolver6v33100L13conj_in_placeIfiPfTnNSt9enable_ifIXnt18rocblas_is_complexIT_EEiE4typeELi0EEEvT0_S7_T1_lS7_l.kd
    .uniform_work_group_size: 1
    .uses_dynamic_stack: false
    .vgpr_count:     0
    .vgpr_spill_count: 0
    .wavefront_size: 64
  - .agpr_count:     0
    .args:
      - .offset:         0
        .size:           4
        .value_kind:     by_value
      - .offset:         4
        .size:           4
        .value_kind:     by_value
      - .address_space:  global
        .offset:         8
        .size:           8
        .value_kind:     global_buffer
      - .offset:         16
        .size:           8
        .value_kind:     by_value
      - .offset:         24
        .size:           4
        .value_kind:     by_value
      - .offset:         32
        .size:           8
        .value_kind:     by_value
      - .address_space:  global
        .offset:         40
        .size:           8
        .value_kind:     global_buffer
      - .offset:         48
        .size:           8
        .value_kind:     by_value
      - .address_space:  global
        .offset:         56
        .size:           8
        .value_kind:     global_buffer
      - .offset:         64
        .size:           8
        .value_kind:     by_value
      - .offset:         72
        .size:           4
        .value_kind:     by_value
      - .offset:         80
        .size:           8
        .value_kind:     by_value
    .group_segment_fixed_size: 0
    .kernarg_segment_align: 8
    .kernarg_segment_size: 88
    .language:       OpenCL C
    .language_version:
      - 2
      - 0
    .max_flat_workgroup_size: 1024
    .name:           _ZN9rocsolver6v33100L16larf_left_kernelILi1024EfiPfEEvT1_S3_T2_lS3_lPKT0_lS4_lS3_l
    .private_segment_fixed_size: 0
    .sgpr_count:     44
    .sgpr_spill_count: 0
    .symbol:         _ZN9rocsolver6v33100L16larf_left_kernelILi1024EfiPfEEvT1_S3_T2_lS3_lPKT0_lS4_lS3_l.kd
    .uniform_work_group_size: 1
    .uses_dynamic_stack: false
    .vgpr_count:     22
    .vgpr_spill_count: 0
    .wavefront_size: 64
  - .agpr_count:     0
    .args:
      - .offset:         0
        .size:           4
        .value_kind:     by_value
      - .offset:         4
        .size:           4
        .value_kind:     by_value
      - .address_space:  global
        .offset:         8
        .size:           8
        .value_kind:     global_buffer
      - .offset:         16
        .size:           8
        .value_kind:     by_value
      - .offset:         24
        .size:           4
        .value_kind:     by_value
      - .offset:         32
        .size:           8
        .value_kind:     by_value
      - .address_space:  global
        .offset:         40
        .size:           8
        .value_kind:     global_buffer
      - .offset:         48
        .size:           8
        .value_kind:     by_value
      - .address_space:  global
        .offset:         56
        .size:           8
        .value_kind:     global_buffer
      - .offset:         64
        .size:           8
        .value_kind:     by_value
      - .offset:         72
        .size:           4
        .value_kind:     by_value
      - .offset:         80
        .size:           8
        .value_kind:     by_value
    .group_segment_fixed_size: 0
    .kernarg_segment_align: 8
    .kernarg_segment_size: 88
    .language:       OpenCL C
    .language_version:
      - 2
      - 0
    .max_flat_workgroup_size: 1024
    .name:           _ZN9rocsolver6v33100L17larf_right_kernelILi1024EfiPfEEvT1_S3_T2_lS3_lPKT0_lS4_lS3_l
    .private_segment_fixed_size: 0
    .sgpr_count:     44
    .sgpr_spill_count: 0
    .symbol:         _ZN9rocsolver6v33100L17larf_right_kernelILi1024EfiPfEEvT1_S3_T2_lS3_lPKT0_lS4_lS3_l.kd
    .uniform_work_group_size: 1
    .uses_dynamic_stack: false
    .vgpr_count:     18
    .vgpr_spill_count: 0
    .wavefront_size: 64
  - .agpr_count:     0
    .args:
      - .address_space:  global
        .offset:         0
        .size:           8
        .value_kind:     global_buffer
      - .offset:         8
        .size:           8
        .value_kind:     by_value
      - .offset:         16
        .size:           8
        .value_kind:     by_value
      - .address_space:  global
        .offset:         24
        .size:           8
        .value_kind:     global_buffer
      - .offset:         32
        .size:           8
        .value_kind:     by_value
      - .offset:         40
        .size:           4
        .value_kind:     by_value
      - .offset:         48
        .size:           8
        .value_kind:     by_value
      - .offset:         56
        .size:           4
        .value_kind:     by_value
      - .offset:         64
        .size:           4
        .value_kind:     hidden_block_count_x
      - .offset:         68
        .size:           4
        .value_kind:     hidden_block_count_y
      - .offset:         72
        .size:           4
        .value_kind:     hidden_block_count_z
      - .offset:         76
        .size:           2
        .value_kind:     hidden_group_size_x
      - .offset:         78
        .size:           2
        .value_kind:     hidden_group_size_y
      - .offset:         80
        .size:           2
        .value_kind:     hidden_group_size_z
      - .offset:         82
        .size:           2
        .value_kind:     hidden_remainder_x
      - .offset:         84
        .size:           2
        .value_kind:     hidden_remainder_y
      - .offset:         86
        .size:           2
        .value_kind:     hidden_remainder_z
      - .offset:         104
        .size:           8
        .value_kind:     hidden_global_offset_x
      - .offset:         112
        .size:           8
        .value_kind:     hidden_global_offset_y
      - .offset:         120
        .size:           8
        .value_kind:     hidden_global_offset_z
      - .offset:         128
        .size:           2
        .value_kind:     hidden_grid_dims
    .group_segment_fixed_size: 0
    .kernarg_segment_align: 8
    .kernarg_segment_size: 320
    .language:       OpenCL C
    .language_version:
      - 2
      - 0
    .max_flat_workgroup_size: 1024
    .name:           _ZN9rocsolver6v33100L12restore_diagIfifPfEEvPT1_llT2_lT0_lS6_
    .private_segment_fixed_size: 0
    .sgpr_count:     20
    .sgpr_spill_count: 0
    .symbol:         _ZN9rocsolver6v33100L12restore_diagIfifPfEEvPT1_llT2_lT0_lS6_.kd
    .uniform_work_group_size: 1
    .uses_dynamic_stack: false
    .vgpr_count:     5
    .vgpr_spill_count: 0
    .wavefront_size: 64
  - .agpr_count:     0
    .args:
      - .offset:         0
        .size:           4
        .value_kind:     by_value
      - .offset:         4
        .size:           4
        .value_kind:     by_value
      - .address_space:  global
        .offset:         8
        .size:           8
        .value_kind:     global_buffer
      - .offset:         16
        .size:           4
        .value_kind:     by_value
      - .offset:         20
        .size:           4
        .value_kind:     by_value
      - .offset:         24
        .size:           8
        .value_kind:     by_value
      - .address_space:  global
        .offset:         32
        .size:           8
        .value_kind:     global_buffer
      - .offset:         40
        .size:           8
        .value_kind:     by_value
      - .address_space:  global
        .offset:         48
        .size:           8
        .value_kind:     global_buffer
      - .offset:         56
        .size:           4
        .value_kind:     by_value
      - .offset:         64
        .size:           8
        .value_kind:     by_value
      - .offset:         72
        .size:           4
        .value_kind:     by_value
      - .offset:         76
        .size:           4
        .value_kind:     by_value
      - .offset:         80
        .size:           1
        .value_kind:     by_value
      - .offset:         88
        .size:           4
        .value_kind:     hidden_block_count_x
      - .offset:         92
        .size:           4
        .value_kind:     hidden_block_count_y
      - .offset:         96
        .size:           4
        .value_kind:     hidden_block_count_z
      - .offset:         100
        .size:           2
        .value_kind:     hidden_group_size_x
      - .offset:         102
        .size:           2
        .value_kind:     hidden_group_size_y
      - .offset:         104
        .size:           2
        .value_kind:     hidden_group_size_z
      - .offset:         106
        .size:           2
        .value_kind:     hidden_remainder_x
      - .offset:         108
        .size:           2
        .value_kind:     hidden_remainder_y
      - .offset:         110
        .size:           2
        .value_kind:     hidden_remainder_z
      - .offset:         128
        .size:           8
        .value_kind:     hidden_global_offset_x
      - .offset:         136
        .size:           8
        .value_kind:     hidden_global_offset_y
      - .offset:         144
        .size:           8
        .value_kind:     hidden_global_offset_z
      - .offset:         152
        .size:           2
        .value_kind:     hidden_grid_dims
    .group_segment_fixed_size: 0
    .kernarg_segment_align: 8
    .kernarg_segment_size: 344
    .language:       OpenCL C
    .language_version:
      - 2
      - 0
    .max_flat_workgroup_size: 1024
    .name:           _ZN9rocsolver6v33100L14set_triangularIfPfTnNSt9enable_ifIXnt18rocblas_is_complexIT_EEiE4typeELi0EEEviiT0_iilPS4_lS8_il15rocblas_direct_15rocblas_storev_b
    .private_segment_fixed_size: 0
    .sgpr_count:     27
    .sgpr_spill_count: 0
    .symbol:         _ZN9rocsolver6v33100L14set_triangularIfPfTnNSt9enable_ifIXnt18rocblas_is_complexIT_EEiE4typeELi0EEEviiT0_iilPS4_lS8_il15rocblas_direct_15rocblas_storev_b.kd
    .uniform_work_group_size: 1
    .uses_dynamic_stack: false
    .vgpr_count:     15
    .vgpr_spill_count: 0
    .wavefront_size: 64
  - .agpr_count:     0
    .args:
      - .offset:         0
        .size:           4
        .value_kind:     by_value
      - .address_space:  global
        .offset:         8
        .size:           8
        .value_kind:     global_buffer
      - .offset:         16
        .size:           8
        .value_kind:     by_value
      - .offset:         24
        .size:           4
        .value_kind:     hidden_block_count_x
      - .offset:         28
        .size:           4
        .value_kind:     hidden_block_count_y
      - .offset:         32
        .size:           4
        .value_kind:     hidden_block_count_z
      - .offset:         36
        .size:           2
        .value_kind:     hidden_group_size_x
      - .offset:         38
        .size:           2
        .value_kind:     hidden_group_size_y
      - .offset:         40
        .size:           2
        .value_kind:     hidden_group_size_z
      - .offset:         42
        .size:           2
        .value_kind:     hidden_remainder_x
      - .offset:         44
        .size:           2
        .value_kind:     hidden_remainder_y
      - .offset:         46
        .size:           2
        .value_kind:     hidden_remainder_z
      - .offset:         64
        .size:           8
        .value_kind:     hidden_global_offset_x
      - .offset:         72
        .size:           8
        .value_kind:     hidden_global_offset_y
      - .offset:         80
        .size:           8
        .value_kind:     hidden_global_offset_z
      - .offset:         88
        .size:           2
        .value_kind:     hidden_grid_dims
    .group_segment_fixed_size: 0
    .kernarg_segment_align: 8
    .kernarg_segment_size: 280
    .language:       OpenCL C
    .language_version:
      - 2
      - 0
    .max_flat_workgroup_size: 1024
    .name:           _ZN9rocsolver6v33100L7set_tauIfEEviPT_l
    .private_segment_fixed_size: 0
    .sgpr_count:     12
    .sgpr_spill_count: 0
    .symbol:         _ZN9rocsolver6v33100L7set_tauIfEEviPT_l.kd
    .uniform_work_group_size: 1
    .uses_dynamic_stack: false
    .vgpr_count:     3
    .vgpr_spill_count: 0
    .wavefront_size: 64
  - .agpr_count:     0
    .args:
      - .offset:         0
        .size:           4
        .value_kind:     by_value
      - .offset:         4
        .size:           4
        .value_kind:     by_value
      - .offset:         8
        .size:           4
        .value_kind:     by_value
      - .address_space:  global
        .offset:         16
        .size:           8
        .value_kind:     global_buffer
      - .offset:         24
        .size:           4
        .value_kind:     by_value
      - .offset:         28
        .size:           4
        .value_kind:     by_value
      - .offset:         32
        .size:           8
        .value_kind:     by_value
      - .address_space:  global
        .offset:         40
        .size:           8
        .value_kind:     global_buffer
      - .offset:         48
        .size:           8
        .value_kind:     by_value
      - .address_space:  global
        .offset:         56
        .size:           8
        .value_kind:     global_buffer
      - .offset:         64
        .size:           4
        .value_kind:     by_value
      - .offset:         72
        .size:           8
        .value_kind:     by_value
      - .offset:         80
        .size:           4
        .value_kind:     hidden_block_count_x
      - .offset:         84
        .size:           4
        .value_kind:     hidden_block_count_y
      - .offset:         88
        .size:           4
        .value_kind:     hidden_block_count_z
      - .offset:         92
        .size:           2
        .value_kind:     hidden_group_size_x
      - .offset:         94
        .size:           2
        .value_kind:     hidden_group_size_y
      - .offset:         96
        .size:           2
        .value_kind:     hidden_group_size_z
      - .offset:         98
        .size:           2
        .value_kind:     hidden_remainder_x
      - .offset:         100
        .size:           2
        .value_kind:     hidden_remainder_y
      - .offset:         102
        .size:           2
        .value_kind:     hidden_remainder_z
      - .offset:         120
        .size:           8
        .value_kind:     hidden_global_offset_x
      - .offset:         128
        .size:           8
        .value_kind:     hidden_global_offset_y
      - .offset:         136
        .size:           8
        .value_kind:     hidden_global_offset_z
      - .offset:         144
        .size:           2
        .value_kind:     hidden_grid_dims
      - .offset:         200
        .size:           4
        .value_kind:     hidden_dynamic_lds_size
    .group_segment_fixed_size: 0
    .kernarg_segment_align: 8
    .kernarg_segment_size: 336
    .language:       OpenCL C
    .language_version:
      - 2
      - 0
    .max_flat_workgroup_size: 1024
    .name:           _ZN9rocsolver6v33100L20larft_kernel_forwardIfPfEEv15rocblas_storev_iiT0_iilPT_lS6_il
    .private_segment_fixed_size: 0
    .sgpr_count:     52
    .sgpr_spill_count: 0
    .symbol:         _ZN9rocsolver6v33100L20larft_kernel_forwardIfPfEEv15rocblas_storev_iiT0_iilPT_lS6_il.kd
    .uniform_work_group_size: 1
    .uses_dynamic_stack: false
    .vgpr_count:     21
    .vgpr_spill_count: 0
    .wavefront_size: 64
  - .agpr_count:     0
    .args:
      - .offset:         0
        .size:           4
        .value_kind:     by_value
      - .offset:         4
        .size:           4
        .value_kind:     by_value
      - .offset:         8
        .size:           4
        .value_kind:     by_value
      - .address_space:  global
        .offset:         16
        .size:           8
        .value_kind:     global_buffer
      - .offset:         24
        .size:           4
        .value_kind:     by_value
      - .offset:         28
        .size:           4
        .value_kind:     by_value
      - .offset:         32
        .size:           8
        .value_kind:     by_value
      - .address_space:  global
        .offset:         40
        .size:           8
        .value_kind:     global_buffer
      - .offset:         48
        .size:           8
        .value_kind:     by_value
      - .address_space:  global
        .offset:         56
        .size:           8
        .value_kind:     global_buffer
      - .offset:         64
        .size:           4
        .value_kind:     by_value
      - .offset:         72
        .size:           8
        .value_kind:     by_value
      - .offset:         80
        .size:           4
        .value_kind:     hidden_block_count_x
      - .offset:         84
        .size:           4
        .value_kind:     hidden_block_count_y
      - .offset:         88
        .size:           4
        .value_kind:     hidden_block_count_z
      - .offset:         92
        .size:           2
        .value_kind:     hidden_group_size_x
      - .offset:         94
        .size:           2
        .value_kind:     hidden_group_size_y
      - .offset:         96
        .size:           2
        .value_kind:     hidden_group_size_z
      - .offset:         98
        .size:           2
        .value_kind:     hidden_remainder_x
      - .offset:         100
        .size:           2
        .value_kind:     hidden_remainder_y
      - .offset:         102
        .size:           2
        .value_kind:     hidden_remainder_z
      - .offset:         120
        .size:           8
        .value_kind:     hidden_global_offset_x
      - .offset:         128
        .size:           8
        .value_kind:     hidden_global_offset_y
      - .offset:         136
        .size:           8
        .value_kind:     hidden_global_offset_z
      - .offset:         144
        .size:           2
        .value_kind:     hidden_grid_dims
      - .offset:         200
        .size:           4
        .value_kind:     hidden_dynamic_lds_size
    .group_segment_fixed_size: 0
    .kernarg_segment_align: 8
    .kernarg_segment_size: 336
    .language:       OpenCL C
    .language_version:
      - 2
      - 0
    .max_flat_workgroup_size: 1024
    .name:           _ZN9rocsolver6v33100L21larft_kernel_backwardIfPfEEv15rocblas_storev_iiT0_iilPT_lS6_il
    .private_segment_fixed_size: 0
    .sgpr_count:     53
    .sgpr_spill_count: 0
    .symbol:         _ZN9rocsolver6v33100L21larft_kernel_backwardIfPfEEv15rocblas_storev_iiT0_iilPT_lS6_il.kd
    .uniform_work_group_size: 1
    .uses_dynamic_stack: false
    .vgpr_count:     13
    .vgpr_spill_count: 0
    .wavefront_size: 64
  - .agpr_count:     0
    .args:
      - .offset:         0
        .size:           4
        .value_kind:     by_value
      - .offset:         4
        .size:           4
        .value_kind:     by_value
      - .address_space:  global
        .offset:         8
        .size:           8
        .value_kind:     global_buffer
      - .offset:         16
        .size:           4
        .value_kind:     by_value
      - .offset:         20
        .size:           4
        .value_kind:     by_value
      - .offset:         24
        .size:           8
        .value_kind:     by_value
      - .address_space:  global
        .offset:         32
        .size:           8
        .value_kind:     global_buffer
      - .offset:         40
        .size:           4
        .value_kind:     hidden_block_count_x
      - .offset:         44
        .size:           4
        .value_kind:     hidden_block_count_y
      - .offset:         48
        .size:           4
        .value_kind:     hidden_block_count_z
      - .offset:         52
        .size:           2
        .value_kind:     hidden_group_size_x
      - .offset:         54
        .size:           2
        .value_kind:     hidden_group_size_y
      - .offset:         56
        .size:           2
        .value_kind:     hidden_group_size_z
      - .offset:         58
        .size:           2
        .value_kind:     hidden_remainder_x
      - .offset:         60
        .size:           2
        .value_kind:     hidden_remainder_y
      - .offset:         62
        .size:           2
        .value_kind:     hidden_remainder_z
      - .offset:         80
        .size:           8
        .value_kind:     hidden_global_offset_x
      - .offset:         88
        .size:           8
        .value_kind:     hidden_global_offset_y
      - .offset:         96
        .size:           8
        .value_kind:     hidden_global_offset_z
      - .offset:         104
        .size:           2
        .value_kind:     hidden_grid_dims
    .group_segment_fixed_size: 0
    .kernarg_segment_align: 8
    .kernarg_segment_size: 296
    .language:       OpenCL C
    .language_version:
      - 2
      - 0
    .max_flat_workgroup_size: 1024
    .name:           _ZN9rocsolver6v33100L9copymatA1IfPfEEviiT0_iilPT_
    .private_segment_fixed_size: 0
    .sgpr_count:     24
    .sgpr_spill_count: 0
    .symbol:         _ZN9rocsolver6v33100L9copymatA1IfPfEEviiT0_iilPT_.kd
    .uniform_work_group_size: 1
    .uses_dynamic_stack: false
    .vgpr_count:     6
    .vgpr_spill_count: 0
    .wavefront_size: 64
  - .agpr_count:     0
    .args:
      - .offset:         0
        .size:           4
        .value_kind:     by_value
      - .offset:         4
        .size:           4
        .value_kind:     by_value
      - .address_space:  global
        .offset:         8
        .size:           8
        .value_kind:     global_buffer
      - .offset:         16
        .size:           4
        .value_kind:     by_value
      - .offset:         20
        .size:           4
        .value_kind:     by_value
      - .offset:         24
        .size:           8
        .value_kind:     by_value
      - .address_space:  global
        .offset:         32
        .size:           8
        .value_kind:     global_buffer
      - .offset:         40
        .size:           4
        .value_kind:     hidden_block_count_x
      - .offset:         44
        .size:           4
        .value_kind:     hidden_block_count_y
      - .offset:         48
        .size:           4
        .value_kind:     hidden_block_count_z
      - .offset:         52
        .size:           2
        .value_kind:     hidden_group_size_x
      - .offset:         54
        .size:           2
        .value_kind:     hidden_group_size_y
      - .offset:         56
        .size:           2
        .value_kind:     hidden_group_size_z
      - .offset:         58
        .size:           2
        .value_kind:     hidden_remainder_x
      - .offset:         60
        .size:           2
        .value_kind:     hidden_remainder_y
      - .offset:         62
        .size:           2
        .value_kind:     hidden_remainder_z
      - .offset:         80
        .size:           8
        .value_kind:     hidden_global_offset_x
      - .offset:         88
        .size:           8
        .value_kind:     hidden_global_offset_y
      - .offset:         96
        .size:           8
        .value_kind:     hidden_global_offset_z
      - .offset:         104
        .size:           2
        .value_kind:     hidden_grid_dims
    .group_segment_fixed_size: 0
    .kernarg_segment_align: 8
    .kernarg_segment_size: 296
    .language:       OpenCL C
    .language_version:
      - 2
      - 0
    .max_flat_workgroup_size: 1024
    .name:           _ZN9rocsolver6v33100L8addmatA1IfPfEEviiT0_iilPT_
    .private_segment_fixed_size: 0
    .sgpr_count:     19
    .sgpr_spill_count: 0
    .symbol:         _ZN9rocsolver6v33100L8addmatA1IfPfEEviiT0_iilPT_.kd
    .uniform_work_group_size: 1
    .uses_dynamic_stack: false
    .vgpr_count:     6
    .vgpr_spill_count: 0
    .wavefront_size: 64
  - .agpr_count:     0
    .args:
      - .offset:         0
        .size:           4
        .value_kind:     by_value
      - .offset:         4
        .size:           4
        .value_kind:     by_value
      - .address_space:  global
        .offset:         8
        .size:           8
        .value_kind:     global_buffer
      - .offset:         16
        .size:           4
        .value_kind:     by_value
      - .offset:         20
        .size:           4
        .value_kind:     by_value
      - .offset:         24
        .size:           8
        .value_kind:     by_value
      - .address_space:  global
        .offset:         32
        .size:           8
        .value_kind:     global_buffer
      - .offset:         40
        .size:           4
        .value_kind:     by_value
      - .offset:         44
        .size:           4
        .value_kind:     by_value
      - .offset:         48
        .size:           8
        .value_kind:     by_value
      - .offset:         56
        .size:           1
        .value_kind:     by_value
      - .offset:         60
        .size:           4
        .value_kind:     by_value
      - .offset:         64
        .size:           4
        .value_kind:     by_value
      - .offset:         72
        .size:           4
        .value_kind:     hidden_block_count_x
      - .offset:         76
        .size:           4
        .value_kind:     hidden_block_count_y
      - .offset:         80
        .size:           4
        .value_kind:     hidden_block_count_z
      - .offset:         84
        .size:           2
        .value_kind:     hidden_group_size_x
      - .offset:         86
        .size:           2
        .value_kind:     hidden_group_size_y
      - .offset:         88
        .size:           2
        .value_kind:     hidden_group_size_z
      - .offset:         90
        .size:           2
        .value_kind:     hidden_remainder_x
      - .offset:         92
        .size:           2
        .value_kind:     hidden_remainder_y
      - .offset:         94
        .size:           2
        .value_kind:     hidden_remainder_z
      - .offset:         112
        .size:           8
        .value_kind:     hidden_global_offset_x
      - .offset:         120
        .size:           8
        .value_kind:     hidden_global_offset_y
      - .offset:         128
        .size:           8
        .value_kind:     hidden_global_offset_z
      - .offset:         136
        .size:           2
        .value_kind:     hidden_grid_dims
    .group_segment_fixed_size: 0
    .kernarg_segment_align: 8
    .kernarg_segment_size: 328
    .language:       OpenCL C
    .language_version:
      - 2
      - 0
    .max_flat_workgroup_size: 1024
    .name:           _ZN9rocsolver6v33100L8copy_matIfPfS2_NS0_7no_maskEEEviiT0_iilT1_iilT2_13rocblas_fill_17rocblas_diagonal_
    .private_segment_fixed_size: 0
    .sgpr_count:     24
    .sgpr_spill_count: 0
    .symbol:         _ZN9rocsolver6v33100L8copy_matIfPfS2_NS0_7no_maskEEEviiT0_iilT1_iilT2_13rocblas_fill_17rocblas_diagonal_.kd
    .uniform_work_group_size: 1
    .uses_dynamic_stack: false
    .vgpr_count:     6
    .vgpr_spill_count: 0
    .wavefront_size: 64
  - .agpr_count:     0
    .args:
      - .offset:         0
        .size:           4
        .value_kind:     by_value
      - .offset:         4
        .size:           4
        .value_kind:     by_value
      - .address_space:  global
        .offset:         8
        .size:           8
        .value_kind:     global_buffer
      - .offset:         16
        .size:           8
        .value_kind:     by_value
      - .offset:         24
        .size:           4
        .value_kind:     by_value
      - .offset:         32
        .size:           8
        .value_kind:     by_value
      - .address_space:  global
        .offset:         40
        .size:           8
        .value_kind:     global_buffer
      - .offset:         48
        .size:           8
        .value_kind:     by_value
      - .address_space:  global
        .offset:         56
        .size:           8
        .value_kind:     global_buffer
      - .offset:         64
        .size:           8
        .value_kind:     by_value
    .group_segment_fixed_size: 0
    .kernarg_segment_align: 8
    .kernarg_segment_size: 72
    .language:       OpenCL C
    .language_version:
      - 2
      - 0
    .max_flat_workgroup_size: 256
    .name:           _ZN9rocsolver6v33100L18geqr2_kernel_smallILi256EfifPfEEvT1_S3_T3_lS3_lPT2_lPT0_l
    .private_segment_fixed_size: 0
    .sgpr_count:     53
    .sgpr_spill_count: 0
    .symbol:         _ZN9rocsolver6v33100L18geqr2_kernel_smallILi256EfifPfEEvT1_S3_T3_lS3_lPT2_lPT0_l.kd
    .uniform_work_group_size: 1
    .uses_dynamic_stack: false
    .vgpr_count:     25
    .vgpr_spill_count: 0
    .wavefront_size: 64
  - .agpr_count:     0
    .args:
      - .offset:         0
        .size:           4
        .value_kind:     by_value
      - .address_space:  global
        .offset:         8
        .size:           8
        .value_kind:     global_buffer
      - .offset:         16
        .size:           8
        .value_kind:     by_value
      - .address_space:  global
        .offset:         24
        .size:           8
        .value_kind:     global_buffer
      - .offset:         32
        .size:           4
        .value_kind:     by_value
      - .offset:         40
        .size:           8
        .value_kind:     by_value
      - .address_space:  global
        .offset:         48
        .size:           8
        .value_kind:     global_buffer
      - .offset:         56
        .size:           4
        .value_kind:     by_value
      - .offset:         64
        .size:           8
        .value_kind:     by_value
      - .offset:         72
        .size:           4
        .value_kind:     by_value
      - .offset:         80
        .size:           4
        .value_kind:     hidden_block_count_x
      - .offset:         84
        .size:           4
        .value_kind:     hidden_block_count_y
      - .offset:         88
        .size:           4
        .value_kind:     hidden_block_count_z
      - .offset:         92
        .size:           2
        .value_kind:     hidden_group_size_x
      - .offset:         94
        .size:           2
        .value_kind:     hidden_group_size_y
      - .offset:         96
        .size:           2
        .value_kind:     hidden_group_size_z
      - .offset:         98
        .size:           2
        .value_kind:     hidden_remainder_x
      - .offset:         100
        .size:           2
        .value_kind:     hidden_remainder_y
      - .offset:         102
        .size:           2
        .value_kind:     hidden_remainder_z
      - .offset:         120
        .size:           8
        .value_kind:     hidden_global_offset_x
      - .offset:         128
        .size:           8
        .value_kind:     hidden_global_offset_y
      - .offset:         136
        .size:           8
        .value_kind:     hidden_global_offset_z
      - .offset:         144
        .size:           2
        .value_kind:     hidden_grid_dims
    .group_segment_fixed_size: 0
    .kernarg_segment_align: 8
    .kernarg_segment_size: 336
    .language:       OpenCL C
    .language_version:
      - 2
      - 0
    .max_flat_workgroup_size: 1024
    .name:           _ZN9rocsolver6v33100L16gesdd_flip_signsIffEEviPT0_lPT_ilS5_ili
    .private_segment_fixed_size: 0
    .sgpr_count:     47
    .sgpr_spill_count: 0
    .symbol:         _ZN9rocsolver6v33100L16gesdd_flip_signsIffEEviPT0_lPT_ilS5_ili.kd
    .uniform_work_group_size: 1
    .uses_dynamic_stack: false
    .vgpr_count:     8
    .vgpr_spill_count: 0
    .wavefront_size: 64
  - .agpr_count:     0
    .args:
      - .offset:         0
        .size:           4
        .value_kind:     by_value
      - .offset:         4
        .size:           4
        .value_kind:     by_value
      - .offset:         8
        .size:           4
        .value_kind:     by_value
      - .address_space:  global
        .offset:         16
        .size:           8
        .value_kind:     global_buffer
      - .offset:         24
        .size:           4
        .value_kind:     by_value
      - .offset:         28
        .size:           4
        .value_kind:     by_value
      - .offset:         32
        .size:           8
        .value_kind:     by_value
      - .offset:         40
        .size:           4
        .value_kind:     hidden_block_count_x
      - .offset:         44
        .size:           4
        .value_kind:     hidden_block_count_y
      - .offset:         48
        .size:           4
        .value_kind:     hidden_block_count_z
      - .offset:         52
        .size:           2
        .value_kind:     hidden_group_size_x
      - .offset:         54
        .size:           2
        .value_kind:     hidden_group_size_y
      - .offset:         56
        .size:           2
        .value_kind:     hidden_group_size_z
      - .offset:         58
        .size:           2
        .value_kind:     hidden_remainder_x
      - .offset:         60
        .size:           2
        .value_kind:     hidden_remainder_y
      - .offset:         62
        .size:           2
        .value_kind:     hidden_remainder_z
      - .offset:         80
        .size:           8
        .value_kind:     hidden_global_offset_x
      - .offset:         88
        .size:           8
        .value_kind:     hidden_global_offset_y
      - .offset:         96
        .size:           8
        .value_kind:     hidden_global_offset_z
      - .offset:         104
        .size:           2
        .value_kind:     hidden_grid_dims
    .group_segment_fixed_size: 0
    .kernarg_segment_align: 8
    .kernarg_segment_size: 296
    .language:       OpenCL C
    .language_version:
      - 2
      - 0
    .max_flat_workgroup_size: 1024
    .name:           _ZN9rocsolver6v33100L16org2r_init_identIfPfEEviiiT0_iil
    .private_segment_fixed_size: 0
    .sgpr_count:     20
    .sgpr_spill_count: 0
    .symbol:         _ZN9rocsolver6v33100L16org2r_init_identIfPfEEviiiT0_iil.kd
    .uniform_work_group_size: 1
    .uses_dynamic_stack: false
    .vgpr_count:     6
    .vgpr_spill_count: 0
    .wavefront_size: 64
  - .agpr_count:     0
    .args:
      - .offset:         0
        .size:           4
        .value_kind:     by_value
      - .offset:         4
        .size:           4
        .value_kind:     by_value
      - .address_space:  global
        .offset:         8
        .size:           8
        .value_kind:     global_buffer
      - .offset:         16
        .size:           4
        .value_kind:     by_value
      - .offset:         20
        .size:           4
        .value_kind:     by_value
      - .offset:         24
        .size:           8
        .value_kind:     by_value
      - .address_space:  global
        .offset:         32
        .size:           8
        .value_kind:     global_buffer
      - .offset:         40
        .size:           8
        .value_kind:     by_value
    .group_segment_fixed_size: 0
    .kernarg_segment_align: 8
    .kernarg_segment_size: 48
    .language:       OpenCL C
    .language_version:
      - 2
      - 0
    .max_flat_workgroup_size: 1024
    .name:           _ZN9rocsolver6v33100L12subtract_tauIfPfEEviiT0_iilPT_l
    .private_segment_fixed_size: 0
    .sgpr_count:     20
    .sgpr_spill_count: 0
    .symbol:         _ZN9rocsolver6v33100L12subtract_tauIfPfEEviiT0_iilPT_l.kd
    .uniform_work_group_size: 1
    .uses_dynamic_stack: false
    .vgpr_count:     2
    .vgpr_spill_count: 0
    .wavefront_size: 64
  - .agpr_count:     0
    .args:
      - .offset:         0
        .size:           4
        .value_kind:     by_value
      - .address_space:  global
        .offset:         8
        .size:           8
        .value_kind:     global_buffer
      - .offset:         16
        .size:           8
        .value_kind:     by_value
      - .offset:         24
        .size:           4
        .value_kind:     hidden_block_count_x
      - .offset:         28
        .size:           4
        .value_kind:     hidden_block_count_y
      - .offset:         32
        .size:           4
        .value_kind:     hidden_block_count_z
      - .offset:         36
        .size:           2
        .value_kind:     hidden_group_size_x
      - .offset:         38
        .size:           2
        .value_kind:     hidden_group_size_y
      - .offset:         40
        .size:           2
        .value_kind:     hidden_group_size_z
      - .offset:         42
        .size:           2
        .value_kind:     hidden_remainder_x
      - .offset:         44
        .size:           2
        .value_kind:     hidden_remainder_y
      - .offset:         46
        .size:           2
        .value_kind:     hidden_remainder_z
      - .offset:         64
        .size:           8
        .value_kind:     hidden_global_offset_x
      - .offset:         72
        .size:           8
        .value_kind:     hidden_global_offset_y
      - .offset:         80
        .size:           8
        .value_kind:     hidden_global_offset_z
      - .offset:         88
        .size:           2
        .value_kind:     hidden_grid_dims
    .group_segment_fixed_size: 0
    .kernarg_segment_align: 8
    .kernarg_segment_size: 280
    .language:       OpenCL C
    .language_version:
      - 2
      - 0
    .max_flat_workgroup_size: 1024
    .name:           _ZN9rocsolver6v33100L6restauIfEEviPT_l
    .private_segment_fixed_size: 0
    .sgpr_count:     12
    .sgpr_spill_count: 0
    .symbol:         _ZN9rocsolver6v33100L6restauIfEEviPT_l.kd
    .uniform_work_group_size: 1
    .uses_dynamic_stack: false
    .vgpr_count:     3
    .vgpr_spill_count: 0
    .wavefront_size: 64
  - .agpr_count:     0
    .args:
      - .offset:         0
        .size:           4
        .value_kind:     by_value
      - .offset:         4
        .size:           4
        .value_kind:     by_value
      - .address_space:  global
        .offset:         8
        .size:           8
        .value_kind:     global_buffer
      - .offset:         16
        .size:           4
        .value_kind:     by_value
      - .offset:         20
        .size:           4
        .value_kind:     by_value
      - .offset:         24
        .size:           8
        .value_kind:     by_value
      - .offset:         32
        .size:           4
        .value_kind:     by_value
      - .offset:         40
        .size:           4
        .value_kind:     hidden_block_count_x
      - .offset:         44
        .size:           4
        .value_kind:     hidden_block_count_y
      - .offset:         48
        .size:           4
        .value_kind:     hidden_block_count_z
      - .offset:         52
        .size:           2
        .value_kind:     hidden_group_size_x
      - .offset:         54
        .size:           2
        .value_kind:     hidden_group_size_y
      - .offset:         56
        .size:           2
        .value_kind:     hidden_group_size_z
      - .offset:         58
        .size:           2
        .value_kind:     hidden_remainder_x
      - .offset:         60
        .size:           2
        .value_kind:     hidden_remainder_y
      - .offset:         62
        .size:           2
        .value_kind:     hidden_remainder_z
      - .offset:         80
        .size:           8
        .value_kind:     hidden_global_offset_x
      - .offset:         88
        .size:           8
        .value_kind:     hidden_global_offset_y
      - .offset:         96
        .size:           8
        .value_kind:     hidden_global_offset_z
      - .offset:         104
        .size:           2
        .value_kind:     hidden_grid_dims
    .group_segment_fixed_size: 0
    .kernarg_segment_align: 8
    .kernarg_segment_size: 296
    .language:       OpenCL C
    .language_version:
      - 2
      - 0
    .max_flat_workgroup_size: 1024
    .name:           _ZN9rocsolver6v33100L8set_zeroIfPfEEviiT0_iil13rocblas_fill_
    .private_segment_fixed_size: 0
    .sgpr_count:     13
    .sgpr_spill_count: 0
    .symbol:         _ZN9rocsolver6v33100L8set_zeroIfPfEEviiT0_iil13rocblas_fill_.kd
    .uniform_work_group_size: 1
    .uses_dynamic_stack: false
    .vgpr_count:     4
    .vgpr_spill_count: 0
    .wavefront_size: 64
  - .agpr_count:     0
    .args:
      - .offset:         0
        .size:           4
        .value_kind:     by_value
      - .offset:         4
        .size:           4
        .value_kind:     by_value
      - .offset:         8
        .size:           4
        .value_kind:     by_value
      - .address_space:  global
        .offset:         16
        .size:           8
        .value_kind:     global_buffer
      - .offset:         24
        .size:           4
        .value_kind:     by_value
      - .offset:         28
        .size:           4
        .value_kind:     by_value
      - .offset:         32
        .size:           8
        .value_kind:     by_value
      - .address_space:  global
        .offset:         40
        .size:           8
        .value_kind:     global_buffer
      - .offset:         48
        .size:           4
        .value_kind:     by_value
      - .offset:         52
        .size:           4
        .value_kind:     by_value
      - .offset:         56
        .size:           8
        .value_kind:     by_value
      - .offset:         64
        .size:           1
        .value_kind:     by_value
      - .offset:         68
        .size:           4
        .value_kind:     by_value
      - .offset:         72
        .size:           4
        .value_kind:     by_value
      - .offset:         80
        .size:           4
        .value_kind:     hidden_block_count_x
      - .offset:         84
        .size:           4
        .value_kind:     hidden_block_count_y
      - .offset:         88
        .size:           4
        .value_kind:     hidden_block_count_z
      - .offset:         92
        .size:           2
        .value_kind:     hidden_group_size_x
      - .offset:         94
        .size:           2
        .value_kind:     hidden_group_size_y
      - .offset:         96
        .size:           2
        .value_kind:     hidden_group_size_z
      - .offset:         98
        .size:           2
        .value_kind:     hidden_remainder_x
      - .offset:         100
        .size:           2
        .value_kind:     hidden_remainder_y
      - .offset:         102
        .size:           2
        .value_kind:     hidden_remainder_z
      - .offset:         120
        .size:           8
        .value_kind:     hidden_global_offset_x
      - .offset:         128
        .size:           8
        .value_kind:     hidden_global_offset_y
      - .offset:         136
        .size:           8
        .value_kind:     hidden_global_offset_z
      - .offset:         144
        .size:           2
        .value_kind:     hidden_grid_dims
    .group_segment_fixed_size: 0
    .kernarg_segment_align: 8
    .kernarg_segment_size: 336
    .language:       OpenCL C
    .language_version:
      - 2
      - 0
    .max_flat_workgroup_size: 1024
    .name:           _ZN9rocsolver6v33100L14copy_trans_matIffPfS2_NS0_7no_maskEEEv18rocblas_operation_iiT1_iilT2_iilT3_13rocblas_fill_17rocblas_diagonal_
    .private_segment_fixed_size: 0
    .sgpr_count:     28
    .sgpr_spill_count: 0
    .symbol:         _ZN9rocsolver6v33100L14copy_trans_matIffPfS2_NS0_7no_maskEEEv18rocblas_operation_iiT1_iilT2_iilT3_13rocblas_fill_17rocblas_diagonal_.kd
    .uniform_work_group_size: 1
    .uses_dynamic_stack: false
    .vgpr_count:     6
    .vgpr_spill_count: 0
    .wavefront_size: 64
  - .agpr_count:     0
    .args:
      - .offset:         0
        .size:           4
        .value_kind:     by_value
      - .offset:         4
        .size:           4
        .value_kind:     by_value
      - .offset:         8
        .size:           4
        .value_kind:     by_value
      - .address_space:  global
        .offset:         16
        .size:           8
        .value_kind:     global_buffer
      - .offset:         24
        .size:           4
        .value_kind:     by_value
      - .offset:         28
        .size:           4
        .value_kind:     by_value
      - .offset:         32
        .size:           8
        .value_kind:     by_value
      - .offset:         40
        .size:           4
        .value_kind:     hidden_block_count_x
      - .offset:         44
        .size:           4
        .value_kind:     hidden_block_count_y
      - .offset:         48
        .size:           4
        .value_kind:     hidden_block_count_z
      - .offset:         52
        .size:           2
        .value_kind:     hidden_group_size_x
      - .offset:         54
        .size:           2
        .value_kind:     hidden_group_size_y
      - .offset:         56
        .size:           2
        .value_kind:     hidden_group_size_z
      - .offset:         58
        .size:           2
        .value_kind:     hidden_remainder_x
      - .offset:         60
        .size:           2
        .value_kind:     hidden_remainder_y
      - .offset:         62
        .size:           2
        .value_kind:     hidden_remainder_z
      - .offset:         80
        .size:           8
        .value_kind:     hidden_global_offset_x
      - .offset:         88
        .size:           8
        .value_kind:     hidden_global_offset_y
      - .offset:         96
        .size:           8
        .value_kind:     hidden_global_offset_z
      - .offset:         104
        .size:           2
        .value_kind:     hidden_grid_dims
    .group_segment_fixed_size: 0
    .kernarg_segment_align: 8
    .kernarg_segment_size: 296
    .language:       OpenCL C
    .language_version:
      - 2
      - 0
    .max_flat_workgroup_size: 1024
    .name:           _ZN9rocsolver6v33100L16orgl2_init_identIfPfEEviiiT0_iil
    .private_segment_fixed_size: 0
    .sgpr_count:     20
    .sgpr_spill_count: 0
    .symbol:         _ZN9rocsolver6v33100L16orgl2_init_identIfPfEEviiiT0_iil.kd
    .uniform_work_group_size: 1
    .uses_dynamic_stack: false
    .vgpr_count:     6
    .vgpr_spill_count: 0
    .wavefront_size: 64
  - .agpr_count:     0
    .args:
      - .address_space:  global
        .offset:         0
        .size:           8
        .value_kind:     global_buffer
      - .offset:         8
        .size:           4
        .value_kind:     by_value
      - .offset:         16
        .size:           8
        .value_kind:     by_value
    .group_segment_fixed_size: 0
    .kernarg_segment_align: 8
    .kernarg_segment_size: 24
    .language:       OpenCL C
    .language_version:
      - 2
      - 0
    .max_flat_workgroup_size: 32
    .name:           _ZN9rocsolver6v33100L6iota_nIdEEvPT_jS2_
    .private_segment_fixed_size: 0
    .sgpr_count:     10
    .sgpr_spill_count: 0
    .symbol:         _ZN9rocsolver6v33100L6iota_nIdEEvPT_jS2_.kd
    .uniform_work_group_size: 1
    .uses_dynamic_stack: false
    .vgpr_count:     3
    .vgpr_spill_count: 0
    .wavefront_size: 64
  - .agpr_count:     0
    .args:
      - .offset:         0
        .size:           4
        .value_kind:     by_value
      - .address_space:  global
        .offset:         8
        .size:           8
        .value_kind:     global_buffer
      - .offset:         16
        .size:           8
        .value_kind:     by_value
      - .address_space:  global
        .offset:         24
        .size:           8
        .value_kind:     global_buffer
      - .offset:         32
        .size:           8
        .value_kind:     by_value
      - .offset:         40
        .size:           4
        .value_kind:     by_value
      - .offset:         48
        .size:           4
        .value_kind:     hidden_block_count_x
      - .offset:         52
        .size:           4
        .value_kind:     hidden_block_count_y
      - .offset:         56
        .size:           4
        .value_kind:     hidden_block_count_z
      - .offset:         60
        .size:           2
        .value_kind:     hidden_group_size_x
      - .offset:         62
        .size:           2
        .value_kind:     hidden_group_size_y
      - .offset:         64
        .size:           2
        .value_kind:     hidden_group_size_z
      - .offset:         66
        .size:           2
        .value_kind:     hidden_remainder_x
      - .offset:         68
        .size:           2
        .value_kind:     hidden_remainder_y
      - .offset:         70
        .size:           2
        .value_kind:     hidden_remainder_z
      - .offset:         88
        .size:           8
        .value_kind:     hidden_global_offset_x
      - .offset:         96
        .size:           8
        .value_kind:     hidden_global_offset_y
      - .offset:         104
        .size:           8
        .value_kind:     hidden_global_offset_z
      - .offset:         112
        .size:           2
        .value_kind:     hidden_grid_dims
    .group_segment_fixed_size: 0
    .kernarg_segment_align: 8
    .kernarg_segment_size: 304
    .language:       OpenCL C
    .language_version:
      - 2
      - 0
    .max_flat_workgroup_size: 1024
    .name:           _ZN9rocsolver6v33100L16syev_scalar_caseIdPdTnNSt9enable_ifIXnt18rocblas_is_complexIT_EEiE4typeELi0EEEv14rocblas_evect_T0_lPS4_li
    .private_segment_fixed_size: 0
    .sgpr_count:     20
    .sgpr_spill_count: 0
    .symbol:         _ZN9rocsolver6v33100L16syev_scalar_caseIdPdTnNSt9enable_ifIXnt18rocblas_is_complexIT_EEiE4typeELi0EEEv14rocblas_evect_T0_lPS4_li.kd
    .uniform_work_group_size: 1
    .uses_dynamic_stack: false
    .vgpr_count:     8
    .vgpr_spill_count: 0
    .wavefront_size: 64
  - .agpr_count:     0
    .args:
      - .offset:         0
        .size:           4
        .value_kind:     by_value
      - .address_space:  global
        .offset:         8
        .size:           8
        .value_kind:     global_buffer
      - .offset:         16
        .size:           8
        .value_kind:     by_value
      - .offset:         24
        .size:           4
        .value_kind:     by_value
      - .offset:         32
        .size:           8
        .value_kind:     by_value
      - .address_space:  global
        .offset:         40
        .size:           8
        .value_kind:     global_buffer
      - .offset:         48
        .size:           8
        .value_kind:     by_value
      - .address_space:  global
        .offset:         56
        .size:           8
        .value_kind:     global_buffer
      - .offset:         64
        .size:           8
        .value_kind:     by_value
      - .address_space:  global
        .offset:         72
        .size:           8
        .value_kind:     global_buffer
      - .offset:         80
        .size:           8
        .value_kind:     by_value
    .group_segment_fixed_size: 0
    .kernarg_segment_align: 8
    .kernarg_segment_size: 88
    .language:       OpenCL C
    .language_version:
      - 2
      - 0
    .max_flat_workgroup_size: 256
    .name:           _ZN9rocsolver6v33100L24sytd2_lower_kernel_smallILi256EdidPdEEvT1_T3_lS3_lPT2_lS6_lPT0_l
    .private_segment_fixed_size: 0
    .sgpr_count:     55
    .sgpr_spill_count: 0
    .symbol:         _ZN9rocsolver6v33100L24sytd2_lower_kernel_smallILi256EdidPdEEvT1_T3_lS3_lPT2_lS6_lPT0_l.kd
    .uniform_work_group_size: 1
    .uses_dynamic_stack: false
    .vgpr_count:     38
    .vgpr_spill_count: 0
    .wavefront_size: 64
  - .agpr_count:     0
    .args:
      - .address_space:  global
        .offset:         0
        .size:           8
        .value_kind:     global_buffer
      - .offset:         8
        .size:           8
        .value_kind:     by_value
      - .offset:         16
        .size:           4
        .value_kind:     by_value
      - .offset:         20
        .size:           4
        .value_kind:     by_value
      - .offset:         24
        .size:           4
        .value_kind:     hidden_block_count_x
      - .offset:         28
        .size:           4
        .value_kind:     hidden_block_count_y
      - .offset:         32
        .size:           4
        .value_kind:     hidden_block_count_z
      - .offset:         36
        .size:           2
        .value_kind:     hidden_group_size_x
      - .offset:         38
        .size:           2
        .value_kind:     hidden_group_size_y
      - .offset:         40
        .size:           2
        .value_kind:     hidden_group_size_z
      - .offset:         42
        .size:           2
        .value_kind:     hidden_remainder_x
      - .offset:         44
        .size:           2
        .value_kind:     hidden_remainder_y
      - .offset:         46
        .size:           2
        .value_kind:     hidden_remainder_z
      - .offset:         64
        .size:           8
        .value_kind:     hidden_global_offset_x
      - .offset:         72
        .size:           8
        .value_kind:     hidden_global_offset_y
      - .offset:         80
        .size:           8
        .value_kind:     hidden_global_offset_z
      - .offset:         88
        .size:           2
        .value_kind:     hidden_grid_dims
    .group_segment_fixed_size: 0
    .kernarg_segment_align: 8
    .kernarg_segment_size: 280
    .language:       OpenCL C
    .language_version:
      - 2
      - 0
    .max_flat_workgroup_size: 1024
    .name:           _ZN9rocsolver6v33100L16reset_batch_infoIdiiPdEEvT2_lT0_T1_
    .private_segment_fixed_size: 0
    .sgpr_count:     16
    .sgpr_spill_count: 0
    .symbol:         _ZN9rocsolver6v33100L16reset_batch_infoIdiiPdEEvT2_lT0_T1_.kd
    .uniform_work_group_size: 1
    .uses_dynamic_stack: false
    .vgpr_count:     4
    .vgpr_spill_count: 0
    .wavefront_size: 64
  - .agpr_count:     0
    .args:
      - .address_space:  global
        .offset:         0
        .size:           8
        .value_kind:     global_buffer
      - .offset:         8
        .size:           8
        .value_kind:     by_value
      - .offset:         16
        .size:           8
        .value_kind:     by_value
      - .address_space:  global
        .offset:         24
        .size:           8
        .value_kind:     global_buffer
      - .offset:         32
        .size:           8
        .value_kind:     by_value
      - .offset:         40
        .size:           4
        .value_kind:     by_value
      - .offset:         48
        .size:           8
        .value_kind:     by_value
      - .offset:         56
        .size:           4
        .value_kind:     by_value
      - .offset:         60
        .size:           1
        .value_kind:     by_value
      - .offset:         64
        .size:           4
        .value_kind:     hidden_block_count_x
      - .offset:         68
        .size:           4
        .value_kind:     hidden_block_count_y
      - .offset:         72
        .size:           4
        .value_kind:     hidden_block_count_z
      - .offset:         76
        .size:           2
        .value_kind:     hidden_group_size_x
      - .offset:         78
        .size:           2
        .value_kind:     hidden_group_size_y
      - .offset:         80
        .size:           2
        .value_kind:     hidden_group_size_z
      - .offset:         82
        .size:           2
        .value_kind:     hidden_remainder_x
      - .offset:         84
        .size:           2
        .value_kind:     hidden_remainder_y
      - .offset:         86
        .size:           2
        .value_kind:     hidden_remainder_z
      - .offset:         104
        .size:           8
        .value_kind:     hidden_global_offset_x
      - .offset:         112
        .size:           8
        .value_kind:     hidden_global_offset_y
      - .offset:         120
        .size:           8
        .value_kind:     hidden_global_offset_z
      - .offset:         128
        .size:           2
        .value_kind:     hidden_grid_dims
    .group_segment_fixed_size: 0
    .kernarg_segment_align: 8
    .kernarg_segment_size: 320
    .language:       OpenCL C
    .language_version:
      - 2
      - 0
    .max_flat_workgroup_size: 1024
    .name:           _ZN9rocsolver6v33100L8set_diagIdidPdTnNSt9enable_ifIXoont18rocblas_is_complexIT_E18rocblas_is_complexIT1_EEiE4typeELi0EEEvPS5_llT2_lT0_lSA_b
    .private_segment_fixed_size: 0
    .sgpr_count:     22
    .sgpr_spill_count: 0
    .symbol:         _ZN9rocsolver6v33100L8set_diagIdidPdTnNSt9enable_ifIXoont18rocblas_is_complexIT_E18rocblas_is_complexIT1_EEiE4typeELi0EEEvPS5_llT2_lT0_lSA_b.kd
    .uniform_work_group_size: 1
    .uses_dynamic_stack: false
    .vgpr_count:     8
    .vgpr_spill_count: 0
    .wavefront_size: 64
  - .agpr_count:     0
    .args:
      - .address_space:  global
        .offset:         0
        .size:           8
        .value_kind:     global_buffer
      - .offset:         8
        .size:           8
        .value_kind:     by_value
      - .address_space:  global
        .offset:         16
        .size:           8
        .value_kind:     global_buffer
      - .address_space:  global
        .offset:         24
        .size:           8
        .value_kind:     global_buffer
      - .offset:         32
        .size:           8
        .value_kind:     by_value
      - .offset:         40
        .size:           8
        .value_kind:     by_value
      - .address_space:  global
        .offset:         48
        .size:           8
        .value_kind:     global_buffer
      - .offset:         56
        .size:           8
        .value_kind:     by_value
      - .offset:         64
        .size:           8
        .value_kind:     by_value
    .group_segment_fixed_size: 0
    .kernarg_segment_align: 8
    .kernarg_segment_size: 72
    .language:       OpenCL C
    .language_version:
      - 2
      - 0
    .max_flat_workgroup_size: 1024
    .name:           _ZN9rocsolver6v33100L11set_taubetaIdidPdEEvPT_lS4_T2_llPT1_ll
    .private_segment_fixed_size: 0
    .sgpr_count:     30
    .sgpr_spill_count: 0
    .symbol:         _ZN9rocsolver6v33100L11set_taubetaIdidPdEEvPT_lS4_T2_llPT1_ll.kd
    .uniform_work_group_size: 1
    .uses_dynamic_stack: false
    .vgpr_count:     13
    .vgpr_spill_count: 0
    .wavefront_size: 64
  - .agpr_count:     0
    .args:
      - .offset:         0
        .size:           4
        .value_kind:     by_value
      - .address_space:  global
        .offset:         8
        .size:           8
        .value_kind:     global_buffer
      - .offset:         16
        .size:           8
        .value_kind:     by_value
      - .offset:         24
        .size:           8
        .value_kind:     by_value
      - .address_space:  global
        .offset:         32
        .size:           8
        .value_kind:     global_buffer
      - .offset:         40
        .size:           8
        .value_kind:     by_value
      - .offset:         48
        .size:           8
        .value_kind:     by_value
      - .address_space:  global
        .offset:         56
        .size:           8
        .value_kind:     global_buffer
      - .offset:         64
        .size:           8
        .value_kind:     by_value
    .group_segment_fixed_size: 1032
    .kernarg_segment_align: 8
    .kernarg_segment_size: 72
    .language:       OpenCL C
    .language_version:
      - 2
      - 0
    .max_flat_workgroup_size: 64
    .name:           _ZN9rocsolver6v33100L20latrd_dot_scale_axpyILi64EdiPdEEvT1_T2_llPT0_llS6_l
    .private_segment_fixed_size: 0
    .sgpr_count:     38
    .sgpr_spill_count: 0
    .symbol:         _ZN9rocsolver6v33100L20latrd_dot_scale_axpyILi64EdiPdEEvT1_T2_llPT0_llS6_l.kd
    .uniform_work_group_size: 1
    .uses_dynamic_stack: false
    .vgpr_count:     14
    .vgpr_spill_count: 0
    .wavefront_size: 64
  - .agpr_count:     0
    .args:
      - .offset:         0
        .size:           4
        .value_kind:     by_value
      - .address_space:  global
        .offset:         8
        .size:           8
        .value_kind:     global_buffer
      - .address_space:  global
        .offset:         16
        .size:           8
        .value_kind:     global_buffer
      - .offset:         24
        .size:           8
        .value_kind:     by_value
      - .offset:         32
        .size:           4
        .value_kind:     hidden_block_count_x
      - .offset:         36
        .size:           4
        .value_kind:     hidden_block_count_y
      - .offset:         40
        .size:           4
        .value_kind:     hidden_block_count_z
      - .offset:         44
        .size:           2
        .value_kind:     hidden_group_size_x
      - .offset:         46
        .size:           2
        .value_kind:     hidden_group_size_y
      - .offset:         48
        .size:           2
        .value_kind:     hidden_group_size_z
      - .offset:         50
        .size:           2
        .value_kind:     hidden_remainder_x
      - .offset:         52
        .size:           2
        .value_kind:     hidden_remainder_y
      - .offset:         54
        .size:           2
        .value_kind:     hidden_remainder_z
      - .offset:         72
        .size:           8
        .value_kind:     hidden_global_offset_x
      - .offset:         80
        .size:           8
        .value_kind:     hidden_global_offset_y
      - .offset:         88
        .size:           8
        .value_kind:     hidden_global_offset_z
      - .offset:         96
        .size:           2
        .value_kind:     hidden_grid_dims
    .group_segment_fixed_size: 0
    .kernarg_segment_align: 8
    .kernarg_segment_size: 288
    .language:       OpenCL C
    .language_version:
      - 2
      - 0
    .max_flat_workgroup_size: 1024
    .name:           _ZN9rocsolver6v33100L7set_tauIdEEviPT_S3_l
    .private_segment_fixed_size: 0
    .sgpr_count:     12
    .sgpr_spill_count: 0
    .symbol:         _ZN9rocsolver6v33100L7set_tauIdEEviPT_S3_l.kd
    .uniform_work_group_size: 1
    .uses_dynamic_stack: false
    .vgpr_count:     6
    .vgpr_spill_count: 0
    .wavefront_size: 64
  - .agpr_count:     0
    .args:
      - .offset:         0
        .size:           4
        .value_kind:     by_value
      - .address_space:  global
        .offset:         8
        .size:           8
        .value_kind:     global_buffer
      - .offset:         16
        .size:           8
        .value_kind:     by_value
      - .offset:         24
        .size:           4
        .value_kind:     by_value
      - .offset:         32
        .size:           8
        .value_kind:     by_value
      - .address_space:  global
        .offset:         40
        .size:           8
        .value_kind:     global_buffer
      - .offset:         48
        .size:           8
        .value_kind:     by_value
      - .address_space:  global
        .offset:         56
        .size:           8
        .value_kind:     global_buffer
      - .offset:         64
        .size:           8
        .value_kind:     by_value
      - .address_space:  global
        .offset:         72
        .size:           8
        .value_kind:     global_buffer
      - .offset:         80
        .size:           8
        .value_kind:     by_value
    .group_segment_fixed_size: 0
    .kernarg_segment_align: 8
    .kernarg_segment_size: 88
    .language:       OpenCL C
    .language_version:
      - 2
      - 0
    .max_flat_workgroup_size: 256
    .name:           _ZN9rocsolver6v33100L24sytd2_upper_kernel_smallILi256EdidPdEEvT1_T3_lS3_lPT2_lS6_lPT0_l
    .private_segment_fixed_size: 0
    .sgpr_count:     53
    .sgpr_spill_count: 0
    .symbol:         _ZN9rocsolver6v33100L24sytd2_upper_kernel_smallILi256EdidPdEEvT1_T3_lS3_lPT2_lS6_lPT0_l.kd
    .uniform_work_group_size: 1
    .uses_dynamic_stack: false
    .vgpr_count:     38
    .vgpr_spill_count: 0
    .wavefront_size: 64
  - .agpr_count:     0
    .args:
      - .offset:         0
        .size:           4
        .value_kind:     by_value
      - .offset:         4
        .size:           4
        .value_kind:     by_value
      - .offset:         8
        .size:           4
        .value_kind:     by_value
      - .address_space:  global
        .offset:         16
        .size:           8
        .value_kind:     global_buffer
      - .offset:         24
        .size:           4
        .value_kind:     by_value
      - .offset:         28
        .size:           4
        .value_kind:     by_value
      - .offset:         32
        .size:           8
        .value_kind:     by_value
      - .address_space:  global
        .offset:         40
        .size:           8
        .value_kind:     global_buffer
      - .offset:         48
        .size:           1
        .value_kind:     by_value
      - .offset:         52
        .size:           4
        .value_kind:     by_value
      - .offset:         56
        .size:           4
        .value_kind:     by_value
      - .offset:         64
        .size:           4
        .value_kind:     hidden_block_count_x
      - .offset:         68
        .size:           4
        .value_kind:     hidden_block_count_y
      - .offset:         72
        .size:           4
        .value_kind:     hidden_block_count_z
      - .offset:         76
        .size:           2
        .value_kind:     hidden_group_size_x
      - .offset:         78
        .size:           2
        .value_kind:     hidden_group_size_y
      - .offset:         80
        .size:           2
        .value_kind:     hidden_group_size_z
      - .offset:         82
        .size:           2
        .value_kind:     hidden_remainder_x
      - .offset:         84
        .size:           2
        .value_kind:     hidden_remainder_y
      - .offset:         86
        .size:           2
        .value_kind:     hidden_remainder_z
      - .offset:         104
        .size:           8
        .value_kind:     hidden_global_offset_x
      - .offset:         112
        .size:           8
        .value_kind:     hidden_global_offset_y
      - .offset:         120
        .size:           8
        .value_kind:     hidden_global_offset_z
      - .offset:         128
        .size:           2
        .value_kind:     hidden_grid_dims
    .group_segment_fixed_size: 0
    .kernarg_segment_align: 8
    .kernarg_segment_size: 320
    .language:       OpenCL C
    .language_version:
      - 2
      - 0
    .max_flat_workgroup_size: 1024
    .name:           _ZN9rocsolver6v33100L8copy_matIdPdNS0_7no_maskEEEvNS0_17copymat_directionEiiT0_iilPT_T1_13rocblas_fill_17rocblas_diagonal_
    .private_segment_fixed_size: 0
    .sgpr_count:     22
    .sgpr_spill_count: 0
    .symbol:         _ZN9rocsolver6v33100L8copy_matIdPdNS0_7no_maskEEEvNS0_17copymat_directionEiiT0_iilPT_T1_13rocblas_fill_17rocblas_diagonal_.kd
    .uniform_work_group_size: 1
    .uses_dynamic_stack: false
    .vgpr_count:     6
    .vgpr_spill_count: 0
    .wavefront_size: 64
  - .agpr_count:     0
    .args:
      - .offset:         0
        .size:           4
        .value_kind:     by_value
      - .offset:         4
        .size:           4
        .value_kind:     by_value
      - .address_space:  global
        .offset:         8
        .size:           8
        .value_kind:     global_buffer
      - .offset:         16
        .size:           4
        .value_kind:     by_value
      - .offset:         20
        .size:           4
        .value_kind:     by_value
      - .offset:         24
        .size:           8
        .value_kind:     by_value
      - .address_space:  global
        .offset:         32
        .size:           8
        .value_kind:     global_buffer
      - .offset:         40
        .size:           4
        .value_kind:     by_value
      - .offset:         44
        .size:           4
        .value_kind:     by_value
      - .offset:         48
        .size:           8
        .value_kind:     by_value
      - .offset:         56
        .size:           4
        .value_kind:     hidden_block_count_x
      - .offset:         60
        .size:           4
        .value_kind:     hidden_block_count_y
      - .offset:         64
        .size:           4
        .value_kind:     hidden_block_count_z
      - .offset:         68
        .size:           2
        .value_kind:     hidden_group_size_x
      - .offset:         70
        .size:           2
        .value_kind:     hidden_group_size_y
      - .offset:         72
        .size:           2
        .value_kind:     hidden_group_size_z
      - .offset:         74
        .size:           2
        .value_kind:     hidden_remainder_x
      - .offset:         76
        .size:           2
        .value_kind:     hidden_remainder_y
      - .offset:         78
        .size:           2
        .value_kind:     hidden_remainder_z
      - .offset:         96
        .size:           8
        .value_kind:     hidden_global_offset_x
      - .offset:         104
        .size:           8
        .value_kind:     hidden_global_offset_y
      - .offset:         112
        .size:           8
        .value_kind:     hidden_global_offset_z
      - .offset:         120
        .size:           2
        .value_kind:     hidden_grid_dims
      - .offset:         176
        .size:           4
        .value_kind:     hidden_dynamic_lds_size
    .group_segment_fixed_size: 0
    .kernarg_segment_align: 8
    .kernarg_segment_size: 312
    .language:       OpenCL C
    .language_version:
      - 2
      - 0
    .max_flat_workgroup_size: 1024
    .name:           _ZN9rocsolver6v33100L26latrd_lower_updateA_kernelIdPdEEviiT0_iilPT_iil
    .private_segment_fixed_size: 0
    .sgpr_count:     39
    .sgpr_spill_count: 0
    .symbol:         _ZN9rocsolver6v33100L26latrd_lower_updateA_kernelIdPdEEviiT0_iilPT_iil.kd
    .uniform_work_group_size: 1
    .uses_dynamic_stack: false
    .vgpr_count:     30
    .vgpr_spill_count: 0
    .wavefront_size: 64
  - .agpr_count:     0
    .args:
      - .offset:         0
        .size:           4
        .value_kind:     by_value
      - .offset:         4
        .size:           4
        .value_kind:     by_value
      - .address_space:  global
        .offset:         8
        .size:           8
        .value_kind:     global_buffer
      - .offset:         16
        .size:           4
        .value_kind:     by_value
      - .offset:         20
        .size:           4
        .value_kind:     by_value
      - .offset:         24
        .size:           8
        .value_kind:     by_value
      - .address_space:  global
        .offset:         32
        .size:           8
        .value_kind:     global_buffer
      - .offset:         40
        .size:           4
        .value_kind:     by_value
      - .offset:         44
        .size:           4
        .value_kind:     by_value
      - .offset:         48
        .size:           8
        .value_kind:     by_value
      - .address_space:  global
        .offset:         56
        .size:           8
        .value_kind:     global_buffer
      - .offset:         64
        .size:           4
        .value_kind:     by_value
      - .offset:         68
        .size:           4
        .value_kind:     by_value
      - .offset:         72
        .size:           8
        .value_kind:     by_value
      - .address_space:  global
        .offset:         80
        .size:           8
        .value_kind:     global_buffer
      - .offset:         88
        .size:           8
        .value_kind:     by_value
    .group_segment_fixed_size: 2048
    .kernarg_segment_align: 8
    .kernarg_segment_size: 96
    .language:       OpenCL C
    .language_version:
      - 2
      - 0
    .max_flat_workgroup_size: 1024
    .name:           _ZN9rocsolver6v33100L33latrd_lower_computeW_gemvt_kernelILi256EdPdEEviiT1_iilPT0_iilS5_iilS5_l
    .private_segment_fixed_size: 0
    .sgpr_count:     36
    .sgpr_spill_count: 0
    .symbol:         _ZN9rocsolver6v33100L33latrd_lower_computeW_gemvt_kernelILi256EdPdEEviiT1_iilPT0_iilS5_iilS5_l.kd
    .uniform_work_group_size: 1
    .uses_dynamic_stack: false
    .vgpr_count:     14
    .vgpr_spill_count: 0
    .wavefront_size: 64
  - .agpr_count:     0
    .args:
      - .offset:         0
        .size:           4
        .value_kind:     by_value
      - .offset:         4
        .size:           4
        .value_kind:     by_value
      - .address_space:  global
        .offset:         8
        .size:           8
        .value_kind:     global_buffer
      - .offset:         16
        .size:           4
        .value_kind:     by_value
      - .offset:         20
        .size:           4
        .value_kind:     by_value
      - .offset:         24
        .size:           8
        .value_kind:     by_value
      - .address_space:  global
        .offset:         32
        .size:           8
        .value_kind:     global_buffer
      - .offset:         40
        .size:           4
        .value_kind:     by_value
      - .offset:         44
        .size:           4
        .value_kind:     by_value
      - .offset:         48
        .size:           8
        .value_kind:     by_value
      - .address_space:  global
        .offset:         56
        .size:           8
        .value_kind:     global_buffer
      - .offset:         64
        .size:           8
        .value_kind:     by_value
      - .address_space:  global
        .offset:         72
        .size:           8
        .value_kind:     global_buffer
      - .offset:         80
        .size:           8
        .value_kind:     by_value
      - .offset:         88
        .size:           4
        .value_kind:     hidden_block_count_x
      - .offset:         92
        .size:           4
        .value_kind:     hidden_block_count_y
      - .offset:         96
        .size:           4
        .value_kind:     hidden_block_count_z
      - .offset:         100
        .size:           2
        .value_kind:     hidden_group_size_x
      - .offset:         102
        .size:           2
        .value_kind:     hidden_group_size_y
      - .offset:         104
        .size:           2
        .value_kind:     hidden_group_size_z
      - .offset:         106
        .size:           2
        .value_kind:     hidden_remainder_x
      - .offset:         108
        .size:           2
        .value_kind:     hidden_remainder_y
      - .offset:         110
        .size:           2
        .value_kind:     hidden_remainder_z
      - .offset:         128
        .size:           8
        .value_kind:     hidden_global_offset_x
      - .offset:         136
        .size:           8
        .value_kind:     hidden_global_offset_y
      - .offset:         144
        .size:           8
        .value_kind:     hidden_global_offset_z
      - .offset:         152
        .size:           2
        .value_kind:     hidden_grid_dims
      - .offset:         208
        .size:           4
        .value_kind:     hidden_dynamic_lds_size
    .group_segment_fixed_size: 0
    .kernarg_segment_align: 8
    .kernarg_segment_size: 344
    .language:       OpenCL C
    .language_version:
      - 2
      - 0
    .max_flat_workgroup_size: 1024
    .name:           _ZN9rocsolver6v33100L26latrd_lower_updateW_kernelIdPdEEviiT0_iilPT_iilS5_lS5_l
    .private_segment_fixed_size: 0
    .sgpr_count:     45
    .sgpr_spill_count: 0
    .symbol:         _ZN9rocsolver6v33100L26latrd_lower_updateW_kernelIdPdEEviiT0_iilPT_iilS5_lS5_l.kd
    .uniform_work_group_size: 1
    .uses_dynamic_stack: false
    .vgpr_count:     30
    .vgpr_spill_count: 0
    .wavefront_size: 64
  - .agpr_count:     0
    .args:
      - .offset:         0
        .size:           4
        .value_kind:     by_value
      - .address_space:  global
        .offset:         8
        .size:           8
        .value_kind:     global_buffer
      - .offset:         16
        .size:           8
        .value_kind:     by_value
      - .offset:         24
        .size:           8
        .value_kind:     by_value
      - .address_space:  global
        .offset:         32
        .size:           8
        .value_kind:     global_buffer
      - .offset:         40
        .size:           8
        .value_kind:     by_value
      - .offset:         48
        .size:           8
        .value_kind:     by_value
      - .address_space:  global
        .offset:         56
        .size:           8
        .value_kind:     global_buffer
      - .offset:         64
        .size:           8
        .value_kind:     by_value
    .group_segment_fixed_size: 16512
    .kernarg_segment_align: 8
    .kernarg_segment_size: 72
    .language:       OpenCL C
    .language_version:
      - 2
      - 0
    .max_flat_workgroup_size: 1024
    .name:           _ZN9rocsolver6v33100L20latrd_dot_scale_axpyILi1024EdiPdEEvT1_T2_llPT0_llS6_l
    .private_segment_fixed_size: 0
    .sgpr_count:     38
    .sgpr_spill_count: 0
    .symbol:         _ZN9rocsolver6v33100L20latrd_dot_scale_axpyILi1024EdiPdEEvT1_T2_llPT0_llS6_l.kd
    .uniform_work_group_size: 1
    .uses_dynamic_stack: false
    .vgpr_count:     18
    .vgpr_spill_count: 0
    .wavefront_size: 64
  - .agpr_count:     0
    .args:
      - .offset:         0
        .size:           4
        .value_kind:     by_value
      - .offset:         4
        .size:           4
        .value_kind:     by_value
      - .offset:         8
        .size:           4
        .value_kind:     by_value
      - .address_space:  global
        .offset:         16
        .size:           8
        .value_kind:     global_buffer
      - .offset:         24
        .size:           4
        .value_kind:     by_value
      - .offset:         28
        .size:           4
        .value_kind:     by_value
      - .offset:         32
        .size:           8
        .value_kind:     by_value
      - .address_space:  global
        .offset:         40
        .size:           8
        .value_kind:     global_buffer
      - .offset:         48
        .size:           4
        .value_kind:     by_value
      - .offset:         52
        .size:           4
        .value_kind:     by_value
      - .offset:         56
        .size:           8
        .value_kind:     by_value
      - .offset:         64
        .size:           4
        .value_kind:     hidden_block_count_x
      - .offset:         68
        .size:           4
        .value_kind:     hidden_block_count_y
      - .offset:         72
        .size:           4
        .value_kind:     hidden_block_count_z
      - .offset:         76
        .size:           2
        .value_kind:     hidden_group_size_x
      - .offset:         78
        .size:           2
        .value_kind:     hidden_group_size_y
      - .offset:         80
        .size:           2
        .value_kind:     hidden_group_size_z
      - .offset:         82
        .size:           2
        .value_kind:     hidden_remainder_x
      - .offset:         84
        .size:           2
        .value_kind:     hidden_remainder_y
      - .offset:         86
        .size:           2
        .value_kind:     hidden_remainder_z
      - .offset:         104
        .size:           8
        .value_kind:     hidden_global_offset_x
      - .offset:         112
        .size:           8
        .value_kind:     hidden_global_offset_y
      - .offset:         120
        .size:           8
        .value_kind:     hidden_global_offset_z
      - .offset:         128
        .size:           2
        .value_kind:     hidden_grid_dims
      - .offset:         184
        .size:           4
        .value_kind:     hidden_dynamic_lds_size
    .group_segment_fixed_size: 0
    .kernarg_segment_align: 8
    .kernarg_segment_size: 320
    .language:       OpenCL C
    .language_version:
      - 2
      - 0
    .max_flat_workgroup_size: 1024
    .name:           _ZN9rocsolver6v33100L26latrd_upper_updateA_kernelIdPdEEviiiT0_iilPT_iil
    .private_segment_fixed_size: 0
    .sgpr_count:     45
    .sgpr_spill_count: 0
    .symbol:         _ZN9rocsolver6v33100L26latrd_upper_updateA_kernelIdPdEEviiiT0_iilPT_iil.kd
    .uniform_work_group_size: 1
    .uses_dynamic_stack: false
    .vgpr_count:     30
    .vgpr_spill_count: 0
    .wavefront_size: 64
  - .agpr_count:     0
    .args:
      - .offset:         0
        .size:           4
        .value_kind:     by_value
      - .offset:         4
        .size:           4
        .value_kind:     by_value
      - .offset:         8
        .size:           4
        .value_kind:     by_value
      - .address_space:  global
        .offset:         16
        .size:           8
        .value_kind:     global_buffer
      - .offset:         24
        .size:           4
        .value_kind:     by_value
      - .offset:         28
        .size:           4
        .value_kind:     by_value
      - .offset:         32
        .size:           8
        .value_kind:     by_value
      - .address_space:  global
        .offset:         40
        .size:           8
        .value_kind:     global_buffer
      - .offset:         48
        .size:           4
        .value_kind:     by_value
      - .offset:         52
        .size:           4
        .value_kind:     by_value
      - .offset:         56
        .size:           8
        .value_kind:     by_value
      - .address_space:  global
        .offset:         64
        .size:           8
        .value_kind:     global_buffer
      - .offset:         72
        .size:           4
        .value_kind:     by_value
      - .offset:         76
        .size:           4
        .value_kind:     by_value
      - .offset:         80
        .size:           8
        .value_kind:     by_value
      - .address_space:  global
        .offset:         88
        .size:           8
        .value_kind:     global_buffer
      - .offset:         96
        .size:           8
        .value_kind:     by_value
    .group_segment_fixed_size: 2048
    .kernarg_segment_align: 8
    .kernarg_segment_size: 104
    .language:       OpenCL C
    .language_version:
      - 2
      - 0
    .max_flat_workgroup_size: 1024
    .name:           _ZN9rocsolver6v33100L33latrd_upper_computeW_gemvt_kernelILi256EdPdEEviiiT1_iilPT0_iilS5_iilS5_l
    .private_segment_fixed_size: 0
    .sgpr_count:     36
    .sgpr_spill_count: 0
    .symbol:         _ZN9rocsolver6v33100L33latrd_upper_computeW_gemvt_kernelILi256EdPdEEviiiT1_iilPT0_iilS5_iilS5_l.kd
    .uniform_work_group_size: 1
    .uses_dynamic_stack: false
    .vgpr_count:     14
    .vgpr_spill_count: 0
    .wavefront_size: 64
  - .agpr_count:     0
    .args:
      - .offset:         0
        .size:           4
        .value_kind:     by_value
      - .offset:         4
        .size:           4
        .value_kind:     by_value
      - .offset:         8
        .size:           4
        .value_kind:     by_value
      - .address_space:  global
        .offset:         16
        .size:           8
        .value_kind:     global_buffer
      - .offset:         24
        .size:           4
        .value_kind:     by_value
      - .offset:         28
        .size:           4
        .value_kind:     by_value
      - .offset:         32
        .size:           8
        .value_kind:     by_value
      - .address_space:  global
        .offset:         40
        .size:           8
        .value_kind:     global_buffer
      - .offset:         48
        .size:           4
        .value_kind:     by_value
      - .offset:         52
        .size:           4
        .value_kind:     by_value
      - .offset:         56
        .size:           8
        .value_kind:     by_value
      - .address_space:  global
        .offset:         64
        .size:           8
        .value_kind:     global_buffer
      - .offset:         72
        .size:           8
        .value_kind:     by_value
      - .address_space:  global
        .offset:         80
        .size:           8
        .value_kind:     global_buffer
      - .offset:         88
        .size:           8
        .value_kind:     by_value
      - .offset:         96
        .size:           4
        .value_kind:     hidden_block_count_x
      - .offset:         100
        .size:           4
        .value_kind:     hidden_block_count_y
      - .offset:         104
        .size:           4
        .value_kind:     hidden_block_count_z
      - .offset:         108
        .size:           2
        .value_kind:     hidden_group_size_x
      - .offset:         110
        .size:           2
        .value_kind:     hidden_group_size_y
      - .offset:         112
        .size:           2
        .value_kind:     hidden_group_size_z
      - .offset:         114
        .size:           2
        .value_kind:     hidden_remainder_x
      - .offset:         116
        .size:           2
        .value_kind:     hidden_remainder_y
      - .offset:         118
        .size:           2
        .value_kind:     hidden_remainder_z
      - .offset:         136
        .size:           8
        .value_kind:     hidden_global_offset_x
      - .offset:         144
        .size:           8
        .value_kind:     hidden_global_offset_y
      - .offset:         152
        .size:           8
        .value_kind:     hidden_global_offset_z
      - .offset:         160
        .size:           2
        .value_kind:     hidden_grid_dims
      - .offset:         216
        .size:           4
        .value_kind:     hidden_dynamic_lds_size
    .group_segment_fixed_size: 0
    .kernarg_segment_align: 8
    .kernarg_segment_size: 352
    .language:       OpenCL C
    .language_version:
      - 2
      - 0
    .max_flat_workgroup_size: 1024
    .name:           _ZN9rocsolver6v33100L26latrd_upper_updateW_kernelIdPdEEviiiT0_iilPT_iilS5_lS5_l
    .private_segment_fixed_size: 0
    .sgpr_count:     45
    .sgpr_spill_count: 0
    .symbol:         _ZN9rocsolver6v33100L26latrd_upper_updateW_kernelIdPdEEviiiT0_iilPT_iilS5_lS5_l.kd
    .uniform_work_group_size: 1
    .uses_dynamic_stack: false
    .vgpr_count:     30
    .vgpr_spill_count: 0
    .wavefront_size: 64
  - .agpr_count:     0
    .args:
      - .offset:         0
        .size:           4
        .value_kind:     by_value
      - .offset:         4
        .size:           4
        .value_kind:     by_value
      - .address_space:  global
        .offset:         8
        .size:           8
        .value_kind:     global_buffer
      - .offset:         16
        .size:           4
        .value_kind:     by_value
      - .offset:         20
        .size:           4
        .value_kind:     by_value
      - .offset:         24
        .size:           8
        .value_kind:     by_value
      - .address_space:  global
        .offset:         32
        .size:           8
        .value_kind:     global_buffer
      - .offset:         40
        .size:           8
        .value_kind:     by_value
      - .address_space:  global
        .offset:         48
        .size:           8
        .value_kind:     global_buffer
      - .offset:         56
        .size:           8
        .value_kind:     by_value
      - .offset:         64
        .size:           4
        .value_kind:     hidden_block_count_x
      - .offset:         68
        .size:           4
        .value_kind:     hidden_block_count_y
      - .offset:         72
        .size:           4
        .value_kind:     hidden_block_count_z
      - .offset:         76
        .size:           2
        .value_kind:     hidden_group_size_x
      - .offset:         78
        .size:           2
        .value_kind:     hidden_group_size_y
      - .offset:         80
        .size:           2
        .value_kind:     hidden_group_size_z
      - .offset:         82
        .size:           2
        .value_kind:     hidden_remainder_x
      - .offset:         84
        .size:           2
        .value_kind:     hidden_remainder_y
      - .offset:         86
        .size:           2
        .value_kind:     hidden_remainder_z
      - .offset:         104
        .size:           8
        .value_kind:     hidden_global_offset_x
      - .offset:         112
        .size:           8
        .value_kind:     hidden_global_offset_y
      - .offset:         120
        .size:           8
        .value_kind:     hidden_global_offset_z
      - .offset:         128
        .size:           2
        .value_kind:     hidden_grid_dims
    .group_segment_fixed_size: 0
    .kernarg_segment_align: 8
    .kernarg_segment_size: 320
    .language:       OpenCL C
    .language_version:
      - 2
      - 0
    .max_flat_workgroup_size: 1024
    .name:           _ZN9rocsolver6v33100L11set_tridiagIddPdTnNSt9enable_ifIXnt18rocblas_is_complexIT_EEiE4typeELi0EEEv13rocblas_fill_iT1_iilPT0_lSA_l
    .private_segment_fixed_size: 0
    .sgpr_count:     26
    .sgpr_spill_count: 0
    .symbol:         _ZN9rocsolver6v33100L11set_tridiagIddPdTnNSt9enable_ifIXnt18rocblas_is_complexIT_EEiE4typeELi0EEEv13rocblas_fill_iT1_iilPT0_lSA_l.kd
    .uniform_work_group_size: 1
    .uses_dynamic_stack: false
    .vgpr_count:     10
    .vgpr_spill_count: 0
    .wavefront_size: 64
  - .agpr_count:     0
    .args:
      - .offset:         0
        .size:           4
        .value_kind:     by_value
      - .address_space:  global
        .offset:         8
        .size:           8
        .value_kind:     global_buffer
      - .offset:         16
        .size:           8
        .value_kind:     by_value
      - .address_space:  global
        .offset:         24
        .size:           8
        .value_kind:     global_buffer
      - .offset:         32
        .size:           8
        .value_kind:     by_value
      - .address_space:  global
        .offset:         40
        .size:           8
        .value_kind:     global_buffer
      - .address_space:  global
        .offset:         48
        .size:           8
        .value_kind:     global_buffer
      - .offset:         56
        .size:           4
        .value_kind:     by_value
      - .offset:         64
        .size:           8
        .value_kind:     by_value
      - .offset:         72
        .size:           8
        .value_kind:     by_value
      - .offset:         80
        .size:           8
        .value_kind:     by_value
    .group_segment_fixed_size: 0
    .kernarg_segment_align: 8
    .kernarg_segment_size: 88
    .language:       OpenCL C
    .language_version:
      - 2
      - 0
    .max_flat_workgroup_size: 1024
    .name:           _ZN9rocsolver6v33100L12sterf_kernelIdEEviPT_lS3_lPiS4_iS2_S2_S2_
    .private_segment_fixed_size: 0
    .sgpr_count:     82
    .sgpr_spill_count: 0
    .symbol:         _ZN9rocsolver6v33100L12sterf_kernelIdEEviPT_lS3_lPiS4_iS2_S2_S2_.kd
    .uniform_work_group_size: 1
    .uses_dynamic_stack: false
    .vgpr_count:     40
    .vgpr_spill_count: 0
    .wavefront_size: 64
  - .agpr_count:     0
    .args:
      - .offset:         0
        .size:           4
        .value_kind:     by_value
      - .offset:         4
        .size:           4
        .value_kind:     by_value
      - .offset:         8
        .size:           4
        .value_kind:     by_value
      - .offset:         12
        .size:           4
        .value_kind:     by_value
      - .offset:         16
        .size:           4
        .value_kind:     by_value
      - .address_space:  global
        .offset:         24
        .size:           8
        .value_kind:     global_buffer
      - .offset:         32
        .size:           8
        .value_kind:     by_value
      - .address_space:  global
        .offset:         40
        .size:           8
        .value_kind:     global_buffer
      - .offset:         48
        .size:           8
        .value_kind:     by_value
      - .address_space:  global
        .offset:         56
        .size:           8
        .value_kind:     global_buffer
      - .offset:         64
        .size:           8
        .value_kind:     by_value
      - .offset:         72
        .size:           4
        .value_kind:     by_value
      - .offset:         80
        .size:           8
        .value_kind:     by_value
      - .offset:         88
        .size:           4
        .value_kind:     by_value
      - .offset:         96
        .size:           4
        .value_kind:     hidden_block_count_x
      - .offset:         100
        .size:           4
        .value_kind:     hidden_block_count_y
      - .offset:         104
        .size:           4
        .value_kind:     hidden_block_count_z
      - .offset:         108
        .size:           2
        .value_kind:     hidden_group_size_x
      - .offset:         110
        .size:           2
        .value_kind:     hidden_group_size_y
      - .offset:         112
        .size:           2
        .value_kind:     hidden_group_size_z
      - .offset:         114
        .size:           2
        .value_kind:     hidden_remainder_x
      - .offset:         116
        .size:           2
        .value_kind:     hidden_remainder_y
      - .offset:         118
        .size:           2
        .value_kind:     hidden_remainder_z
      - .offset:         136
        .size:           8
        .value_kind:     hidden_global_offset_x
      - .offset:         144
        .size:           8
        .value_kind:     hidden_global_offset_y
      - .offset:         152
        .size:           8
        .value_kind:     hidden_global_offset_z
      - .offset:         160
        .size:           2
        .value_kind:     hidden_grid_dims
    .group_segment_fixed_size: 0
    .kernarg_segment_align: 8
    .kernarg_segment_size: 352
    .language:       OpenCL C
    .language_version:
      - 2
      - 0
    .max_flat_workgroup_size: 64
    .name:           _ZN9rocsolver6v33100L11lasr_kernelIddPdiEEv13rocblas_side_14rocblas_pivot_15rocblas_direct_T2_S6_PT0_lS8_lT1_lS6_lS6_
    .private_segment_fixed_size: 0
    .sgpr_count:     100
    .sgpr_spill_count: 10
    .symbol:         _ZN9rocsolver6v33100L11lasr_kernelIddPdiEEv13rocblas_side_14rocblas_pivot_15rocblas_direct_T2_S6_PT0_lS8_lT1_lS6_lS6_.kd
    .uniform_work_group_size: 1
    .uses_dynamic_stack: false
    .vgpr_count:     50
    .vgpr_spill_count: 0
    .wavefront_size: 64
  - .agpr_count:     0
    .args:
      - .offset:         0
        .size:           4
        .value_kind:     by_value
      - .address_space:  global
        .offset:         8
        .size:           8
        .value_kind:     global_buffer
      - .offset:         16
        .size:           4
        .value_kind:     by_value
      - .address_space:  global
        .offset:         24
        .size:           8
        .value_kind:     global_buffer
      - .offset:         32
        .size:           4
        .value_kind:     by_value
      - .offset:         40
        .size:           4
        .value_kind:     hidden_block_count_x
      - .offset:         44
        .size:           4
        .value_kind:     hidden_block_count_y
      - .offset:         48
        .size:           4
        .value_kind:     hidden_block_count_z
      - .offset:         52
        .size:           2
        .value_kind:     hidden_group_size_x
      - .offset:         54
        .size:           2
        .value_kind:     hidden_group_size_y
      - .offset:         56
        .size:           2
        .value_kind:     hidden_group_size_z
      - .offset:         58
        .size:           2
        .value_kind:     hidden_remainder_x
      - .offset:         60
        .size:           2
        .value_kind:     hidden_remainder_y
      - .offset:         62
        .size:           2
        .value_kind:     hidden_remainder_z
      - .offset:         80
        .size:           8
        .value_kind:     hidden_global_offset_x
      - .offset:         88
        .size:           8
        .value_kind:     hidden_global_offset_y
      - .offset:         96
        .size:           8
        .value_kind:     hidden_global_offset_z
      - .offset:         104
        .size:           2
        .value_kind:     hidden_grid_dims
    .group_segment_fixed_size: 0
    .kernarg_segment_align: 8
    .kernarg_segment_size: 296
    .language:       OpenCL C
    .language_version:
      - 2
      - 0
    .max_flat_workgroup_size: 1024
    .name:           _ZN9rocsolver6v33100L11swap_kernelIdiEEvT0_PT_S2_S4_S2_
    .private_segment_fixed_size: 0
    .sgpr_count:     21
    .sgpr_spill_count: 0
    .symbol:         _ZN9rocsolver6v33100L11swap_kernelIdiEEvT0_PT_S2_S4_S2_.kd
    .uniform_work_group_size: 1
    .uses_dynamic_stack: false
    .vgpr_count:     14
    .vgpr_spill_count: 0
    .wavefront_size: 64
  - .agpr_count:     46
    .args:
      - .offset:         0
        .size:           4
        .value_kind:     by_value
      - .address_space:  global
        .offset:         8
        .size:           8
        .value_kind:     global_buffer
      - .offset:         16
        .size:           8
        .value_kind:     by_value
      - .address_space:  global
        .offset:         24
        .size:           8
        .value_kind:     global_buffer
      - .offset:         32
        .size:           8
        .value_kind:     by_value
      - .address_space:  global
        .offset:         40
        .size:           8
        .value_kind:     global_buffer
      - .offset:         48
        .size:           4
        .value_kind:     by_value
      - .offset:         52
        .size:           4
        .value_kind:     by_value
      - .offset:         56
        .size:           8
        .value_kind:     by_value
      - .address_space:  global
        .offset:         64
        .size:           8
        .value_kind:     global_buffer
      - .address_space:  global
        .offset:         72
        .size:           8
        .value_kind:     global_buffer
      - .offset:         80
        .size:           4
        .value_kind:     by_value
      - .offset:         88
        .size:           8
        .value_kind:     by_value
      - .offset:         96
        .size:           8
        .value_kind:     by_value
      - .offset:         104
        .size:           8
        .value_kind:     by_value
      - .offset:         112
        .size:           4
        .value_kind:     hidden_block_count_x
      - .offset:         116
        .size:           4
        .value_kind:     hidden_block_count_y
      - .offset:         120
        .size:           4
        .value_kind:     hidden_block_count_z
      - .offset:         124
        .size:           2
        .value_kind:     hidden_group_size_x
      - .offset:         126
        .size:           2
        .value_kind:     hidden_group_size_y
      - .offset:         128
        .size:           2
        .value_kind:     hidden_group_size_z
      - .offset:         130
        .size:           2
        .value_kind:     hidden_remainder_x
      - .offset:         132
        .size:           2
        .value_kind:     hidden_remainder_y
      - .offset:         134
        .size:           2
        .value_kind:     hidden_remainder_z
      - .offset:         152
        .size:           8
        .value_kind:     hidden_global_offset_x
      - .offset:         160
        .size:           8
        .value_kind:     hidden_global_offset_y
      - .offset:         168
        .size:           8
        .value_kind:     hidden_global_offset_z
      - .offset:         176
        .size:           2
        .value_kind:     hidden_grid_dims
    .group_segment_fixed_size: 48
    .kernarg_segment_align: 8
    .kernarg_segment_size: 368
    .language:       OpenCL C
    .language_version:
      - 2
      - 0
    .max_flat_workgroup_size: 1024
    .name:           _ZN9rocsolver6v33100L12steqr_kernelIddPdEEviPT0_lS4_lT1_iilPiS4_iS3_S3_S3_
    .private_segment_fixed_size: 128
    .sgpr_count:     57
    .sgpr_spill_count: 0
    .symbol:         _ZN9rocsolver6v33100L12steqr_kernelIddPdEEviPT0_lS4_lT1_iilPiS4_iS3_S3_S3_.kd
    .uniform_work_group_size: 1
    .uses_dynamic_stack: false
    .vgpr_count:     110
    .vgpr_spill_count: 0
    .wavefront_size: 64
  - .agpr_count:     0
    .args:
      - .offset:         0
        .size:           4
        .value_kind:     by_value
      - .offset:         4
        .size:           4
        .value_kind:     by_value
      - .address_space:  global
        .offset:         8
        .size:           8
        .value_kind:     global_buffer
      - .offset:         16
        .size:           4
        .value_kind:     by_value
      - .offset:         20
        .size:           4
        .value_kind:     by_value
      - .offset:         24
        .size:           8
        .value_kind:     by_value
      - .offset:         32
        .size:           4
        .value_kind:     hidden_block_count_x
      - .offset:         36
        .size:           4
        .value_kind:     hidden_block_count_y
      - .offset:         40
        .size:           4
        .value_kind:     hidden_block_count_z
      - .offset:         44
        .size:           2
        .value_kind:     hidden_group_size_x
      - .offset:         46
        .size:           2
        .value_kind:     hidden_group_size_y
      - .offset:         48
        .size:           2
        .value_kind:     hidden_group_size_z
      - .offset:         50
        .size:           2
        .value_kind:     hidden_remainder_x
      - .offset:         52
        .size:           2
        .value_kind:     hidden_remainder_y
      - .offset:         54
        .size:           2
        .value_kind:     hidden_remainder_z
      - .offset:         72
        .size:           8
        .value_kind:     hidden_global_offset_x
      - .offset:         80
        .size:           8
        .value_kind:     hidden_global_offset_y
      - .offset:         88
        .size:           8
        .value_kind:     hidden_global_offset_z
      - .offset:         96
        .size:           2
        .value_kind:     hidden_grid_dims
    .group_segment_fixed_size: 0
    .kernarg_segment_align: 8
    .kernarg_segment_size: 288
    .language:       OpenCL C
    .language_version:
      - 2
      - 0
    .max_flat_workgroup_size: 1024
    .name:           _ZN9rocsolver6v33100L10init_identIdPdEEviiT0_iil
    .private_segment_fixed_size: 0
    .sgpr_count:     13
    .sgpr_spill_count: 0
    .symbol:         _ZN9rocsolver6v33100L10init_identIdPdEEviiT0_iil.kd
    .uniform_work_group_size: 1
    .uses_dynamic_stack: false
    .vgpr_count:     6
    .vgpr_spill_count: 0
    .wavefront_size: 64
  - .agpr_count:     0
    .args:
      - .offset:         0
        .size:           4
        .value_kind:     by_value
      - .offset:         4
        .size:           4
        .value_kind:     by_value
      - .offset:         8
        .size:           4
        .value_kind:     by_value
      - .address_space:  global
        .offset:         16
        .size:           8
        .value_kind:     global_buffer
      - .offset:         24
        .size:           8
        .value_kind:     by_value
      - .address_space:  global
        .offset:         32
        .size:           8
        .value_kind:     global_buffer
      - .offset:         40
        .size:           8
        .value_kind:     by_value
      - .offset:         48
        .size:           4
        .value_kind:     by_value
      - .address_space:  global
        .offset:         56
        .size:           8
        .value_kind:     global_buffer
      - .offset:         64
        .size:           4
        .value_kind:     hidden_block_count_x
      - .offset:         68
        .size:           4
        .value_kind:     hidden_block_count_y
      - .offset:         72
        .size:           4
        .value_kind:     hidden_block_count_z
      - .offset:         76
        .size:           2
        .value_kind:     hidden_group_size_x
      - .offset:         78
        .size:           2
        .value_kind:     hidden_group_size_y
      - .offset:         80
        .size:           2
        .value_kind:     hidden_group_size_z
      - .offset:         82
        .size:           2
        .value_kind:     hidden_remainder_x
      - .offset:         84
        .size:           2
        .value_kind:     hidden_remainder_y
      - .offset:         86
        .size:           2
        .value_kind:     hidden_remainder_z
      - .offset:         104
        .size:           8
        .value_kind:     hidden_global_offset_x
      - .offset:         112
        .size:           8
        .value_kind:     hidden_global_offset_y
      - .offset:         120
        .size:           8
        .value_kind:     hidden_global_offset_z
      - .offset:         128
        .size:           2
        .value_kind:     hidden_grid_dims
    .group_segment_fixed_size: 0
    .kernarg_segment_align: 8
    .kernarg_segment_size: 320
    .language:       OpenCL C
    .language_version:
      - 2
      - 0
    .max_flat_workgroup_size: 512
    .name:           _ZN9rocsolver6v33100L19stedc_divide_kernelIdEEviiiPT_lS3_liPi
    .private_segment_fixed_size: 0
    .sgpr_count:     24
    .sgpr_spill_count: 0
    .symbol:         _ZN9rocsolver6v33100L19stedc_divide_kernelIdEEviiiPT_lS3_liPi.kd
    .uniform_work_group_size: 1
    .uses_dynamic_stack: false
    .vgpr_count:     20
    .vgpr_spill_count: 0
    .wavefront_size: 64
  - .agpr_count:     46
    .args:
      - .offset:         0
        .size:           4
        .value_kind:     by_value
      - .offset:         4
        .size:           4
        .value_kind:     by_value
      - .address_space:  global
        .offset:         8
        .size:           8
        .value_kind:     global_buffer
      - .offset:         16
        .size:           8
        .value_kind:     by_value
      - .address_space:  global
        .offset:         24
        .size:           8
        .value_kind:     global_buffer
      - .offset:         32
        .size:           8
        .value_kind:     by_value
      - .address_space:  global
        .offset:         40
        .size:           8
        .value_kind:     global_buffer
      - .offset:         48
        .size:           4
        .value_kind:     by_value
      - .offset:         52
        .size:           4
        .value_kind:     by_value
      - .offset:         56
        .size:           8
        .value_kind:     by_value
      - .address_space:  global
        .offset:         64
        .size:           8
        .value_kind:     global_buffer
      - .address_space:  global
        .offset:         72
        .size:           8
        .value_kind:     global_buffer
      - .address_space:  global
        .offset:         80
        .size:           8
        .value_kind:     global_buffer
      - .offset:         88
        .size:           8
        .value_kind:     by_value
      - .offset:         96
        .size:           8
        .value_kind:     by_value
      - .offset:         104
        .size:           8
        .value_kind:     by_value
      - .offset:         112
        .size:           4
        .value_kind:     hidden_block_count_x
      - .offset:         116
        .size:           4
        .value_kind:     hidden_block_count_y
      - .offset:         120
        .size:           4
        .value_kind:     hidden_block_count_z
      - .offset:         124
        .size:           2
        .value_kind:     hidden_group_size_x
      - .offset:         126
        .size:           2
        .value_kind:     hidden_group_size_y
      - .offset:         128
        .size:           2
        .value_kind:     hidden_group_size_z
      - .offset:         130
        .size:           2
        .value_kind:     hidden_remainder_x
      - .offset:         132
        .size:           2
        .value_kind:     hidden_remainder_y
      - .offset:         134
        .size:           2
        .value_kind:     hidden_remainder_z
      - .offset:         152
        .size:           8
        .value_kind:     hidden_global_offset_x
      - .offset:         160
        .size:           8
        .value_kind:     hidden_global_offset_y
      - .offset:         168
        .size:           8
        .value_kind:     hidden_global_offset_z
      - .offset:         176
        .size:           2
        .value_kind:     hidden_grid_dims
    .group_segment_fixed_size: 48
    .kernarg_segment_align: 8
    .kernarg_segment_size: 368
    .language:       OpenCL C
    .language_version:
      - 2
      - 0
    .max_flat_workgroup_size: 512
    .name:           _ZN9rocsolver6v33100L18stedc_solve_kernelIdEEviiPT_lS3_lS3_iilPiS3_S4_S2_S2_S2_
    .private_segment_fixed_size: 128
    .sgpr_count:     57
    .sgpr_spill_count: 0
    .symbol:         _ZN9rocsolver6v33100L18stedc_solve_kernelIdEEviiPT_lS3_lS3_iilPiS3_S4_S2_S2_S2_.kd
    .uniform_work_group_size: 1
    .uses_dynamic_stack: false
    .vgpr_count:     110
    .vgpr_spill_count: 0
    .wavefront_size: 64
  - .agpr_count:     0
    .args:
      - .offset:         0
        .size:           4
        .value_kind:     by_value
      - .offset:         4
        .size:           4
        .value_kind:     by_value
      - .address_space:  global
        .offset:         8
        .size:           8
        .value_kind:     global_buffer
      - .offset:         16
        .size:           8
        .value_kind:     by_value
      - .address_space:  global
        .offset:         24
        .size:           8
        .value_kind:     global_buffer
      - .offset:         32
        .size:           8
        .value_kind:     by_value
      - .address_space:  global
        .offset:         40
        .size:           8
        .value_kind:     global_buffer
      - .offset:         48
        .size:           4
        .value_kind:     by_value
      - .offset:         52
        .size:           4
        .value_kind:     by_value
      - .offset:         56
        .size:           8
        .value_kind:     by_value
      - .address_space:  global
        .offset:         64
        .size:           8
        .value_kind:     global_buffer
      - .address_space:  global
        .offset:         72
        .size:           8
        .value_kind:     global_buffer
      - .offset:         80
        .size:           8
        .value_kind:     by_value
      - .offset:         88
        .size:           4
        .value_kind:     hidden_block_count_x
      - .offset:         92
        .size:           4
        .value_kind:     hidden_block_count_y
      - .offset:         96
        .size:           4
        .value_kind:     hidden_block_count_z
      - .offset:         100
        .size:           2
        .value_kind:     hidden_group_size_x
      - .offset:         102
        .size:           2
        .value_kind:     hidden_group_size_y
      - .offset:         104
        .size:           2
        .value_kind:     hidden_group_size_z
      - .offset:         106
        .size:           2
        .value_kind:     hidden_remainder_x
      - .offset:         108
        .size:           2
        .value_kind:     hidden_remainder_y
      - .offset:         110
        .size:           2
        .value_kind:     hidden_remainder_z
      - .offset:         128
        .size:           8
        .value_kind:     hidden_global_offset_x
      - .offset:         136
        .size:           8
        .value_kind:     hidden_global_offset_y
      - .offset:         144
        .size:           8
        .value_kind:     hidden_global_offset_z
      - .offset:         152
        .size:           2
        .value_kind:     hidden_grid_dims
    .group_segment_fixed_size: 8192
    .kernarg_segment_align: 8
    .kernarg_segment_size: 344
    .language:       OpenCL C
    .language_version:
      - 2
      - 0
    .max_flat_workgroup_size: 512
    .name:           _ZN9rocsolver6v33100L37stedc_mergePrepare_DeflateZero_kernelIdEEviiPT_lS3_lS3_iilS3_PiS2_
    .private_segment_fixed_size: 0
    .sgpr_count:     48
    .sgpr_spill_count: 0
    .symbol:         _ZN9rocsolver6v33100L37stedc_mergePrepare_DeflateZero_kernelIdEEviiPT_lS3_lS3_iilS3_PiS2_.kd
    .uniform_work_group_size: 1
    .uses_dynamic_stack: false
    .vgpr_count:     22
    .vgpr_spill_count: 0
    .wavefront_size: 64
  - .agpr_count:     0
    .args:
      - .offset:         0
        .size:           4
        .value_kind:     by_value
      - .offset:         4
        .size:           4
        .value_kind:     by_value
      - .address_space:  global
        .offset:         8
        .size:           8
        .value_kind:     global_buffer
      - .offset:         16
        .size:           8
        .value_kind:     by_value
      - .address_space:  global
        .offset:         24
        .size:           8
        .value_kind:     global_buffer
      - .address_space:  global
        .offset:         32
        .size:           8
        .value_kind:     global_buffer
      - .offset:         40
        .size:           4
        .value_kind:     hidden_block_count_x
      - .offset:         44
        .size:           4
        .value_kind:     hidden_block_count_y
      - .offset:         48
        .size:           4
        .value_kind:     hidden_block_count_z
      - .offset:         52
        .size:           2
        .value_kind:     hidden_group_size_x
      - .offset:         54
        .size:           2
        .value_kind:     hidden_group_size_y
      - .offset:         56
        .size:           2
        .value_kind:     hidden_group_size_z
      - .offset:         58
        .size:           2
        .value_kind:     hidden_remainder_x
      - .offset:         60
        .size:           2
        .value_kind:     hidden_remainder_y
      - .offset:         62
        .size:           2
        .value_kind:     hidden_remainder_z
      - .offset:         80
        .size:           8
        .value_kind:     hidden_global_offset_x
      - .offset:         88
        .size:           8
        .value_kind:     hidden_global_offset_y
      - .offset:         96
        .size:           8
        .value_kind:     hidden_global_offset_z
      - .offset:         104
        .size:           2
        .value_kind:     hidden_grid_dims
    .group_segment_fixed_size: 4096
    .kernarg_segment_align: 8
    .kernarg_segment_size: 296
    .language:       OpenCL C
    .language_version:
      - 2
      - 0
    .max_flat_workgroup_size: 512
    .name:           _ZN9rocsolver6v33100L31stedc_mergePrepare_SortD_kernelIdEEviiPT_lS3_Pi
    .private_segment_fixed_size: 0
    .sgpr_count:     57
    .sgpr_spill_count: 0
    .symbol:         _ZN9rocsolver6v33100L31stedc_mergePrepare_SortD_kernelIdEEviiPT_lS3_Pi.kd
    .uniform_work_group_size: 1
    .uses_dynamic_stack: false
    .vgpr_count:     36
    .vgpr_spill_count: 0
    .wavefront_size: 64
  - .agpr_count:     0
    .args:
      - .offset:         0
        .size:           4
        .value_kind:     by_value
      - .offset:         4
        .size:           4
        .value_kind:     by_value
      - .address_space:  global
        .offset:         8
        .size:           8
        .value_kind:     global_buffer
      - .offset:         16
        .size:           8
        .value_kind:     by_value
      - .address_space:  global
        .offset:         24
        .size:           8
        .value_kind:     global_buffer
      - .address_space:  global
        .offset:         32
        .size:           8
        .value_kind:     global_buffer
      - .offset:         40
        .size:           4
        .value_kind:     hidden_block_count_x
      - .offset:         44
        .size:           4
        .value_kind:     hidden_block_count_y
      - .offset:         48
        .size:           4
        .value_kind:     hidden_block_count_z
      - .offset:         52
        .size:           2
        .value_kind:     hidden_group_size_x
      - .offset:         54
        .size:           2
        .value_kind:     hidden_group_size_y
      - .offset:         56
        .size:           2
        .value_kind:     hidden_group_size_z
      - .offset:         58
        .size:           2
        .value_kind:     hidden_remainder_x
      - .offset:         60
        .size:           2
        .value_kind:     hidden_remainder_y
      - .offset:         62
        .size:           2
        .value_kind:     hidden_remainder_z
      - .offset:         80
        .size:           8
        .value_kind:     hidden_global_offset_x
      - .offset:         88
        .size:           8
        .value_kind:     hidden_global_offset_y
      - .offset:         96
        .size:           8
        .value_kind:     hidden_global_offset_z
      - .offset:         104
        .size:           2
        .value_kind:     hidden_grid_dims
    .group_segment_fixed_size: 0
    .kernarg_segment_align: 8
    .kernarg_segment_size: 296
    .language:       OpenCL C
    .language_version:
      - 2
      - 0
    .max_flat_workgroup_size: 512
    .name:           _ZN9rocsolver6v33100L38stedc_mergePrepare_SetCandFlags_kernelIdEEviiPT_lS3_Pi
    .private_segment_fixed_size: 0
    .sgpr_count:     17
    .sgpr_spill_count: 0
    .symbol:         _ZN9rocsolver6v33100L38stedc_mergePrepare_SetCandFlags_kernelIdEEviiPT_lS3_Pi.kd
    .uniform_work_group_size: 1
    .uses_dynamic_stack: false
    .vgpr_count:     20
    .vgpr_spill_count: 0
    .wavefront_size: 64
  - .agpr_count:     0
    .args:
      - .offset:         0
        .size:           4
        .value_kind:     by_value
      - .offset:         4
        .size:           4
        .value_kind:     by_value
      - .address_space:  global
        .offset:         8
        .size:           8
        .value_kind:     global_buffer
      - .offset:         16
        .size:           8
        .value_kind:     by_value
      - .address_space:  global
        .offset:         24
        .size:           8
        .value_kind:     global_buffer
      - .address_space:  global
        .offset:         32
        .size:           8
        .value_kind:     global_buffer
      - .offset:         40
        .size:           4
        .value_kind:     hidden_block_count_x
      - .offset:         44
        .size:           4
        .value_kind:     hidden_block_count_y
      - .offset:         48
        .size:           4
        .value_kind:     hidden_block_count_z
      - .offset:         52
        .size:           2
        .value_kind:     hidden_group_size_x
      - .offset:         54
        .size:           2
        .value_kind:     hidden_group_size_y
      - .offset:         56
        .size:           2
        .value_kind:     hidden_group_size_z
      - .offset:         58
        .size:           2
        .value_kind:     hidden_remainder_x
      - .offset:         60
        .size:           2
        .value_kind:     hidden_remainder_y
      - .offset:         62
        .size:           2
        .value_kind:     hidden_remainder_z
      - .offset:         80
        .size:           8
        .value_kind:     hidden_global_offset_x
      - .offset:         88
        .size:           8
        .value_kind:     hidden_global_offset_y
      - .offset:         96
        .size:           8
        .value_kind:     hidden_global_offset_z
      - .offset:         104
        .size:           2
        .value_kind:     hidden_grid_dims
    .group_segment_fixed_size: 49152
    .kernarg_segment_align: 8
    .kernarg_segment_size: 296
    .language:       OpenCL C
    .language_version:
      - 2
      - 0
    .max_flat_workgroup_size: 512
    .name:           _ZN9rocsolver6v33100L38stedc_mergePrepare_DeflateCount_kernelIdEEviiPT_lS3_Pi
    .private_segment_fixed_size: 0
    .sgpr_count:     34
    .sgpr_spill_count: 0
    .symbol:         _ZN9rocsolver6v33100L38stedc_mergePrepare_DeflateCount_kernelIdEEviiPT_lS3_Pi.kd
    .uniform_work_group_size: 1
    .uses_dynamic_stack: false
    .vgpr_count:     21
    .vgpr_spill_count: 0
    .wavefront_size: 64
  - .agpr_count:     0
    .args:
      - .offset:         0
        .size:           4
        .value_kind:     by_value
      - .offset:         4
        .size:           4
        .value_kind:     by_value
      - .address_space:  global
        .offset:         8
        .size:           8
        .value_kind:     global_buffer
      - .offset:         16
        .size:           8
        .value_kind:     by_value
      - .address_space:  global
        .offset:         24
        .size:           8
        .value_kind:     global_buffer
      - .address_space:  global
        .offset:         32
        .size:           8
        .value_kind:     global_buffer
      - .offset:         40
        .size:           4
        .value_kind:     hidden_block_count_x
      - .offset:         44
        .size:           4
        .value_kind:     hidden_block_count_y
      - .offset:         48
        .size:           4
        .value_kind:     hidden_block_count_z
      - .offset:         52
        .size:           2
        .value_kind:     hidden_group_size_x
      - .offset:         54
        .size:           2
        .value_kind:     hidden_group_size_y
      - .offset:         56
        .size:           2
        .value_kind:     hidden_group_size_z
      - .offset:         58
        .size:           2
        .value_kind:     hidden_remainder_x
      - .offset:         60
        .size:           2
        .value_kind:     hidden_remainder_y
      - .offset:         62
        .size:           2
        .value_kind:     hidden_remainder_z
      - .offset:         80
        .size:           8
        .value_kind:     hidden_global_offset_x
      - .offset:         88
        .size:           8
        .value_kind:     hidden_global_offset_y
      - .offset:         96
        .size:           8
        .value_kind:     hidden_global_offset_z
      - .offset:         104
        .size:           2
        .value_kind:     hidden_grid_dims
    .group_segment_fixed_size: 49152
    .kernarg_segment_align: 8
    .kernarg_segment_size: 296
    .language:       OpenCL C
    .language_version:
      - 2
      - 0
    .max_flat_workgroup_size: 512
    .name:           _ZN9rocsolver6v33100L38stedc_mergePrepare_DeflateApply_kernelIdEEviiPT_lS3_Pi
    .private_segment_fixed_size: 0
    .sgpr_count:     28
    .sgpr_spill_count: 0
    .symbol:         _ZN9rocsolver6v33100L38stedc_mergePrepare_DeflateApply_kernelIdEEviiPT_lS3_Pi.kd
    .uniform_work_group_size: 1
    .uses_dynamic_stack: false
    .vgpr_count:     38
    .vgpr_spill_count: 0
    .wavefront_size: 64
  - .agpr_count:     0
    .args:
      - .offset:         0
        .size:           4
        .value_kind:     by_value
      - .offset:         4
        .size:           4
        .value_kind:     by_value
      - .address_space:  global
        .offset:         8
        .size:           8
        .value_kind:     global_buffer
      - .offset:         16
        .size:           4
        .value_kind:     by_value
      - .offset:         20
        .size:           4
        .value_kind:     by_value
      - .offset:         24
        .size:           8
        .value_kind:     by_value
      - .address_space:  global
        .offset:         32
        .size:           8
        .value_kind:     global_buffer
      - .address_space:  global
        .offset:         40
        .size:           8
        .value_kind:     global_buffer
      - .offset:         48
        .size:           4
        .value_kind:     hidden_block_count_x
      - .offset:         52
        .size:           4
        .value_kind:     hidden_block_count_y
      - .offset:         56
        .size:           4
        .value_kind:     hidden_block_count_z
      - .offset:         60
        .size:           2
        .value_kind:     hidden_group_size_x
      - .offset:         62
        .size:           2
        .value_kind:     hidden_group_size_y
      - .offset:         64
        .size:           2
        .value_kind:     hidden_group_size_z
      - .offset:         66
        .size:           2
        .value_kind:     hidden_remainder_x
      - .offset:         68
        .size:           2
        .value_kind:     hidden_remainder_y
      - .offset:         70
        .size:           2
        .value_kind:     hidden_remainder_z
      - .offset:         88
        .size:           8
        .value_kind:     hidden_global_offset_x
      - .offset:         96
        .size:           8
        .value_kind:     hidden_global_offset_y
      - .offset:         104
        .size:           8
        .value_kind:     hidden_global_offset_z
      - .offset:         112
        .size:           2
        .value_kind:     hidden_grid_dims
    .group_segment_fixed_size: 0
    .kernarg_segment_align: 8
    .kernarg_segment_size: 304
    .language:       OpenCL C
    .language_version:
      - 2
      - 0
    .max_flat_workgroup_size: 512
    .name:           _ZN9rocsolver6v33100L24stedc_mergeRotate_kernelIdEEviiPT_iilS3_Pi
    .private_segment_fixed_size: 0
    .sgpr_count:     63
    .sgpr_spill_count: 0
    .symbol:         _ZN9rocsolver6v33100L24stedc_mergeRotate_kernelIdEEviiPT_iilS3_Pi.kd
    .uniform_work_group_size: 1
    .uses_dynamic_stack: false
    .vgpr_count:     168
    .vgpr_spill_count: 0
    .wavefront_size: 64
  - .agpr_count:     0
    .args:
      - .offset:         0
        .size:           4
        .value_kind:     by_value
      - .offset:         4
        .size:           4
        .value_kind:     by_value
      - .address_space:  global
        .offset:         8
        .size:           8
        .value_kind:     global_buffer
      - .offset:         16
        .size:           8
        .value_kind:     by_value
      - .address_space:  global
        .offset:         24
        .size:           8
        .value_kind:     global_buffer
      - .address_space:  global
        .offset:         32
        .size:           8
        .value_kind:     global_buffer
      - .offset:         40
        .size:           4
        .value_kind:     hidden_block_count_x
      - .offset:         44
        .size:           4
        .value_kind:     hidden_block_count_y
      - .offset:         48
        .size:           4
        .value_kind:     hidden_block_count_z
      - .offset:         52
        .size:           2
        .value_kind:     hidden_group_size_x
      - .offset:         54
        .size:           2
        .value_kind:     hidden_group_size_y
      - .offset:         56
        .size:           2
        .value_kind:     hidden_group_size_z
      - .offset:         58
        .size:           2
        .value_kind:     hidden_remainder_x
      - .offset:         60
        .size:           2
        .value_kind:     hidden_remainder_y
      - .offset:         62
        .size:           2
        .value_kind:     hidden_remainder_z
      - .offset:         80
        .size:           8
        .value_kind:     hidden_global_offset_x
      - .offset:         88
        .size:           8
        .value_kind:     hidden_global_offset_y
      - .offset:         96
        .size:           8
        .value_kind:     hidden_global_offset_z
      - .offset:         104
        .size:           2
        .value_kind:     hidden_grid_dims
    .group_segment_fixed_size: 4096
    .kernarg_segment_align: 8
    .kernarg_segment_size: 296
    .language:       OpenCL C
    .language_version:
      - 2
      - 0
    .max_flat_workgroup_size: 512
    .name:           _ZN9rocsolver6v33100L31stedc_mergeValues_SortDZ_kernelIdEEviiPT_lS3_Pi
    .private_segment_fixed_size: 0
    .sgpr_count:     67
    .sgpr_spill_count: 0
    .symbol:         _ZN9rocsolver6v33100L31stedc_mergeValues_SortDZ_kernelIdEEviiPT_lS3_Pi.kd
    .uniform_work_group_size: 1
    .uses_dynamic_stack: false
    .vgpr_count:     36
    .vgpr_spill_count: 0
    .wavefront_size: 64
  - .agpr_count:     0
    .args:
      - .offset:         0
        .size:           4
        .value_kind:     by_value
      - .offset:         4
        .size:           4
        .value_kind:     by_value
      - .address_space:  global
        .offset:         8
        .size:           8
        .value_kind:     global_buffer
      - .offset:         16
        .size:           8
        .value_kind:     by_value
      - .address_space:  global
        .offset:         24
        .size:           8
        .value_kind:     global_buffer
      - .address_space:  global
        .offset:         32
        .size:           8
        .value_kind:     global_buffer
      - .address_space:  global
        .offset:         40
        .size:           8
        .value_kind:     global_buffer
      - .offset:         48
        .size:           4
        .value_kind:     hidden_block_count_x
      - .offset:         52
        .size:           4
        .value_kind:     hidden_block_count_y
      - .offset:         56
        .size:           4
        .value_kind:     hidden_block_count_z
      - .offset:         60
        .size:           2
        .value_kind:     hidden_group_size_x
      - .offset:         62
        .size:           2
        .value_kind:     hidden_group_size_y
      - .offset:         64
        .size:           2
        .value_kind:     hidden_group_size_z
      - .offset:         66
        .size:           2
        .value_kind:     hidden_remainder_x
      - .offset:         68
        .size:           2
        .value_kind:     hidden_remainder_y
      - .offset:         70
        .size:           2
        .value_kind:     hidden_remainder_z
      - .offset:         88
        .size:           8
        .value_kind:     hidden_global_offset_x
      - .offset:         96
        .size:           8
        .value_kind:     hidden_global_offset_y
      - .offset:         104
        .size:           8
        .value_kind:     hidden_global_offset_z
      - .offset:         112
        .size:           2
        .value_kind:     hidden_grid_dims
    .group_segment_fixed_size: 0
    .kernarg_segment_align: 8
    .kernarg_segment_size: 304
    .language:       OpenCL C
    .language_version:
      - 2
      - 0
    .max_flat_workgroup_size: 512
    .name:           _ZN9rocsolver6v33100L30stedc_mergeValues_copyD_kernelIdEEviiPT_lS3_S3_Pi
    .private_segment_fixed_size: 0
    .sgpr_count:     27
    .sgpr_spill_count: 0
    .symbol:         _ZN9rocsolver6v33100L30stedc_mergeValues_copyD_kernelIdEEviiPT_lS3_S3_Pi.kd
    .uniform_work_group_size: 1
    .uses_dynamic_stack: false
    .vgpr_count:     8
    .vgpr_spill_count: 0
    .wavefront_size: 64
  - .agpr_count:     0
    .args:
      - .offset:         0
        .size:           4
        .value_kind:     by_value
      - .address_space:  global
        .offset:         8
        .size:           8
        .value_kind:     global_buffer
      - .offset:         16
        .size:           4
        .value_kind:     by_value
      - .offset:         20
        .size:           4
        .value_kind:     by_value
      - .offset:         24
        .size:           8
        .value_kind:     by_value
      - .address_space:  global
        .offset:         32
        .size:           8
        .value_kind:     global_buffer
      - .offset:         40
        .size:           4
        .value_kind:     by_value
      - .offset:         44
        .size:           4
        .value_kind:     by_value
      - .offset:         48
        .size:           8
        .value_kind:     by_value
      - .offset:         56
        .size:           4
        .value_kind:     hidden_block_count_x
      - .offset:         60
        .size:           4
        .value_kind:     hidden_block_count_y
      - .offset:         64
        .size:           4
        .value_kind:     hidden_block_count_z
      - .offset:         68
        .size:           2
        .value_kind:     hidden_group_size_x
      - .offset:         70
        .size:           2
        .value_kind:     hidden_group_size_y
      - .offset:         72
        .size:           2
        .value_kind:     hidden_group_size_z
      - .offset:         74
        .size:           2
        .value_kind:     hidden_remainder_x
      - .offset:         76
        .size:           2
        .value_kind:     hidden_remainder_y
      - .offset:         78
        .size:           2
        .value_kind:     hidden_remainder_z
      - .offset:         96
        .size:           8
        .value_kind:     hidden_global_offset_x
      - .offset:         104
        .size:           8
        .value_kind:     hidden_global_offset_y
      - .offset:         112
        .size:           8
        .value_kind:     hidden_global_offset_z
      - .offset:         120
        .size:           2
        .value_kind:     hidden_grid_dims
    .group_segment_fixed_size: 0
    .kernarg_segment_align: 8
    .kernarg_segment_size: 312
    .language:       OpenCL C
    .language_version:
      - 2
      - 0
    .max_flat_workgroup_size: 512
    .name:           _ZN9rocsolver6v33100L11stedc_copyCIdPdS2_EEviT0_iilT1_iil
    .private_segment_fixed_size: 0
    .sgpr_count:     61
    .sgpr_spill_count: 0
    .symbol:         _ZN9rocsolver6v33100L11stedc_copyCIdPdS2_EEviT0_iilT1_iil.kd
    .uniform_work_group_size: 1
    .uses_dynamic_stack: false
    .vgpr_count:     66
    .vgpr_spill_count: 0
    .wavefront_size: 64
  - .agpr_count:     0
    .args:
      - .offset:         0
        .size:           4
        .value_kind:     by_value
      - .address_space:  global
        .offset:         8
        .size:           8
        .value_kind:     global_buffer
      - .offset:         16
        .size:           4
        .value_kind:     by_value
      - .offset:         20
        .size:           4
        .value_kind:     by_value
      - .offset:         24
        .size:           8
        .value_kind:     by_value
      - .address_space:  global
        .offset:         32
        .size:           8
        .value_kind:     global_buffer
      - .offset:         40
        .size:           4
        .value_kind:     by_value
      - .offset:         44
        .size:           4
        .value_kind:     by_value
      - .offset:         48
        .size:           8
        .value_kind:     by_value
      - .address_space:  global
        .offset:         56
        .size:           8
        .value_kind:     global_buffer
      - .offset:         64
        .size:           4
        .value_kind:     hidden_block_count_x
      - .offset:         68
        .size:           4
        .value_kind:     hidden_block_count_y
      - .offset:         72
        .size:           4
        .value_kind:     hidden_block_count_z
      - .offset:         76
        .size:           2
        .value_kind:     hidden_group_size_x
      - .offset:         78
        .size:           2
        .value_kind:     hidden_group_size_y
      - .offset:         80
        .size:           2
        .value_kind:     hidden_group_size_z
      - .offset:         82
        .size:           2
        .value_kind:     hidden_remainder_x
      - .offset:         84
        .size:           2
        .value_kind:     hidden_remainder_y
      - .offset:         86
        .size:           2
        .value_kind:     hidden_remainder_z
      - .offset:         104
        .size:           8
        .value_kind:     hidden_global_offset_x
      - .offset:         112
        .size:           8
        .value_kind:     hidden_global_offset_y
      - .offset:         120
        .size:           8
        .value_kind:     hidden_global_offset_z
      - .offset:         128
        .size:           2
        .value_kind:     hidden_grid_dims
    .group_segment_fixed_size: 0
    .kernarg_segment_align: 8
    .kernarg_segment_size: 320
    .language:       OpenCL C
    .language_version:
      - 2
      - 0
    .max_flat_workgroup_size: 512
    .name:           _ZN9rocsolver6v33100L16stedc_reshuffleCIdPdS2_EEviT0_iilT1_iilPi
    .private_segment_fixed_size: 0
    .sgpr_count:     61
    .sgpr_spill_count: 0
    .symbol:         _ZN9rocsolver6v33100L16stedc_reshuffleCIdPdS2_EEviT0_iilT1_iilPi.kd
    .uniform_work_group_size: 1
    .uses_dynamic_stack: false
    .vgpr_count:     66
    .vgpr_spill_count: 0
    .wavefront_size: 64
  - .agpr_count:     0
    .args:
      - .offset:         0
        .size:           4
        .value_kind:     by_value
      - .offset:         4
        .size:           4
        .value_kind:     by_value
      - .address_space:  global
        .offset:         8
        .size:           8
        .value_kind:     global_buffer
      - .offset:         16
        .size:           8
        .value_kind:     by_value
      - .address_space:  global
        .offset:         24
        .size:           8
        .value_kind:     global_buffer
      - .offset:         32
        .size:           8
        .value_kind:     by_value
      - .address_space:  global
        .offset:         40
        .size:           8
        .value_kind:     global_buffer
      - .address_space:  global
        .offset:         48
        .size:           8
        .value_kind:     global_buffer
      - .address_space:  global
        .offset:         56
        .size:           8
        .value_kind:     global_buffer
      - .offset:         64
        .size:           8
        .value_kind:     by_value
      - .offset:         72
        .size:           8
        .value_kind:     by_value
      - .offset:         80
        .size:           8
        .value_kind:     by_value
      - .offset:         88
        .size:           4
        .value_kind:     hidden_block_count_x
      - .offset:         92
        .size:           4
        .value_kind:     hidden_block_count_y
      - .offset:         96
        .size:           4
        .value_kind:     hidden_block_count_z
      - .offset:         100
        .size:           2
        .value_kind:     hidden_group_size_x
      - .offset:         102
        .size:           2
        .value_kind:     hidden_group_size_y
      - .offset:         104
        .size:           2
        .value_kind:     hidden_group_size_z
      - .offset:         106
        .size:           2
        .value_kind:     hidden_remainder_x
      - .offset:         108
        .size:           2
        .value_kind:     hidden_remainder_y
      - .offset:         110
        .size:           2
        .value_kind:     hidden_remainder_z
      - .offset:         128
        .size:           8
        .value_kind:     hidden_global_offset_x
      - .offset:         136
        .size:           8
        .value_kind:     hidden_global_offset_y
      - .offset:         144
        .size:           8
        .value_kind:     hidden_global_offset_z
      - .offset:         152
        .size:           2
        .value_kind:     hidden_grid_dims
    .group_segment_fixed_size: 0
    .kernarg_segment_align: 8
    .kernarg_segment_size: 344
    .language:       OpenCL C
    .language_version:
      - 2
      - 0
    .max_flat_workgroup_size: 4
    .name:           _ZN9rocsolver6v33100L30stedc_mergeValues_Solve_kernelIdEEviiPT_lS3_lS3_S3_PiS2_S2_S2_
    .private_segment_fixed_size: 0
    .sgpr_count:     46
    .sgpr_spill_count: 0
    .symbol:         _ZN9rocsolver6v33100L30stedc_mergeValues_Solve_kernelIdEEviiPT_lS3_lS3_S3_PiS2_S2_S2_.kd
    .uniform_work_group_size: 1
    .uses_dynamic_stack: false
    .vgpr_count:     72
    .vgpr_spill_count: 0
    .wavefront_size: 64
  - .agpr_count:     0
    .args:
      - .offset:         0
        .size:           4
        .value_kind:     by_value
      - .offset:         4
        .size:           4
        .value_kind:     by_value
      - .address_space:  global
        .offset:         8
        .size:           8
        .value_kind:     global_buffer
      - .offset:         16
        .size:           8
        .value_kind:     by_value
      - .address_space:  global
        .offset:         24
        .size:           8
        .value_kind:     global_buffer
      - .offset:         32
        .size:           8
        .value_kind:     by_value
      - .address_space:  global
        .offset:         40
        .size:           8
        .value_kind:     global_buffer
      - .address_space:  global
        .offset:         48
        .size:           8
        .value_kind:     global_buffer
      - .address_space:  global
        .offset:         56
        .size:           8
        .value_kind:     global_buffer
      - .offset:         64
        .size:           8
        .value_kind:     by_value
      - .offset:         72
        .size:           8
        .value_kind:     by_value
      - .offset:         80
        .size:           8
        .value_kind:     by_value
      - .offset:         88
        .size:           4
        .value_kind:     hidden_block_count_x
      - .offset:         92
        .size:           4
        .value_kind:     hidden_block_count_y
      - .offset:         96
        .size:           4
        .value_kind:     hidden_block_count_z
      - .offset:         100
        .size:           2
        .value_kind:     hidden_group_size_x
      - .offset:         102
        .size:           2
        .value_kind:     hidden_group_size_y
      - .offset:         104
        .size:           2
        .value_kind:     hidden_group_size_z
      - .offset:         106
        .size:           2
        .value_kind:     hidden_remainder_x
      - .offset:         108
        .size:           2
        .value_kind:     hidden_remainder_y
      - .offset:         110
        .size:           2
        .value_kind:     hidden_remainder_z
      - .offset:         128
        .size:           8
        .value_kind:     hidden_global_offset_x
      - .offset:         136
        .size:           8
        .value_kind:     hidden_global_offset_y
      - .offset:         144
        .size:           8
        .value_kind:     hidden_global_offset_z
      - .offset:         152
        .size:           2
        .value_kind:     hidden_grid_dims
    .group_segment_fixed_size: 4096
    .kernarg_segment_align: 8
    .kernarg_segment_size: 344
    .language:       OpenCL C
    .language_version:
      - 2
      - 0
    .max_flat_workgroup_size: 512
    .name:           _ZN9rocsolver6v33100L32stedc_mergeValues_Rescale_kernelIdEEviiPT_lS3_lS3_S3_PiS2_S2_S2_
    .private_segment_fixed_size: 0
    .sgpr_count:     30
    .sgpr_spill_count: 0
    .symbol:         _ZN9rocsolver6v33100L32stedc_mergeValues_Rescale_kernelIdEEviiPT_lS3_lS3_S3_PiS2_S2_S2_.kd
    .uniform_work_group_size: 1
    .uses_dynamic_stack: false
    .vgpr_count:     20
    .vgpr_spill_count: 0
    .wavefront_size: 64
  - .agpr_count:     0
    .args:
      - .offset:         0
        .size:           4
        .value_kind:     by_value
      - .offset:         4
        .size:           4
        .value_kind:     by_value
      - .address_space:  global
        .offset:         8
        .size:           8
        .value_kind:     global_buffer
      - .offset:         16
        .size:           4
        .value_kind:     by_value
      - .offset:         20
        .size:           4
        .value_kind:     by_value
      - .offset:         24
        .size:           8
        .value_kind:     by_value
      - .address_space:  global
        .offset:         32
        .size:           8
        .value_kind:     global_buffer
      - .address_space:  global
        .offset:         40
        .size:           8
        .value_kind:     global_buffer
      - .address_space:  global
        .offset:         48
        .size:           8
        .value_kind:     global_buffer
      - .offset:         56
        .size:           4
        .value_kind:     hidden_block_count_x
      - .offset:         60
        .size:           4
        .value_kind:     hidden_block_count_y
      - .offset:         64
        .size:           4
        .value_kind:     hidden_block_count_z
      - .offset:         68
        .size:           2
        .value_kind:     hidden_group_size_x
      - .offset:         70
        .size:           2
        .value_kind:     hidden_group_size_y
      - .offset:         72
        .size:           2
        .value_kind:     hidden_group_size_z
      - .offset:         74
        .size:           2
        .value_kind:     hidden_remainder_x
      - .offset:         76
        .size:           2
        .value_kind:     hidden_remainder_y
      - .offset:         78
        .size:           2
        .value_kind:     hidden_remainder_z
      - .offset:         96
        .size:           8
        .value_kind:     hidden_global_offset_x
      - .offset:         104
        .size:           8
        .value_kind:     hidden_global_offset_y
      - .offset:         112
        .size:           8
        .value_kind:     hidden_global_offset_z
      - .offset:         120
        .size:           2
        .value_kind:     hidden_grid_dims
    .group_segment_fixed_size: 4096
    .kernarg_segment_align: 8
    .kernarg_segment_size: 312
    .language:       OpenCL C
    .language_version:
      - 2
      - 0
    .max_flat_workgroup_size: 512
    .name:           _ZN9rocsolver6v33100L25stedc_mergeVectors_kernelILb1EdEEviiPT0_iilS3_S3_Pi
    .private_segment_fixed_size: 0
    .sgpr_count:     29
    .sgpr_spill_count: 0
    .symbol:         _ZN9rocsolver6v33100L25stedc_mergeVectors_kernelILb1EdEEviiPT0_iilS3_S3_Pi.kd
    .uniform_work_group_size: 1
    .uses_dynamic_stack: false
    .vgpr_count:     24
    .vgpr_spill_count: 0
    .wavefront_size: 64
  - .agpr_count:     0
    .args:
      - .offset:         0
        .size:           4
        .value_kind:     by_value
      - .offset:         4
        .size:           4
        .value_kind:     by_value
      - .address_space:  global
        .offset:         8
        .size:           8
        .value_kind:     global_buffer
      - .offset:         16
        .size:           8
        .value_kind:     by_value
      - .address_space:  global
        .offset:         24
        .size:           8
        .value_kind:     global_buffer
      - .offset:         32
        .size:           4
        .value_kind:     by_value
      - .offset:         36
        .size:           4
        .value_kind:     by_value
      - .offset:         40
        .size:           8
        .value_kind:     by_value
      - .address_space:  global
        .offset:         48
        .size:           8
        .value_kind:     global_buffer
      - .address_space:  global
        .offset:         56
        .size:           8
        .value_kind:     global_buffer
      - .address_space:  global
        .offset:         64
        .size:           8
        .value_kind:     global_buffer
      - .offset:         72
        .size:           4
        .value_kind:     hidden_block_count_x
      - .offset:         76
        .size:           4
        .value_kind:     hidden_block_count_y
      - .offset:         80
        .size:           4
        .value_kind:     hidden_block_count_z
      - .offset:         84
        .size:           2
        .value_kind:     hidden_group_size_x
      - .offset:         86
        .size:           2
        .value_kind:     hidden_group_size_y
      - .offset:         88
        .size:           2
        .value_kind:     hidden_group_size_z
      - .offset:         90
        .size:           2
        .value_kind:     hidden_remainder_x
      - .offset:         92
        .size:           2
        .value_kind:     hidden_remainder_y
      - .offset:         94
        .size:           2
        .value_kind:     hidden_remainder_z
      - .offset:         112
        .size:           8
        .value_kind:     hidden_global_offset_x
      - .offset:         120
        .size:           8
        .value_kind:     hidden_global_offset_y
      - .offset:         128
        .size:           8
        .value_kind:     hidden_global_offset_z
      - .offset:         136
        .size:           2
        .value_kind:     hidden_grid_dims
    .group_segment_fixed_size: 0
    .kernarg_segment_align: 8
    .kernarg_segment_size: 328
    .language:       OpenCL C
    .language_version:
      - 2
      - 0
    .max_flat_workgroup_size: 512
    .name:           _ZN9rocsolver6v33100L24stedc_mergeUpdate_kernelIdEEviiPT_lS3_iilS3_S3_Pi
    .private_segment_fixed_size: 0
    .sgpr_count:     32
    .sgpr_spill_count: 0
    .symbol:         _ZN9rocsolver6v33100L24stedc_mergeUpdate_kernelIdEEviiPT_lS3_iilS3_S3_Pi.kd
    .uniform_work_group_size: 1
    .uses_dynamic_stack: false
    .vgpr_count:     8
    .vgpr_spill_count: 0
    .wavefront_size: 64
  - .agpr_count:     0
    .args:
      - .offset:         0
        .size:           4
        .value_kind:     by_value
      - .address_space:  global
        .offset:         8
        .size:           8
        .value_kind:     global_buffer
      - .offset:         16
        .size:           8
        .value_kind:     by_value
      - .address_space:  global
        .offset:         24
        .size:           8
        .value_kind:     global_buffer
      - .offset:         32
        .size:           8
        .value_kind:     by_value
      - .offset:         40
        .size:           4
        .value_kind:     hidden_block_count_x
      - .offset:         44
        .size:           4
        .value_kind:     hidden_block_count_y
      - .offset:         48
        .size:           4
        .value_kind:     hidden_block_count_z
      - .offset:         52
        .size:           2
        .value_kind:     hidden_group_size_x
      - .offset:         54
        .size:           2
        .value_kind:     hidden_group_size_y
      - .offset:         56
        .size:           2
        .value_kind:     hidden_group_size_z
      - .offset:         58
        .size:           2
        .value_kind:     hidden_remainder_x
      - .offset:         60
        .size:           2
        .value_kind:     hidden_remainder_y
      - .offset:         62
        .size:           2
        .value_kind:     hidden_remainder_z
      - .offset:         80
        .size:           8
        .value_kind:     hidden_global_offset_x
      - .offset:         88
        .size:           8
        .value_kind:     hidden_global_offset_y
      - .offset:         96
        .size:           8
        .value_kind:     hidden_global_offset_z
      - .offset:         104
        .size:           2
        .value_kind:     hidden_grid_dims
    .group_segment_fixed_size: 0
    .kernarg_segment_align: 8
    .kernarg_segment_size: 296
    .language:       OpenCL C
    .language_version:
      - 2
      - 0
    .max_flat_workgroup_size: 512
    .name:           _ZN9rocsolver6v33100L11stedc_copyDIdEEviPT_lS3_l
    .private_segment_fixed_size: 0
    .sgpr_count:     61
    .sgpr_spill_count: 0
    .symbol:         _ZN9rocsolver6v33100L11stedc_copyDIdEEviPT_lS3_l.kd
    .uniform_work_group_size: 1
    .uses_dynamic_stack: false
    .vgpr_count:     66
    .vgpr_spill_count: 0
    .wavefront_size: 64
  - .agpr_count:     0
    .args:
      - .offset:         0
        .size:           4
        .value_kind:     by_value
      - .address_space:  global
        .offset:         8
        .size:           8
        .value_kind:     global_buffer
      - .offset:         16
        .size:           8
        .value_kind:     by_value
      - .address_space:  global
        .offset:         24
        .size:           8
        .value_kind:     global_buffer
      - .offset:         32
        .size:           8
        .value_kind:     by_value
      - .address_space:  global
        .offset:         40
        .size:           8
        .value_kind:     global_buffer
      - .offset:         48
        .size:           4
        .value_kind:     by_value
      - .offset:         52
        .size:           4
        .value_kind:     by_value
      - .offset:         56
        .size:           8
        .value_kind:     by_value
      - .address_space:  global
        .offset:         64
        .size:           8
        .value_kind:     global_buffer
      - .offset:         72
        .size:           4
        .value_kind:     by_value
      - .offset:         76
        .size:           4
        .value_kind:     by_value
      - .offset:         80
        .size:           8
        .value_kind:     by_value
      - .offset:         88
        .size:           4
        .value_kind:     hidden_block_count_x
      - .offset:         92
        .size:           4
        .value_kind:     hidden_block_count_y
      - .offset:         96
        .size:           4
        .value_kind:     hidden_block_count_z
      - .offset:         100
        .size:           2
        .value_kind:     hidden_group_size_x
      - .offset:         102
        .size:           2
        .value_kind:     hidden_group_size_y
      - .offset:         104
        .size:           2
        .value_kind:     hidden_group_size_z
      - .offset:         106
        .size:           2
        .value_kind:     hidden_remainder_x
      - .offset:         108
        .size:           2
        .value_kind:     hidden_remainder_y
      - .offset:         110
        .size:           2
        .value_kind:     hidden_remainder_z
      - .offset:         128
        .size:           8
        .value_kind:     hidden_global_offset_x
      - .offset:         136
        .size:           8
        .value_kind:     hidden_global_offset_y
      - .offset:         144
        .size:           8
        .value_kind:     hidden_global_offset_z
      - .offset:         152
        .size:           2
        .value_kind:     hidden_grid_dims
    .group_segment_fixed_size: 2048
    .kernarg_segment_align: 8
    .kernarg_segment_size: 344
    .language:       OpenCL C
    .language_version:
      - 2
      - 0
    .max_flat_workgroup_size: 512
    .name:           _ZN9rocsolver6v33100L10stedc_sortIddPdS2_EEviPT0_lS4_lT1_iilT2_iil
    .private_segment_fixed_size: 0
    .sgpr_count:     77
    .sgpr_spill_count: 0
    .symbol:         _ZN9rocsolver6v33100L10stedc_sortIddPdS2_EEviPT0_lS4_lT1_iilT2_iil.kd
    .uniform_work_group_size: 1
    .uses_dynamic_stack: false
    .vgpr_count:     68
    .vgpr_spill_count: 0
    .wavefront_size: 64
  - .agpr_count:     0
    .args:
      - .offset:         0
        .size:           4
        .value_kind:     by_value
      - .offset:         4
        .size:           4
        .value_kind:     by_value
      - .address_space:  global
        .offset:         8
        .size:           8
        .value_kind:     global_buffer
      - .offset:         16
        .size:           8
        .value_kind:     by_value
      - .offset:         24
        .size:           4
        .value_kind:     by_value
      - .offset:         32
        .size:           8
        .value_kind:     by_value
    .group_segment_fixed_size: 0
    .kernarg_segment_align: 8
    .kernarg_segment_size: 40
    .language:       OpenCL C
    .language_version:
      - 2
      - 0
    .max_flat_workgroup_size: 1024
    .name:           _ZN9rocsolver6v33100L13conj_in_placeIdiPdTnNSt9enable_ifIXnt18rocblas_is_complexIT_EEiE4typeELi0EEEvT0_S7_T1_lS7_l
    .private_segment_fixed_size: 0
    .sgpr_count:     4
    .sgpr_spill_count: 0
    .symbol:         _ZN9rocsolver6v33100L13conj_in_placeIdiPdTnNSt9enable_ifIXnt18rocblas_is_complexIT_EEiE4typeELi0EEEvT0_S7_T1_lS7_l.kd
    .uniform_work_group_size: 1
    .uses_dynamic_stack: false
    .vgpr_count:     0
    .vgpr_spill_count: 0
    .wavefront_size: 64
  - .agpr_count:     0
    .args:
      - .offset:         0
        .size:           4
        .value_kind:     by_value
      - .offset:         4
        .size:           4
        .value_kind:     by_value
      - .address_space:  global
        .offset:         8
        .size:           8
        .value_kind:     global_buffer
      - .offset:         16
        .size:           8
        .value_kind:     by_value
      - .offset:         24
        .size:           4
        .value_kind:     by_value
      - .offset:         32
        .size:           8
        .value_kind:     by_value
      - .address_space:  global
        .offset:         40
        .size:           8
        .value_kind:     global_buffer
      - .offset:         48
        .size:           8
        .value_kind:     by_value
      - .address_space:  global
        .offset:         56
        .size:           8
        .value_kind:     global_buffer
      - .offset:         64
        .size:           8
        .value_kind:     by_value
      - .offset:         72
        .size:           4
        .value_kind:     by_value
      - .offset:         80
        .size:           8
        .value_kind:     by_value
    .group_segment_fixed_size: 0
    .kernarg_segment_align: 8
    .kernarg_segment_size: 88
    .language:       OpenCL C
    .language_version:
      - 2
      - 0
    .max_flat_workgroup_size: 1024
    .name:           _ZN9rocsolver6v33100L16larf_left_kernelILi1024EdiPdEEvT1_S3_T2_lS3_lPKT0_lS4_lS3_l
    .private_segment_fixed_size: 0
    .sgpr_count:     40
    .sgpr_spill_count: 0
    .symbol:         _ZN9rocsolver6v33100L16larf_left_kernelILi1024EdiPdEEvT1_S3_T2_lS3_lPKT0_lS4_lS3_l.kd
    .uniform_work_group_size: 1
    .uses_dynamic_stack: false
    .vgpr_count:     20
    .vgpr_spill_count: 0
    .wavefront_size: 64
  - .agpr_count:     0
    .args:
      - .offset:         0
        .size:           4
        .value_kind:     by_value
      - .offset:         4
        .size:           4
        .value_kind:     by_value
      - .address_space:  global
        .offset:         8
        .size:           8
        .value_kind:     global_buffer
      - .offset:         16
        .size:           8
        .value_kind:     by_value
      - .offset:         24
        .size:           4
        .value_kind:     by_value
      - .offset:         32
        .size:           8
        .value_kind:     by_value
      - .address_space:  global
        .offset:         40
        .size:           8
        .value_kind:     global_buffer
      - .offset:         48
        .size:           8
        .value_kind:     by_value
      - .address_space:  global
        .offset:         56
        .size:           8
        .value_kind:     global_buffer
      - .offset:         64
        .size:           8
        .value_kind:     by_value
      - .offset:         72
        .size:           4
        .value_kind:     by_value
      - .offset:         80
        .size:           8
        .value_kind:     by_value
    .group_segment_fixed_size: 0
    .kernarg_segment_align: 8
    .kernarg_segment_size: 88
    .language:       OpenCL C
    .language_version:
      - 2
      - 0
    .max_flat_workgroup_size: 1024
    .name:           _ZN9rocsolver6v33100L17larf_right_kernelILi1024EdiPdEEvT1_S3_T2_lS3_lPKT0_lS4_lS3_l
    .private_segment_fixed_size: 0
    .sgpr_count:     40
    .sgpr_spill_count: 0
    .symbol:         _ZN9rocsolver6v33100L17larf_right_kernelILi1024EdiPdEEvT1_S3_T2_lS3_lPKT0_lS4_lS3_l.kd
    .uniform_work_group_size: 1
    .uses_dynamic_stack: false
    .vgpr_count:     21
    .vgpr_spill_count: 0
    .wavefront_size: 64
  - .agpr_count:     0
    .args:
      - .address_space:  global
        .offset:         0
        .size:           8
        .value_kind:     global_buffer
      - .offset:         8
        .size:           8
        .value_kind:     by_value
      - .offset:         16
        .size:           8
        .value_kind:     by_value
      - .address_space:  global
        .offset:         24
        .size:           8
        .value_kind:     global_buffer
      - .offset:         32
        .size:           8
        .value_kind:     by_value
      - .offset:         40
        .size:           4
        .value_kind:     by_value
      - .offset:         48
        .size:           8
        .value_kind:     by_value
      - .offset:         56
        .size:           4
        .value_kind:     by_value
      - .offset:         64
        .size:           4
        .value_kind:     hidden_block_count_x
      - .offset:         68
        .size:           4
        .value_kind:     hidden_block_count_y
      - .offset:         72
        .size:           4
        .value_kind:     hidden_block_count_z
      - .offset:         76
        .size:           2
        .value_kind:     hidden_group_size_x
      - .offset:         78
        .size:           2
        .value_kind:     hidden_group_size_y
      - .offset:         80
        .size:           2
        .value_kind:     hidden_group_size_z
      - .offset:         82
        .size:           2
        .value_kind:     hidden_remainder_x
      - .offset:         84
        .size:           2
        .value_kind:     hidden_remainder_y
      - .offset:         86
        .size:           2
        .value_kind:     hidden_remainder_z
      - .offset:         104
        .size:           8
        .value_kind:     hidden_global_offset_x
      - .offset:         112
        .size:           8
        .value_kind:     hidden_global_offset_y
      - .offset:         120
        .size:           8
        .value_kind:     hidden_global_offset_z
      - .offset:         128
        .size:           2
        .value_kind:     hidden_grid_dims
    .group_segment_fixed_size: 0
    .kernarg_segment_align: 8
    .kernarg_segment_size: 320
    .language:       OpenCL C
    .language_version:
      - 2
      - 0
    .max_flat_workgroup_size: 1024
    .name:           _ZN9rocsolver6v33100L12restore_diagIdidPdEEvPT1_llT2_lT0_lS6_
    .private_segment_fixed_size: 0
    .sgpr_count:     20
    .sgpr_spill_count: 0
    .symbol:         _ZN9rocsolver6v33100L12restore_diagIdidPdEEvPT1_llT2_lT0_lS6_.kd
    .uniform_work_group_size: 1
    .uses_dynamic_stack: false
    .vgpr_count:     5
    .vgpr_spill_count: 0
    .wavefront_size: 64
  - .agpr_count:     0
    .args:
      - .offset:         0
        .size:           4
        .value_kind:     by_value
      - .offset:         4
        .size:           4
        .value_kind:     by_value
      - .address_space:  global
        .offset:         8
        .size:           8
        .value_kind:     global_buffer
      - .offset:         16
        .size:           4
        .value_kind:     by_value
      - .offset:         20
        .size:           4
        .value_kind:     by_value
      - .offset:         24
        .size:           8
        .value_kind:     by_value
      - .address_space:  global
        .offset:         32
        .size:           8
        .value_kind:     global_buffer
      - .offset:         40
        .size:           8
        .value_kind:     by_value
      - .address_space:  global
        .offset:         48
        .size:           8
        .value_kind:     global_buffer
      - .offset:         56
        .size:           4
        .value_kind:     by_value
      - .offset:         64
        .size:           8
        .value_kind:     by_value
      - .offset:         72
        .size:           4
        .value_kind:     by_value
      - .offset:         76
        .size:           4
        .value_kind:     by_value
      - .offset:         80
        .size:           1
        .value_kind:     by_value
      - .offset:         88
        .size:           4
        .value_kind:     hidden_block_count_x
      - .offset:         92
        .size:           4
        .value_kind:     hidden_block_count_y
      - .offset:         96
        .size:           4
        .value_kind:     hidden_block_count_z
      - .offset:         100
        .size:           2
        .value_kind:     hidden_group_size_x
      - .offset:         102
        .size:           2
        .value_kind:     hidden_group_size_y
      - .offset:         104
        .size:           2
        .value_kind:     hidden_group_size_z
      - .offset:         106
        .size:           2
        .value_kind:     hidden_remainder_x
      - .offset:         108
        .size:           2
        .value_kind:     hidden_remainder_y
      - .offset:         110
        .size:           2
        .value_kind:     hidden_remainder_z
      - .offset:         128
        .size:           8
        .value_kind:     hidden_global_offset_x
      - .offset:         136
        .size:           8
        .value_kind:     hidden_global_offset_y
      - .offset:         144
        .size:           8
        .value_kind:     hidden_global_offset_z
      - .offset:         152
        .size:           2
        .value_kind:     hidden_grid_dims
    .group_segment_fixed_size: 0
    .kernarg_segment_align: 8
    .kernarg_segment_size: 344
    .language:       OpenCL C
    .language_version:
      - 2
      - 0
    .max_flat_workgroup_size: 1024
    .name:           _ZN9rocsolver6v33100L14set_triangularIdPdTnNSt9enable_ifIXnt18rocblas_is_complexIT_EEiE4typeELi0EEEviiT0_iilPS4_lS8_il15rocblas_direct_15rocblas_storev_b
    .private_segment_fixed_size: 0
    .sgpr_count:     27
    .sgpr_spill_count: 0
    .symbol:         _ZN9rocsolver6v33100L14set_triangularIdPdTnNSt9enable_ifIXnt18rocblas_is_complexIT_EEiE4typeELi0EEEviiT0_iilPS4_lS8_il15rocblas_direct_15rocblas_storev_b.kd
    .uniform_work_group_size: 1
    .uses_dynamic_stack: false
    .vgpr_count:     18
    .vgpr_spill_count: 0
    .wavefront_size: 64
  - .agpr_count:     0
    .args:
      - .offset:         0
        .size:           4
        .value_kind:     by_value
      - .address_space:  global
        .offset:         8
        .size:           8
        .value_kind:     global_buffer
      - .offset:         16
        .size:           8
        .value_kind:     by_value
      - .offset:         24
        .size:           4
        .value_kind:     hidden_block_count_x
      - .offset:         28
        .size:           4
        .value_kind:     hidden_block_count_y
      - .offset:         32
        .size:           4
        .value_kind:     hidden_block_count_z
      - .offset:         36
        .size:           2
        .value_kind:     hidden_group_size_x
      - .offset:         38
        .size:           2
        .value_kind:     hidden_group_size_y
      - .offset:         40
        .size:           2
        .value_kind:     hidden_group_size_z
      - .offset:         42
        .size:           2
        .value_kind:     hidden_remainder_x
      - .offset:         44
        .size:           2
        .value_kind:     hidden_remainder_y
      - .offset:         46
        .size:           2
        .value_kind:     hidden_remainder_z
      - .offset:         64
        .size:           8
        .value_kind:     hidden_global_offset_x
      - .offset:         72
        .size:           8
        .value_kind:     hidden_global_offset_y
      - .offset:         80
        .size:           8
        .value_kind:     hidden_global_offset_z
      - .offset:         88
        .size:           2
        .value_kind:     hidden_grid_dims
    .group_segment_fixed_size: 0
    .kernarg_segment_align: 8
    .kernarg_segment_size: 280
    .language:       OpenCL C
    .language_version:
      - 2
      - 0
    .max_flat_workgroup_size: 1024
    .name:           _ZN9rocsolver6v33100L7set_tauIdEEviPT_l
    .private_segment_fixed_size: 0
    .sgpr_count:     12
    .sgpr_spill_count: 0
    .symbol:         _ZN9rocsolver6v33100L7set_tauIdEEviPT_l.kd
    .uniform_work_group_size: 1
    .uses_dynamic_stack: false
    .vgpr_count:     4
    .vgpr_spill_count: 0
    .wavefront_size: 64
  - .agpr_count:     0
    .args:
      - .offset:         0
        .size:           4
        .value_kind:     by_value
      - .offset:         4
        .size:           4
        .value_kind:     by_value
      - .offset:         8
        .size:           4
        .value_kind:     by_value
      - .address_space:  global
        .offset:         16
        .size:           8
        .value_kind:     global_buffer
      - .offset:         24
        .size:           4
        .value_kind:     by_value
      - .offset:         28
        .size:           4
        .value_kind:     by_value
      - .offset:         32
        .size:           8
        .value_kind:     by_value
      - .address_space:  global
        .offset:         40
        .size:           8
        .value_kind:     global_buffer
      - .offset:         48
        .size:           8
        .value_kind:     by_value
      - .address_space:  global
        .offset:         56
        .size:           8
        .value_kind:     global_buffer
      - .offset:         64
        .size:           4
        .value_kind:     by_value
      - .offset:         72
        .size:           8
        .value_kind:     by_value
      - .offset:         80
        .size:           4
        .value_kind:     hidden_block_count_x
      - .offset:         84
        .size:           4
        .value_kind:     hidden_block_count_y
      - .offset:         88
        .size:           4
        .value_kind:     hidden_block_count_z
      - .offset:         92
        .size:           2
        .value_kind:     hidden_group_size_x
      - .offset:         94
        .size:           2
        .value_kind:     hidden_group_size_y
      - .offset:         96
        .size:           2
        .value_kind:     hidden_group_size_z
      - .offset:         98
        .size:           2
        .value_kind:     hidden_remainder_x
      - .offset:         100
        .size:           2
        .value_kind:     hidden_remainder_y
      - .offset:         102
        .size:           2
        .value_kind:     hidden_remainder_z
      - .offset:         120
        .size:           8
        .value_kind:     hidden_global_offset_x
      - .offset:         128
        .size:           8
        .value_kind:     hidden_global_offset_y
      - .offset:         136
        .size:           8
        .value_kind:     hidden_global_offset_z
      - .offset:         144
        .size:           2
        .value_kind:     hidden_grid_dims
      - .offset:         200
        .size:           4
        .value_kind:     hidden_dynamic_lds_size
    .group_segment_fixed_size: 0
    .kernarg_segment_align: 8
    .kernarg_segment_size: 336
    .language:       OpenCL C
    .language_version:
      - 2
      - 0
    .max_flat_workgroup_size: 1024
    .name:           _ZN9rocsolver6v33100L20larft_kernel_forwardIdPdEEv15rocblas_storev_iiT0_iilPT_lS6_il
    .private_segment_fixed_size: 0
    .sgpr_count:     54
    .sgpr_spill_count: 0
    .symbol:         _ZN9rocsolver6v33100L20larft_kernel_forwardIdPdEEv15rocblas_storev_iiT0_iilPT_lS6_il.kd
    .uniform_work_group_size: 1
    .uses_dynamic_stack: false
    .vgpr_count:     20
    .vgpr_spill_count: 0
    .wavefront_size: 64
  - .agpr_count:     0
    .args:
      - .offset:         0
        .size:           4
        .value_kind:     by_value
      - .offset:         4
        .size:           4
        .value_kind:     by_value
      - .offset:         8
        .size:           4
        .value_kind:     by_value
      - .address_space:  global
        .offset:         16
        .size:           8
        .value_kind:     global_buffer
      - .offset:         24
        .size:           4
        .value_kind:     by_value
      - .offset:         28
        .size:           4
        .value_kind:     by_value
      - .offset:         32
        .size:           8
        .value_kind:     by_value
      - .address_space:  global
        .offset:         40
        .size:           8
        .value_kind:     global_buffer
      - .offset:         48
        .size:           8
        .value_kind:     by_value
      - .address_space:  global
        .offset:         56
        .size:           8
        .value_kind:     global_buffer
      - .offset:         64
        .size:           4
        .value_kind:     by_value
      - .offset:         72
        .size:           8
        .value_kind:     by_value
      - .offset:         80
        .size:           4
        .value_kind:     hidden_block_count_x
      - .offset:         84
        .size:           4
        .value_kind:     hidden_block_count_y
      - .offset:         88
        .size:           4
        .value_kind:     hidden_block_count_z
      - .offset:         92
        .size:           2
        .value_kind:     hidden_group_size_x
      - .offset:         94
        .size:           2
        .value_kind:     hidden_group_size_y
      - .offset:         96
        .size:           2
        .value_kind:     hidden_group_size_z
      - .offset:         98
        .size:           2
        .value_kind:     hidden_remainder_x
      - .offset:         100
        .size:           2
        .value_kind:     hidden_remainder_y
      - .offset:         102
        .size:           2
        .value_kind:     hidden_remainder_z
      - .offset:         120
        .size:           8
        .value_kind:     hidden_global_offset_x
      - .offset:         128
        .size:           8
        .value_kind:     hidden_global_offset_y
      - .offset:         136
        .size:           8
        .value_kind:     hidden_global_offset_z
      - .offset:         144
        .size:           2
        .value_kind:     hidden_grid_dims
      - .offset:         200
        .size:           4
        .value_kind:     hidden_dynamic_lds_size
    .group_segment_fixed_size: 0
    .kernarg_segment_align: 8
    .kernarg_segment_size: 336
    .language:       OpenCL C
    .language_version:
      - 2
      - 0
    .max_flat_workgroup_size: 1024
    .name:           _ZN9rocsolver6v33100L21larft_kernel_backwardIdPdEEv15rocblas_storev_iiT0_iilPT_lS6_il
    .private_segment_fixed_size: 0
    .sgpr_count:     56
    .sgpr_spill_count: 0
    .symbol:         _ZN9rocsolver6v33100L21larft_kernel_backwardIdPdEEv15rocblas_storev_iiT0_iilPT_lS6_il.kd
    .uniform_work_group_size: 1
    .uses_dynamic_stack: false
    .vgpr_count:     16
    .vgpr_spill_count: 0
    .wavefront_size: 64
  - .agpr_count:     0
    .args:
      - .offset:         0
        .size:           4
        .value_kind:     by_value
      - .offset:         4
        .size:           4
        .value_kind:     by_value
      - .address_space:  global
        .offset:         8
        .size:           8
        .value_kind:     global_buffer
      - .offset:         16
        .size:           4
        .value_kind:     by_value
      - .offset:         20
        .size:           4
        .value_kind:     by_value
      - .offset:         24
        .size:           8
        .value_kind:     by_value
      - .address_space:  global
        .offset:         32
        .size:           8
        .value_kind:     global_buffer
      - .offset:         40
        .size:           4
        .value_kind:     hidden_block_count_x
      - .offset:         44
        .size:           4
        .value_kind:     hidden_block_count_y
      - .offset:         48
        .size:           4
        .value_kind:     hidden_block_count_z
      - .offset:         52
        .size:           2
        .value_kind:     hidden_group_size_x
      - .offset:         54
        .size:           2
        .value_kind:     hidden_group_size_y
      - .offset:         56
        .size:           2
        .value_kind:     hidden_group_size_z
      - .offset:         58
        .size:           2
        .value_kind:     hidden_remainder_x
      - .offset:         60
        .size:           2
        .value_kind:     hidden_remainder_y
      - .offset:         62
        .size:           2
        .value_kind:     hidden_remainder_z
      - .offset:         80
        .size:           8
        .value_kind:     hidden_global_offset_x
      - .offset:         88
        .size:           8
        .value_kind:     hidden_global_offset_y
      - .offset:         96
        .size:           8
        .value_kind:     hidden_global_offset_z
      - .offset:         104
        .size:           2
        .value_kind:     hidden_grid_dims
    .group_segment_fixed_size: 0
    .kernarg_segment_align: 8
    .kernarg_segment_size: 296
    .language:       OpenCL C
    .language_version:
      - 2
      - 0
    .max_flat_workgroup_size: 1024
    .name:           _ZN9rocsolver6v33100L9copymatA1IdPdEEviiT0_iilPT_
    .private_segment_fixed_size: 0
    .sgpr_count:     24
    .sgpr_spill_count: 0
    .symbol:         _ZN9rocsolver6v33100L9copymatA1IdPdEEviiT0_iilPT_.kd
    .uniform_work_group_size: 1
    .uses_dynamic_stack: false
    .vgpr_count:     6
    .vgpr_spill_count: 0
    .wavefront_size: 64
  - .agpr_count:     0
    .args:
      - .offset:         0
        .size:           4
        .value_kind:     by_value
      - .offset:         4
        .size:           4
        .value_kind:     by_value
      - .address_space:  global
        .offset:         8
        .size:           8
        .value_kind:     global_buffer
      - .offset:         16
        .size:           4
        .value_kind:     by_value
      - .offset:         20
        .size:           4
        .value_kind:     by_value
      - .offset:         24
        .size:           8
        .value_kind:     by_value
      - .address_space:  global
        .offset:         32
        .size:           8
        .value_kind:     global_buffer
      - .offset:         40
        .size:           4
        .value_kind:     hidden_block_count_x
      - .offset:         44
        .size:           4
        .value_kind:     hidden_block_count_y
      - .offset:         48
        .size:           4
        .value_kind:     hidden_block_count_z
      - .offset:         52
        .size:           2
        .value_kind:     hidden_group_size_x
      - .offset:         54
        .size:           2
        .value_kind:     hidden_group_size_y
      - .offset:         56
        .size:           2
        .value_kind:     hidden_group_size_z
      - .offset:         58
        .size:           2
        .value_kind:     hidden_remainder_x
      - .offset:         60
        .size:           2
        .value_kind:     hidden_remainder_y
      - .offset:         62
        .size:           2
        .value_kind:     hidden_remainder_z
      - .offset:         80
        .size:           8
        .value_kind:     hidden_global_offset_x
      - .offset:         88
        .size:           8
        .value_kind:     hidden_global_offset_y
      - .offset:         96
        .size:           8
        .value_kind:     hidden_global_offset_z
      - .offset:         104
        .size:           2
        .value_kind:     hidden_grid_dims
    .group_segment_fixed_size: 0
    .kernarg_segment_align: 8
    .kernarg_segment_size: 296
    .language:       OpenCL C
    .language_version:
      - 2
      - 0
    .max_flat_workgroup_size: 1024
    .name:           _ZN9rocsolver6v33100L8addmatA1IdPdEEviiT0_iilPT_
    .private_segment_fixed_size: 0
    .sgpr_count:     19
    .sgpr_spill_count: 0
    .symbol:         _ZN9rocsolver6v33100L8addmatA1IdPdEEviiT0_iilPT_.kd
    .uniform_work_group_size: 1
    .uses_dynamic_stack: false
    .vgpr_count:     6
    .vgpr_spill_count: 0
    .wavefront_size: 64
  - .agpr_count:     0
    .args:
      - .offset:         0
        .size:           4
        .value_kind:     by_value
      - .offset:         4
        .size:           4
        .value_kind:     by_value
      - .address_space:  global
        .offset:         8
        .size:           8
        .value_kind:     global_buffer
      - .offset:         16
        .size:           4
        .value_kind:     by_value
      - .offset:         20
        .size:           4
        .value_kind:     by_value
      - .offset:         24
        .size:           8
        .value_kind:     by_value
      - .address_space:  global
        .offset:         32
        .size:           8
        .value_kind:     global_buffer
      - .offset:         40
        .size:           4
        .value_kind:     by_value
      - .offset:         44
        .size:           4
        .value_kind:     by_value
      - .offset:         48
        .size:           8
        .value_kind:     by_value
      - .offset:         56
        .size:           1
        .value_kind:     by_value
      - .offset:         60
        .size:           4
        .value_kind:     by_value
      - .offset:         64
        .size:           4
        .value_kind:     by_value
      - .offset:         72
        .size:           4
        .value_kind:     hidden_block_count_x
      - .offset:         76
        .size:           4
        .value_kind:     hidden_block_count_y
      - .offset:         80
        .size:           4
        .value_kind:     hidden_block_count_z
      - .offset:         84
        .size:           2
        .value_kind:     hidden_group_size_x
      - .offset:         86
        .size:           2
        .value_kind:     hidden_group_size_y
      - .offset:         88
        .size:           2
        .value_kind:     hidden_group_size_z
      - .offset:         90
        .size:           2
        .value_kind:     hidden_remainder_x
      - .offset:         92
        .size:           2
        .value_kind:     hidden_remainder_y
      - .offset:         94
        .size:           2
        .value_kind:     hidden_remainder_z
      - .offset:         112
        .size:           8
        .value_kind:     hidden_global_offset_x
      - .offset:         120
        .size:           8
        .value_kind:     hidden_global_offset_y
      - .offset:         128
        .size:           8
        .value_kind:     hidden_global_offset_z
      - .offset:         136
        .size:           2
        .value_kind:     hidden_grid_dims
    .group_segment_fixed_size: 0
    .kernarg_segment_align: 8
    .kernarg_segment_size: 328
    .language:       OpenCL C
    .language_version:
      - 2
      - 0
    .max_flat_workgroup_size: 1024
    .name:           _ZN9rocsolver6v33100L8copy_matIdPdS2_NS0_7no_maskEEEviiT0_iilT1_iilT2_13rocblas_fill_17rocblas_diagonal_
    .private_segment_fixed_size: 0
    .sgpr_count:     24
    .sgpr_spill_count: 0
    .symbol:         _ZN9rocsolver6v33100L8copy_matIdPdS2_NS0_7no_maskEEEviiT0_iilT1_iilT2_13rocblas_fill_17rocblas_diagonal_.kd
    .uniform_work_group_size: 1
    .uses_dynamic_stack: false
    .vgpr_count:     6
    .vgpr_spill_count: 0
    .wavefront_size: 64
  - .agpr_count:     0
    .args:
      - .offset:         0
        .size:           4
        .value_kind:     by_value
      - .offset:         4
        .size:           4
        .value_kind:     by_value
      - .address_space:  global
        .offset:         8
        .size:           8
        .value_kind:     global_buffer
      - .offset:         16
        .size:           8
        .value_kind:     by_value
      - .offset:         24
        .size:           4
        .value_kind:     by_value
      - .offset:         32
        .size:           8
        .value_kind:     by_value
      - .address_space:  global
        .offset:         40
        .size:           8
        .value_kind:     global_buffer
      - .offset:         48
        .size:           8
        .value_kind:     by_value
      - .address_space:  global
        .offset:         56
        .size:           8
        .value_kind:     global_buffer
      - .offset:         64
        .size:           8
        .value_kind:     by_value
    .group_segment_fixed_size: 0
    .kernarg_segment_align: 8
    .kernarg_segment_size: 72
    .language:       OpenCL C
    .language_version:
      - 2
      - 0
    .max_flat_workgroup_size: 256
    .name:           _ZN9rocsolver6v33100L18geqr2_kernel_smallILi256EdidPdEEvT1_S3_T3_lS3_lPT2_lPT0_l
    .private_segment_fixed_size: 0
    .sgpr_count:     54
    .sgpr_spill_count: 0
    .symbol:         _ZN9rocsolver6v33100L18geqr2_kernel_smallILi256EdidPdEEvT1_S3_T3_lS3_lPT2_lPT0_l.kd
    .uniform_work_group_size: 1
    .uses_dynamic_stack: false
    .vgpr_count:     36
    .vgpr_spill_count: 0
    .wavefront_size: 64
  - .agpr_count:     0
    .args:
      - .offset:         0
        .size:           4
        .value_kind:     by_value
      - .address_space:  global
        .offset:         8
        .size:           8
        .value_kind:     global_buffer
      - .offset:         16
        .size:           8
        .value_kind:     by_value
      - .address_space:  global
        .offset:         24
        .size:           8
        .value_kind:     global_buffer
      - .offset:         32
        .size:           4
        .value_kind:     by_value
      - .offset:         40
        .size:           8
        .value_kind:     by_value
      - .address_space:  global
        .offset:         48
        .size:           8
        .value_kind:     global_buffer
      - .offset:         56
        .size:           4
        .value_kind:     by_value
      - .offset:         64
        .size:           8
        .value_kind:     by_value
      - .offset:         72
        .size:           4
        .value_kind:     by_value
      - .offset:         80
        .size:           4
        .value_kind:     hidden_block_count_x
      - .offset:         84
        .size:           4
        .value_kind:     hidden_block_count_y
      - .offset:         88
        .size:           4
        .value_kind:     hidden_block_count_z
      - .offset:         92
        .size:           2
        .value_kind:     hidden_group_size_x
      - .offset:         94
        .size:           2
        .value_kind:     hidden_group_size_y
      - .offset:         96
        .size:           2
        .value_kind:     hidden_group_size_z
      - .offset:         98
        .size:           2
        .value_kind:     hidden_remainder_x
      - .offset:         100
        .size:           2
        .value_kind:     hidden_remainder_y
      - .offset:         102
        .size:           2
        .value_kind:     hidden_remainder_z
      - .offset:         120
        .size:           8
        .value_kind:     hidden_global_offset_x
      - .offset:         128
        .size:           8
        .value_kind:     hidden_global_offset_y
      - .offset:         136
        .size:           8
        .value_kind:     hidden_global_offset_z
      - .offset:         144
        .size:           2
        .value_kind:     hidden_grid_dims
    .group_segment_fixed_size: 0
    .kernarg_segment_align: 8
    .kernarg_segment_size: 336
    .language:       OpenCL C
    .language_version:
      - 2
      - 0
    .max_flat_workgroup_size: 1024
    .name:           _ZN9rocsolver6v33100L16gesdd_flip_signsIddEEviPT0_lPT_ilS5_ili
    .private_segment_fixed_size: 0
    .sgpr_count:     47
    .sgpr_spill_count: 0
    .symbol:         _ZN9rocsolver6v33100L16gesdd_flip_signsIddEEviPT0_lPT_ilS5_ili.kd
    .uniform_work_group_size: 1
    .uses_dynamic_stack: false
    .vgpr_count:     12
    .vgpr_spill_count: 0
    .wavefront_size: 64
  - .agpr_count:     0
    .args:
      - .offset:         0
        .size:           4
        .value_kind:     by_value
      - .offset:         4
        .size:           4
        .value_kind:     by_value
      - .offset:         8
        .size:           4
        .value_kind:     by_value
      - .address_space:  global
        .offset:         16
        .size:           8
        .value_kind:     global_buffer
      - .offset:         24
        .size:           4
        .value_kind:     by_value
      - .offset:         28
        .size:           4
        .value_kind:     by_value
      - .offset:         32
        .size:           8
        .value_kind:     by_value
      - .offset:         40
        .size:           4
        .value_kind:     hidden_block_count_x
      - .offset:         44
        .size:           4
        .value_kind:     hidden_block_count_y
      - .offset:         48
        .size:           4
        .value_kind:     hidden_block_count_z
      - .offset:         52
        .size:           2
        .value_kind:     hidden_group_size_x
      - .offset:         54
        .size:           2
        .value_kind:     hidden_group_size_y
      - .offset:         56
        .size:           2
        .value_kind:     hidden_group_size_z
      - .offset:         58
        .size:           2
        .value_kind:     hidden_remainder_x
      - .offset:         60
        .size:           2
        .value_kind:     hidden_remainder_y
      - .offset:         62
        .size:           2
        .value_kind:     hidden_remainder_z
      - .offset:         80
        .size:           8
        .value_kind:     hidden_global_offset_x
      - .offset:         88
        .size:           8
        .value_kind:     hidden_global_offset_y
      - .offset:         96
        .size:           8
        .value_kind:     hidden_global_offset_z
      - .offset:         104
        .size:           2
        .value_kind:     hidden_grid_dims
    .group_segment_fixed_size: 0
    .kernarg_segment_align: 8
    .kernarg_segment_size: 296
    .language:       OpenCL C
    .language_version:
      - 2
      - 0
    .max_flat_workgroup_size: 1024
    .name:           _ZN9rocsolver6v33100L16org2r_init_identIdPdEEviiiT0_iil
    .private_segment_fixed_size: 0
    .sgpr_count:     20
    .sgpr_spill_count: 0
    .symbol:         _ZN9rocsolver6v33100L16org2r_init_identIdPdEEviiiT0_iil.kd
    .uniform_work_group_size: 1
    .uses_dynamic_stack: false
    .vgpr_count:     8
    .vgpr_spill_count: 0
    .wavefront_size: 64
  - .agpr_count:     0
    .args:
      - .offset:         0
        .size:           4
        .value_kind:     by_value
      - .offset:         4
        .size:           4
        .value_kind:     by_value
      - .address_space:  global
        .offset:         8
        .size:           8
        .value_kind:     global_buffer
      - .offset:         16
        .size:           4
        .value_kind:     by_value
      - .offset:         20
        .size:           4
        .value_kind:     by_value
      - .offset:         24
        .size:           8
        .value_kind:     by_value
      - .address_space:  global
        .offset:         32
        .size:           8
        .value_kind:     global_buffer
      - .offset:         40
        .size:           8
        .value_kind:     by_value
    .group_segment_fixed_size: 0
    .kernarg_segment_align: 8
    .kernarg_segment_size: 48
    .language:       OpenCL C
    .language_version:
      - 2
      - 0
    .max_flat_workgroup_size: 1024
    .name:           _ZN9rocsolver6v33100L12subtract_tauIdPdEEviiT0_iilPT_l
    .private_segment_fixed_size: 0
    .sgpr_count:     20
    .sgpr_spill_count: 0
    .symbol:         _ZN9rocsolver6v33100L12subtract_tauIdPdEEviiT0_iilPT_l.kd
    .uniform_work_group_size: 1
    .uses_dynamic_stack: false
    .vgpr_count:     3
    .vgpr_spill_count: 0
    .wavefront_size: 64
  - .agpr_count:     0
    .args:
      - .offset:         0
        .size:           4
        .value_kind:     by_value
      - .address_space:  global
        .offset:         8
        .size:           8
        .value_kind:     global_buffer
      - .offset:         16
        .size:           8
        .value_kind:     by_value
      - .offset:         24
        .size:           4
        .value_kind:     hidden_block_count_x
      - .offset:         28
        .size:           4
        .value_kind:     hidden_block_count_y
      - .offset:         32
        .size:           4
        .value_kind:     hidden_block_count_z
      - .offset:         36
        .size:           2
        .value_kind:     hidden_group_size_x
      - .offset:         38
        .size:           2
        .value_kind:     hidden_group_size_y
      - .offset:         40
        .size:           2
        .value_kind:     hidden_group_size_z
      - .offset:         42
        .size:           2
        .value_kind:     hidden_remainder_x
      - .offset:         44
        .size:           2
        .value_kind:     hidden_remainder_y
      - .offset:         46
        .size:           2
        .value_kind:     hidden_remainder_z
      - .offset:         64
        .size:           8
        .value_kind:     hidden_global_offset_x
      - .offset:         72
        .size:           8
        .value_kind:     hidden_global_offset_y
      - .offset:         80
        .size:           8
        .value_kind:     hidden_global_offset_z
      - .offset:         88
        .size:           2
        .value_kind:     hidden_grid_dims
    .group_segment_fixed_size: 0
    .kernarg_segment_align: 8
    .kernarg_segment_size: 280
    .language:       OpenCL C
    .language_version:
      - 2
      - 0
    .max_flat_workgroup_size: 1024
    .name:           _ZN9rocsolver6v33100L6restauIdEEviPT_l
    .private_segment_fixed_size: 0
    .sgpr_count:     12
    .sgpr_spill_count: 0
    .symbol:         _ZN9rocsolver6v33100L6restauIdEEviPT_l.kd
    .uniform_work_group_size: 1
    .uses_dynamic_stack: false
    .vgpr_count:     4
    .vgpr_spill_count: 0
    .wavefront_size: 64
  - .agpr_count:     0
    .args:
      - .offset:         0
        .size:           4
        .value_kind:     by_value
      - .offset:         4
        .size:           4
        .value_kind:     by_value
      - .address_space:  global
        .offset:         8
        .size:           8
        .value_kind:     global_buffer
      - .offset:         16
        .size:           4
        .value_kind:     by_value
      - .offset:         20
        .size:           4
        .value_kind:     by_value
      - .offset:         24
        .size:           8
        .value_kind:     by_value
      - .offset:         32
        .size:           4
        .value_kind:     by_value
      - .offset:         40
        .size:           4
        .value_kind:     hidden_block_count_x
      - .offset:         44
        .size:           4
        .value_kind:     hidden_block_count_y
      - .offset:         48
        .size:           4
        .value_kind:     hidden_block_count_z
      - .offset:         52
        .size:           2
        .value_kind:     hidden_group_size_x
      - .offset:         54
        .size:           2
        .value_kind:     hidden_group_size_y
      - .offset:         56
        .size:           2
        .value_kind:     hidden_group_size_z
      - .offset:         58
        .size:           2
        .value_kind:     hidden_remainder_x
      - .offset:         60
        .size:           2
        .value_kind:     hidden_remainder_y
      - .offset:         62
        .size:           2
        .value_kind:     hidden_remainder_z
      - .offset:         80
        .size:           8
        .value_kind:     hidden_global_offset_x
      - .offset:         88
        .size:           8
        .value_kind:     hidden_global_offset_y
      - .offset:         96
        .size:           8
        .value_kind:     hidden_global_offset_z
      - .offset:         104
        .size:           2
        .value_kind:     hidden_grid_dims
    .group_segment_fixed_size: 0
    .kernarg_segment_align: 8
    .kernarg_segment_size: 296
    .language:       OpenCL C
    .language_version:
      - 2
      - 0
    .max_flat_workgroup_size: 1024
    .name:           _ZN9rocsolver6v33100L8set_zeroIdPdEEviiT0_iil13rocblas_fill_
    .private_segment_fixed_size: 0
    .sgpr_count:     13
    .sgpr_spill_count: 0
    .symbol:         _ZN9rocsolver6v33100L8set_zeroIdPdEEviiT0_iil13rocblas_fill_.kd
    .uniform_work_group_size: 1
    .uses_dynamic_stack: false
    .vgpr_count:     4
    .vgpr_spill_count: 0
    .wavefront_size: 64
  - .agpr_count:     0
    .args:
      - .offset:         0
        .size:           4
        .value_kind:     by_value
      - .offset:         4
        .size:           4
        .value_kind:     by_value
      - .offset:         8
        .size:           4
        .value_kind:     by_value
      - .address_space:  global
        .offset:         16
        .size:           8
        .value_kind:     global_buffer
      - .offset:         24
        .size:           4
        .value_kind:     by_value
      - .offset:         28
        .size:           4
        .value_kind:     by_value
      - .offset:         32
        .size:           8
        .value_kind:     by_value
      - .address_space:  global
        .offset:         40
        .size:           8
        .value_kind:     global_buffer
      - .offset:         48
        .size:           4
        .value_kind:     by_value
      - .offset:         52
        .size:           4
        .value_kind:     by_value
      - .offset:         56
        .size:           8
        .value_kind:     by_value
      - .offset:         64
        .size:           1
        .value_kind:     by_value
      - .offset:         68
        .size:           4
        .value_kind:     by_value
      - .offset:         72
        .size:           4
        .value_kind:     by_value
      - .offset:         80
        .size:           4
        .value_kind:     hidden_block_count_x
      - .offset:         84
        .size:           4
        .value_kind:     hidden_block_count_y
      - .offset:         88
        .size:           4
        .value_kind:     hidden_block_count_z
      - .offset:         92
        .size:           2
        .value_kind:     hidden_group_size_x
      - .offset:         94
        .size:           2
        .value_kind:     hidden_group_size_y
      - .offset:         96
        .size:           2
        .value_kind:     hidden_group_size_z
      - .offset:         98
        .size:           2
        .value_kind:     hidden_remainder_x
      - .offset:         100
        .size:           2
        .value_kind:     hidden_remainder_y
      - .offset:         102
        .size:           2
        .value_kind:     hidden_remainder_z
      - .offset:         120
        .size:           8
        .value_kind:     hidden_global_offset_x
      - .offset:         128
        .size:           8
        .value_kind:     hidden_global_offset_y
      - .offset:         136
        .size:           8
        .value_kind:     hidden_global_offset_z
      - .offset:         144
        .size:           2
        .value_kind:     hidden_grid_dims
    .group_segment_fixed_size: 0
    .kernarg_segment_align: 8
    .kernarg_segment_size: 336
    .language:       OpenCL C
    .language_version:
      - 2
      - 0
    .max_flat_workgroup_size: 1024
    .name:           _ZN9rocsolver6v33100L14copy_trans_matIddPdS2_NS0_7no_maskEEEv18rocblas_operation_iiT1_iilT2_iilT3_13rocblas_fill_17rocblas_diagonal_
    .private_segment_fixed_size: 0
    .sgpr_count:     28
    .sgpr_spill_count: 0
    .symbol:         _ZN9rocsolver6v33100L14copy_trans_matIddPdS2_NS0_7no_maskEEEv18rocblas_operation_iiT1_iilT2_iilT3_13rocblas_fill_17rocblas_diagonal_.kd
    .uniform_work_group_size: 1
    .uses_dynamic_stack: false
    .vgpr_count:     8
    .vgpr_spill_count: 0
    .wavefront_size: 64
  - .agpr_count:     0
    .args:
      - .offset:         0
        .size:           4
        .value_kind:     by_value
      - .offset:         4
        .size:           4
        .value_kind:     by_value
      - .offset:         8
        .size:           4
        .value_kind:     by_value
      - .address_space:  global
        .offset:         16
        .size:           8
        .value_kind:     global_buffer
      - .offset:         24
        .size:           4
        .value_kind:     by_value
      - .offset:         28
        .size:           4
        .value_kind:     by_value
      - .offset:         32
        .size:           8
        .value_kind:     by_value
      - .offset:         40
        .size:           4
        .value_kind:     hidden_block_count_x
      - .offset:         44
        .size:           4
        .value_kind:     hidden_block_count_y
      - .offset:         48
        .size:           4
        .value_kind:     hidden_block_count_z
      - .offset:         52
        .size:           2
        .value_kind:     hidden_group_size_x
      - .offset:         54
        .size:           2
        .value_kind:     hidden_group_size_y
      - .offset:         56
        .size:           2
        .value_kind:     hidden_group_size_z
      - .offset:         58
        .size:           2
        .value_kind:     hidden_remainder_x
      - .offset:         60
        .size:           2
        .value_kind:     hidden_remainder_y
      - .offset:         62
        .size:           2
        .value_kind:     hidden_remainder_z
      - .offset:         80
        .size:           8
        .value_kind:     hidden_global_offset_x
      - .offset:         88
        .size:           8
        .value_kind:     hidden_global_offset_y
      - .offset:         96
        .size:           8
        .value_kind:     hidden_global_offset_z
      - .offset:         104
        .size:           2
        .value_kind:     hidden_grid_dims
    .group_segment_fixed_size: 0
    .kernarg_segment_align: 8
    .kernarg_segment_size: 296
    .language:       OpenCL C
    .language_version:
      - 2
      - 0
    .max_flat_workgroup_size: 1024
    .name:           _ZN9rocsolver6v33100L16orgl2_init_identIdPdEEviiiT0_iil
    .private_segment_fixed_size: 0
    .sgpr_count:     20
    .sgpr_spill_count: 0
    .symbol:         _ZN9rocsolver6v33100L16orgl2_init_identIdPdEEviiiT0_iil.kd
    .uniform_work_group_size: 1
    .uses_dynamic_stack: false
    .vgpr_count:     8
    .vgpr_spill_count: 0
    .wavefront_size: 64
  - .agpr_count:     0
    .args:
      - .address_space:  global
        .offset:         0
        .size:           8
        .value_kind:     global_buffer
      - .offset:         8
        .size:           4
        .value_kind:     by_value
      - .offset:         12
        .size:           8
        .value_kind:     by_value
    .group_segment_fixed_size: 0
    .kernarg_segment_align: 8
    .kernarg_segment_size: 20
    .language:       OpenCL C
    .language_version:
      - 2
      - 0
    .max_flat_workgroup_size: 32
    .name:           _ZN9rocsolver6v33100L6iota_nI19rocblas_complex_numIfEEEvPT_jS4_
    .private_segment_fixed_size: 0
    .sgpr_count:     10
    .sgpr_spill_count: 0
    .symbol:         _ZN9rocsolver6v33100L6iota_nI19rocblas_complex_numIfEEEvPT_jS4_.kd
    .uniform_work_group_size: 1
    .uses_dynamic_stack: false
    .vgpr_count:     5
    .vgpr_spill_count: 0
    .wavefront_size: 64
  - .agpr_count:     0
    .args:
      - .offset:         0
        .size:           4
        .value_kind:     by_value
      - .address_space:  global
        .offset:         8
        .size:           8
        .value_kind:     global_buffer
      - .offset:         16
        .size:           8
        .value_kind:     by_value
      - .address_space:  global
        .offset:         24
        .size:           8
        .value_kind:     global_buffer
      - .offset:         32
        .size:           8
        .value_kind:     by_value
      - .offset:         40
        .size:           4
        .value_kind:     by_value
      - .offset:         48
        .size:           4
        .value_kind:     hidden_block_count_x
      - .offset:         52
        .size:           4
        .value_kind:     hidden_block_count_y
      - .offset:         56
        .size:           4
        .value_kind:     hidden_block_count_z
      - .offset:         60
        .size:           2
        .value_kind:     hidden_group_size_x
      - .offset:         62
        .size:           2
        .value_kind:     hidden_group_size_y
      - .offset:         64
        .size:           2
        .value_kind:     hidden_group_size_z
      - .offset:         66
        .size:           2
        .value_kind:     hidden_remainder_x
      - .offset:         68
        .size:           2
        .value_kind:     hidden_remainder_y
      - .offset:         70
        .size:           2
        .value_kind:     hidden_remainder_z
      - .offset:         88
        .size:           8
        .value_kind:     hidden_global_offset_x
      - .offset:         96
        .size:           8
        .value_kind:     hidden_global_offset_y
      - .offset:         104
        .size:           8
        .value_kind:     hidden_global_offset_z
      - .offset:         112
        .size:           2
        .value_kind:     hidden_grid_dims
    .group_segment_fixed_size: 0
    .kernarg_segment_align: 8
    .kernarg_segment_size: 304
    .language:       OpenCL C
    .language_version:
      - 2
      - 0
    .max_flat_workgroup_size: 1024
    .name:           _ZN9rocsolver6v33100L16syev_scalar_caseI19rocblas_complex_numIfEfPS3_TnNSt9enable_ifIX18rocblas_is_complexIT_EEiE4typeELi0EEEv14rocblas_evect_T1_lPT0_li
    .private_segment_fixed_size: 0
    .sgpr_count:     20
    .sgpr_spill_count: 0
    .symbol:         _ZN9rocsolver6v33100L16syev_scalar_caseI19rocblas_complex_numIfEfPS3_TnNSt9enable_ifIX18rocblas_is_complexIT_EEiE4typeELi0EEEv14rocblas_evect_T1_lPT0_li.kd
    .uniform_work_group_size: 1
    .uses_dynamic_stack: false
    .vgpr_count:     7
    .vgpr_spill_count: 0
    .wavefront_size: 64
  - .agpr_count:     0
    .args:
      - .offset:         0
        .size:           4
        .value_kind:     by_value
      - .address_space:  global
        .offset:         8
        .size:           8
        .value_kind:     global_buffer
      - .offset:         16
        .size:           8
        .value_kind:     by_value
      - .offset:         24
        .size:           4
        .value_kind:     by_value
      - .offset:         32
        .size:           8
        .value_kind:     by_value
      - .address_space:  global
        .offset:         40
        .size:           8
        .value_kind:     global_buffer
      - .offset:         48
        .size:           8
        .value_kind:     by_value
      - .address_space:  global
        .offset:         56
        .size:           8
        .value_kind:     global_buffer
      - .offset:         64
        .size:           8
        .value_kind:     by_value
      - .address_space:  global
        .offset:         72
        .size:           8
        .value_kind:     global_buffer
      - .offset:         80
        .size:           8
        .value_kind:     by_value
    .group_segment_fixed_size: 0
    .kernarg_segment_align: 8
    .kernarg_segment_size: 88
    .language:       OpenCL C
    .language_version:
      - 2
      - 0
    .max_flat_workgroup_size: 256
    .name:           _ZN9rocsolver6v33100L24sytd2_lower_kernel_smallILi256E19rocblas_complex_numIfEifPS3_EEvT1_T3_lS5_lPT2_lS8_lPT0_l
    .private_segment_fixed_size: 0
    .sgpr_count:     52
    .sgpr_spill_count: 0
    .symbol:         _ZN9rocsolver6v33100L24sytd2_lower_kernel_smallILi256E19rocblas_complex_numIfEifPS3_EEvT1_T3_lS5_lPT2_lS8_lPT0_l.kd
    .uniform_work_group_size: 1
    .uses_dynamic_stack: false
    .vgpr_count:     40
    .vgpr_spill_count: 0
    .wavefront_size: 64
  - .agpr_count:     0
    .args:
      - .address_space:  global
        .offset:         0
        .size:           8
        .value_kind:     global_buffer
      - .offset:         8
        .size:           8
        .value_kind:     by_value
      - .offset:         16
        .size:           4
        .value_kind:     by_value
      - .offset:         20
        .size:           4
        .value_kind:     by_value
      - .offset:         24
        .size:           4
        .value_kind:     hidden_block_count_x
      - .offset:         28
        .size:           4
        .value_kind:     hidden_block_count_y
      - .offset:         32
        .size:           4
        .value_kind:     hidden_block_count_z
      - .offset:         36
        .size:           2
        .value_kind:     hidden_group_size_x
      - .offset:         38
        .size:           2
        .value_kind:     hidden_group_size_y
      - .offset:         40
        .size:           2
        .value_kind:     hidden_group_size_z
      - .offset:         42
        .size:           2
        .value_kind:     hidden_remainder_x
      - .offset:         44
        .size:           2
        .value_kind:     hidden_remainder_y
      - .offset:         46
        .size:           2
        .value_kind:     hidden_remainder_z
      - .offset:         64
        .size:           8
        .value_kind:     hidden_global_offset_x
      - .offset:         72
        .size:           8
        .value_kind:     hidden_global_offset_y
      - .offset:         80
        .size:           8
        .value_kind:     hidden_global_offset_z
      - .offset:         88
        .size:           2
        .value_kind:     hidden_grid_dims
    .group_segment_fixed_size: 0
    .kernarg_segment_align: 8
    .kernarg_segment_size: 280
    .language:       OpenCL C
    .language_version:
      - 2
      - 0
    .max_flat_workgroup_size: 1024
    .name:           _ZN9rocsolver6v33100L16reset_batch_infoI19rocblas_complex_numIfEiiPS3_EEvT2_lT0_T1_
    .private_segment_fixed_size: 0
    .sgpr_count:     16
    .sgpr_spill_count: 0
    .symbol:         _ZN9rocsolver6v33100L16reset_batch_infoI19rocblas_complex_numIfEiiPS3_EEvT2_lT0_T1_.kd
    .uniform_work_group_size: 1
    .uses_dynamic_stack: false
    .vgpr_count:     4
    .vgpr_spill_count: 0
    .wavefront_size: 64
  - .agpr_count:     0
    .args:
      - .address_space:  global
        .offset:         0
        .size:           8
        .value_kind:     global_buffer
      - .offset:         8
        .size:           8
        .value_kind:     by_value
      - .offset:         16
        .size:           8
        .value_kind:     by_value
      - .address_space:  global
        .offset:         24
        .size:           8
        .value_kind:     global_buffer
      - .offset:         32
        .size:           8
        .value_kind:     by_value
      - .offset:         40
        .size:           4
        .value_kind:     by_value
      - .offset:         48
        .size:           8
        .value_kind:     by_value
      - .offset:         56
        .size:           4
        .value_kind:     by_value
      - .offset:         60
        .size:           1
        .value_kind:     by_value
      - .offset:         64
        .size:           4
        .value_kind:     hidden_block_count_x
      - .offset:         68
        .size:           4
        .value_kind:     hidden_block_count_y
      - .offset:         72
        .size:           4
        .value_kind:     hidden_block_count_z
      - .offset:         76
        .size:           2
        .value_kind:     hidden_group_size_x
      - .offset:         78
        .size:           2
        .value_kind:     hidden_group_size_y
      - .offset:         80
        .size:           2
        .value_kind:     hidden_group_size_z
      - .offset:         82
        .size:           2
        .value_kind:     hidden_remainder_x
      - .offset:         84
        .size:           2
        .value_kind:     hidden_remainder_y
      - .offset:         86
        .size:           2
        .value_kind:     hidden_remainder_z
      - .offset:         104
        .size:           8
        .value_kind:     hidden_global_offset_x
      - .offset:         112
        .size:           8
        .value_kind:     hidden_global_offset_y
      - .offset:         120
        .size:           8
        .value_kind:     hidden_global_offset_z
      - .offset:         128
        .size:           2
        .value_kind:     hidden_grid_dims
    .group_segment_fixed_size: 0
    .kernarg_segment_align: 8
    .kernarg_segment_size: 320
    .language:       OpenCL C
    .language_version:
      - 2
      - 0
    .max_flat_workgroup_size: 1024
    .name:           _ZN9rocsolver6v33100L8set_diagI19rocblas_complex_numIfEifPS3_TnNSt9enable_ifIXaa18rocblas_is_complexIT_Ent18rocblas_is_complexIT1_EEiE4typeELi0EEEvPS7_llT2_lT0_lSC_b
    .private_segment_fixed_size: 0
    .sgpr_count:     23
    .sgpr_spill_count: 0
    .symbol:         _ZN9rocsolver6v33100L8set_diagI19rocblas_complex_numIfEifPS3_TnNSt9enable_ifIXaa18rocblas_is_complexIT_Ent18rocblas_is_complexIT1_EEiE4typeELi0EEEvPS7_llT2_lT0_lSC_b.kd
    .uniform_work_group_size: 1
    .uses_dynamic_stack: false
    .vgpr_count:     6
    .vgpr_spill_count: 0
    .wavefront_size: 64
  - .agpr_count:     0
    .args:
      - .address_space:  global
        .offset:         0
        .size:           8
        .value_kind:     global_buffer
      - .offset:         8
        .size:           8
        .value_kind:     by_value
      - .address_space:  global
        .offset:         16
        .size:           8
        .value_kind:     global_buffer
      - .address_space:  global
        .offset:         24
        .size:           8
        .value_kind:     global_buffer
      - .offset:         32
        .size:           8
        .value_kind:     by_value
      - .offset:         40
        .size:           8
        .value_kind:     by_value
      - .address_space:  global
        .offset:         48
        .size:           8
        .value_kind:     global_buffer
      - .offset:         56
        .size:           8
        .value_kind:     by_value
      - .offset:         64
        .size:           8
        .value_kind:     by_value
    .group_segment_fixed_size: 0
    .kernarg_segment_align: 8
    .kernarg_segment_size: 72
    .language:       OpenCL C
    .language_version:
      - 2
      - 0
    .max_flat_workgroup_size: 1024
    .name:           _ZN9rocsolver6v33100L11set_taubetaI19rocblas_complex_numIfEifPS3_EEvPT_lS6_T2_llPT1_ll
    .private_segment_fixed_size: 0
    .sgpr_count:     30
    .sgpr_spill_count: 0
    .symbol:         _ZN9rocsolver6v33100L11set_taubetaI19rocblas_complex_numIfEifPS3_EEvPT_lS6_T2_llPT1_ll.kd
    .uniform_work_group_size: 1
    .uses_dynamic_stack: false
    .vgpr_count:     8
    .vgpr_spill_count: 0
    .wavefront_size: 64
  - .agpr_count:     0
    .args:
      - .offset:         0
        .size:           4
        .value_kind:     by_value
      - .address_space:  global
        .offset:         8
        .size:           8
        .value_kind:     global_buffer
      - .offset:         16
        .size:           8
        .value_kind:     by_value
      - .offset:         24
        .size:           8
        .value_kind:     by_value
      - .address_space:  global
        .offset:         32
        .size:           8
        .value_kind:     global_buffer
      - .offset:         40
        .size:           8
        .value_kind:     by_value
      - .offset:         48
        .size:           8
        .value_kind:     by_value
      - .address_space:  global
        .offset:         56
        .size:           8
        .value_kind:     global_buffer
      - .offset:         64
        .size:           8
        .value_kind:     by_value
    .group_segment_fixed_size: 1032
    .kernarg_segment_align: 8
    .kernarg_segment_size: 72
    .language:       OpenCL C
    .language_version:
      - 2
      - 0
    .max_flat_workgroup_size: 64
    .name:           _ZN9rocsolver6v33100L20latrd_dot_scale_axpyILi64E19rocblas_complex_numIfEiPS3_EEvT1_T2_llPT0_llS8_l
    .private_segment_fixed_size: 0
    .sgpr_count:     38
    .sgpr_spill_count: 0
    .symbol:         _ZN9rocsolver6v33100L20latrd_dot_scale_axpyILi64E19rocblas_complex_numIfEiPS3_EEvT1_T2_llPT0_llS8_l.kd
    .uniform_work_group_size: 1
    .uses_dynamic_stack: false
    .vgpr_count:     18
    .vgpr_spill_count: 0
    .wavefront_size: 64
  - .agpr_count:     0
    .args:
      - .offset:         0
        .size:           4
        .value_kind:     by_value
      - .address_space:  global
        .offset:         8
        .size:           8
        .value_kind:     global_buffer
      - .address_space:  global
        .offset:         16
        .size:           8
        .value_kind:     global_buffer
      - .offset:         24
        .size:           8
        .value_kind:     by_value
      - .offset:         32
        .size:           4
        .value_kind:     hidden_block_count_x
      - .offset:         36
        .size:           4
        .value_kind:     hidden_block_count_y
      - .offset:         40
        .size:           4
        .value_kind:     hidden_block_count_z
      - .offset:         44
        .size:           2
        .value_kind:     hidden_group_size_x
      - .offset:         46
        .size:           2
        .value_kind:     hidden_group_size_y
      - .offset:         48
        .size:           2
        .value_kind:     hidden_group_size_z
      - .offset:         50
        .size:           2
        .value_kind:     hidden_remainder_x
      - .offset:         52
        .size:           2
        .value_kind:     hidden_remainder_y
      - .offset:         54
        .size:           2
        .value_kind:     hidden_remainder_z
      - .offset:         72
        .size:           8
        .value_kind:     hidden_global_offset_x
      - .offset:         80
        .size:           8
        .value_kind:     hidden_global_offset_y
      - .offset:         88
        .size:           8
        .value_kind:     hidden_global_offset_z
      - .offset:         96
        .size:           2
        .value_kind:     hidden_grid_dims
    .group_segment_fixed_size: 0
    .kernarg_segment_align: 8
    .kernarg_segment_size: 288
    .language:       OpenCL C
    .language_version:
      - 2
      - 0
    .max_flat_workgroup_size: 1024
    .name:           _ZN9rocsolver6v33100L7set_tauI19rocblas_complex_numIfEEEviPT_S5_l
    .private_segment_fixed_size: 0
    .sgpr_count:     12
    .sgpr_spill_count: 0
    .symbol:         _ZN9rocsolver6v33100L7set_tauI19rocblas_complex_numIfEEEviPT_S5_l.kd
    .uniform_work_group_size: 1
    .uses_dynamic_stack: false
    .vgpr_count:     6
    .vgpr_spill_count: 0
    .wavefront_size: 64
  - .agpr_count:     0
    .args:
      - .offset:         0
        .size:           4
        .value_kind:     by_value
      - .address_space:  global
        .offset:         8
        .size:           8
        .value_kind:     global_buffer
      - .offset:         16
        .size:           8
        .value_kind:     by_value
      - .offset:         24
        .size:           4
        .value_kind:     by_value
      - .offset:         32
        .size:           8
        .value_kind:     by_value
      - .address_space:  global
        .offset:         40
        .size:           8
        .value_kind:     global_buffer
      - .offset:         48
        .size:           8
        .value_kind:     by_value
      - .address_space:  global
        .offset:         56
        .size:           8
        .value_kind:     global_buffer
      - .offset:         64
        .size:           8
        .value_kind:     by_value
      - .address_space:  global
        .offset:         72
        .size:           8
        .value_kind:     global_buffer
      - .offset:         80
        .size:           8
        .value_kind:     by_value
    .group_segment_fixed_size: 0
    .kernarg_segment_align: 8
    .kernarg_segment_size: 88
    .language:       OpenCL C
    .language_version:
      - 2
      - 0
    .max_flat_workgroup_size: 256
    .name:           _ZN9rocsolver6v33100L24sytd2_upper_kernel_smallILi256E19rocblas_complex_numIfEifPS3_EEvT1_T3_lS5_lPT2_lS8_lPT0_l
    .private_segment_fixed_size: 0
    .sgpr_count:     52
    .sgpr_spill_count: 0
    .symbol:         _ZN9rocsolver6v33100L24sytd2_upper_kernel_smallILi256E19rocblas_complex_numIfEifPS3_EEvT1_T3_lS5_lPT2_lS8_lPT0_l.kd
    .uniform_work_group_size: 1
    .uses_dynamic_stack: false
    .vgpr_count:     40
    .vgpr_spill_count: 0
    .wavefront_size: 64
  - .agpr_count:     0
    .args:
      - .offset:         0
        .size:           4
        .value_kind:     by_value
      - .offset:         4
        .size:           4
        .value_kind:     by_value
      - .offset:         8
        .size:           4
        .value_kind:     by_value
      - .address_space:  global
        .offset:         16
        .size:           8
        .value_kind:     global_buffer
      - .offset:         24
        .size:           4
        .value_kind:     by_value
      - .offset:         28
        .size:           4
        .value_kind:     by_value
      - .offset:         32
        .size:           8
        .value_kind:     by_value
      - .address_space:  global
        .offset:         40
        .size:           8
        .value_kind:     global_buffer
      - .offset:         48
        .size:           1
        .value_kind:     by_value
      - .offset:         52
        .size:           4
        .value_kind:     by_value
      - .offset:         56
        .size:           4
        .value_kind:     by_value
      - .offset:         64
        .size:           4
        .value_kind:     hidden_block_count_x
      - .offset:         68
        .size:           4
        .value_kind:     hidden_block_count_y
      - .offset:         72
        .size:           4
        .value_kind:     hidden_block_count_z
      - .offset:         76
        .size:           2
        .value_kind:     hidden_group_size_x
      - .offset:         78
        .size:           2
        .value_kind:     hidden_group_size_y
      - .offset:         80
        .size:           2
        .value_kind:     hidden_group_size_z
      - .offset:         82
        .size:           2
        .value_kind:     hidden_remainder_x
      - .offset:         84
        .size:           2
        .value_kind:     hidden_remainder_y
      - .offset:         86
        .size:           2
        .value_kind:     hidden_remainder_z
      - .offset:         104
        .size:           8
        .value_kind:     hidden_global_offset_x
      - .offset:         112
        .size:           8
        .value_kind:     hidden_global_offset_y
      - .offset:         120
        .size:           8
        .value_kind:     hidden_global_offset_z
      - .offset:         128
        .size:           2
        .value_kind:     hidden_grid_dims
    .group_segment_fixed_size: 0
    .kernarg_segment_align: 8
    .kernarg_segment_size: 320
    .language:       OpenCL C
    .language_version:
      - 2
      - 0
    .max_flat_workgroup_size: 1024
    .name:           _ZN9rocsolver6v33100L8copy_matI19rocblas_complex_numIfEPS3_NS0_7no_maskEEEvNS0_17copymat_directionEiiT0_iilPT_T1_13rocblas_fill_17rocblas_diagonal_
    .private_segment_fixed_size: 0
    .sgpr_count:     22
    .sgpr_spill_count: 0
    .symbol:         _ZN9rocsolver6v33100L8copy_matI19rocblas_complex_numIfEPS3_NS0_7no_maskEEEvNS0_17copymat_directionEiiT0_iilPT_T1_13rocblas_fill_17rocblas_diagonal_.kd
    .uniform_work_group_size: 1
    .uses_dynamic_stack: false
    .vgpr_count:     6
    .vgpr_spill_count: 0
    .wavefront_size: 64
  - .agpr_count:     0
    .args:
      - .offset:         0
        .size:           4
        .value_kind:     by_value
      - .offset:         4
        .size:           4
        .value_kind:     by_value
      - .address_space:  global
        .offset:         8
        .size:           8
        .value_kind:     global_buffer
      - .offset:         16
        .size:           4
        .value_kind:     by_value
      - .offset:         20
        .size:           4
        .value_kind:     by_value
      - .offset:         24
        .size:           8
        .value_kind:     by_value
      - .address_space:  global
        .offset:         32
        .size:           8
        .value_kind:     global_buffer
      - .offset:         40
        .size:           4
        .value_kind:     by_value
      - .offset:         44
        .size:           4
        .value_kind:     by_value
      - .offset:         48
        .size:           8
        .value_kind:     by_value
      - .offset:         56
        .size:           4
        .value_kind:     hidden_block_count_x
      - .offset:         60
        .size:           4
        .value_kind:     hidden_block_count_y
      - .offset:         64
        .size:           4
        .value_kind:     hidden_block_count_z
      - .offset:         68
        .size:           2
        .value_kind:     hidden_group_size_x
      - .offset:         70
        .size:           2
        .value_kind:     hidden_group_size_y
      - .offset:         72
        .size:           2
        .value_kind:     hidden_group_size_z
      - .offset:         74
        .size:           2
        .value_kind:     hidden_remainder_x
      - .offset:         76
        .size:           2
        .value_kind:     hidden_remainder_y
      - .offset:         78
        .size:           2
        .value_kind:     hidden_remainder_z
      - .offset:         96
        .size:           8
        .value_kind:     hidden_global_offset_x
      - .offset:         104
        .size:           8
        .value_kind:     hidden_global_offset_y
      - .offset:         112
        .size:           8
        .value_kind:     hidden_global_offset_z
      - .offset:         120
        .size:           2
        .value_kind:     hidden_grid_dims
      - .offset:         176
        .size:           4
        .value_kind:     hidden_dynamic_lds_size
    .group_segment_fixed_size: 0
    .kernarg_segment_align: 8
    .kernarg_segment_size: 312
    .language:       OpenCL C
    .language_version:
      - 2
      - 0
    .max_flat_workgroup_size: 1024
    .name:           _ZN9rocsolver6v33100L26latrd_lower_updateA_kernelI19rocblas_complex_numIfEPS3_EEviiT0_iilPT_iil
    .private_segment_fixed_size: 0
    .sgpr_count:     40
    .sgpr_spill_count: 0
    .symbol:         _ZN9rocsolver6v33100L26latrd_lower_updateA_kernelI19rocblas_complex_numIfEPS3_EEviiT0_iilPT_iil.kd
    .uniform_work_group_size: 1
    .uses_dynamic_stack: false
    .vgpr_count:     32
    .vgpr_spill_count: 0
    .wavefront_size: 64
  - .agpr_count:     0
    .args:
      - .offset:         0
        .size:           4
        .value_kind:     by_value
      - .offset:         4
        .size:           4
        .value_kind:     by_value
      - .address_space:  global
        .offset:         8
        .size:           8
        .value_kind:     global_buffer
      - .offset:         16
        .size:           4
        .value_kind:     by_value
      - .offset:         20
        .size:           4
        .value_kind:     by_value
      - .offset:         24
        .size:           8
        .value_kind:     by_value
      - .address_space:  global
        .offset:         32
        .size:           8
        .value_kind:     global_buffer
      - .offset:         40
        .size:           4
        .value_kind:     by_value
      - .offset:         44
        .size:           4
        .value_kind:     by_value
      - .offset:         48
        .size:           8
        .value_kind:     by_value
      - .address_space:  global
        .offset:         56
        .size:           8
        .value_kind:     global_buffer
      - .offset:         64
        .size:           4
        .value_kind:     by_value
      - .offset:         68
        .size:           4
        .value_kind:     by_value
      - .offset:         72
        .size:           8
        .value_kind:     by_value
      - .address_space:  global
        .offset:         80
        .size:           8
        .value_kind:     global_buffer
      - .offset:         88
        .size:           8
        .value_kind:     by_value
    .group_segment_fixed_size: 2048
    .kernarg_segment_align: 8
    .kernarg_segment_size: 96
    .language:       OpenCL C
    .language_version:
      - 2
      - 0
    .max_flat_workgroup_size: 1024
    .name:           _ZN9rocsolver6v33100L33latrd_lower_computeW_gemvt_kernelILi256E19rocblas_complex_numIfEPS3_EEviiT1_iilPT0_iilS7_iilS7_l
    .private_segment_fixed_size: 0
    .sgpr_count:     36
    .sgpr_spill_count: 0
    .symbol:         _ZN9rocsolver6v33100L33latrd_lower_computeW_gemvt_kernelILi256E19rocblas_complex_numIfEPS3_EEviiT1_iilPT0_iilS7_iilS7_l.kd
    .uniform_work_group_size: 1
    .uses_dynamic_stack: false
    .vgpr_count:     18
    .vgpr_spill_count: 0
    .wavefront_size: 64
  - .agpr_count:     0
    .args:
      - .offset:         0
        .size:           4
        .value_kind:     by_value
      - .offset:         4
        .size:           4
        .value_kind:     by_value
      - .address_space:  global
        .offset:         8
        .size:           8
        .value_kind:     global_buffer
      - .offset:         16
        .size:           4
        .value_kind:     by_value
      - .offset:         20
        .size:           4
        .value_kind:     by_value
      - .offset:         24
        .size:           8
        .value_kind:     by_value
      - .address_space:  global
        .offset:         32
        .size:           8
        .value_kind:     global_buffer
      - .offset:         40
        .size:           4
        .value_kind:     by_value
      - .offset:         44
        .size:           4
        .value_kind:     by_value
      - .offset:         48
        .size:           8
        .value_kind:     by_value
      - .address_space:  global
        .offset:         56
        .size:           8
        .value_kind:     global_buffer
      - .offset:         64
        .size:           8
        .value_kind:     by_value
      - .address_space:  global
        .offset:         72
        .size:           8
        .value_kind:     global_buffer
      - .offset:         80
        .size:           8
        .value_kind:     by_value
      - .offset:         88
        .size:           4
        .value_kind:     hidden_block_count_x
      - .offset:         92
        .size:           4
        .value_kind:     hidden_block_count_y
      - .offset:         96
        .size:           4
        .value_kind:     hidden_block_count_z
      - .offset:         100
        .size:           2
        .value_kind:     hidden_group_size_x
      - .offset:         102
        .size:           2
        .value_kind:     hidden_group_size_y
      - .offset:         104
        .size:           2
        .value_kind:     hidden_group_size_z
      - .offset:         106
        .size:           2
        .value_kind:     hidden_remainder_x
      - .offset:         108
        .size:           2
        .value_kind:     hidden_remainder_y
      - .offset:         110
        .size:           2
        .value_kind:     hidden_remainder_z
      - .offset:         128
        .size:           8
        .value_kind:     hidden_global_offset_x
      - .offset:         136
        .size:           8
        .value_kind:     hidden_global_offset_y
      - .offset:         144
        .size:           8
        .value_kind:     hidden_global_offset_z
      - .offset:         152
        .size:           2
        .value_kind:     hidden_grid_dims
      - .offset:         208
        .size:           4
        .value_kind:     hidden_dynamic_lds_size
    .group_segment_fixed_size: 0
    .kernarg_segment_align: 8
    .kernarg_segment_size: 344
    .language:       OpenCL C
    .language_version:
      - 2
      - 0
    .max_flat_workgroup_size: 1024
    .name:           _ZN9rocsolver6v33100L26latrd_lower_updateW_kernelI19rocblas_complex_numIfEPS3_EEviiT0_iilPT_iilS7_lS7_l
    .private_segment_fixed_size: 0
    .sgpr_count:     46
    .sgpr_spill_count: 0
    .symbol:         _ZN9rocsolver6v33100L26latrd_lower_updateW_kernelI19rocblas_complex_numIfEPS3_EEviiT0_iilPT_iilS7_lS7_l.kd
    .uniform_work_group_size: 1
    .uses_dynamic_stack: false
    .vgpr_count:     32
    .vgpr_spill_count: 0
    .wavefront_size: 64
  - .agpr_count:     0
    .args:
      - .offset:         0
        .size:           4
        .value_kind:     by_value
      - .address_space:  global
        .offset:         8
        .size:           8
        .value_kind:     global_buffer
      - .offset:         16
        .size:           8
        .value_kind:     by_value
      - .offset:         24
        .size:           8
        .value_kind:     by_value
      - .address_space:  global
        .offset:         32
        .size:           8
        .value_kind:     global_buffer
      - .offset:         40
        .size:           8
        .value_kind:     by_value
      - .offset:         48
        .size:           8
        .value_kind:     by_value
      - .address_space:  global
        .offset:         56
        .size:           8
        .value_kind:     global_buffer
      - .offset:         64
        .size:           8
        .value_kind:     by_value
    .group_segment_fixed_size: 16512
    .kernarg_segment_align: 8
    .kernarg_segment_size: 72
    .language:       OpenCL C
    .language_version:
      - 2
      - 0
    .max_flat_workgroup_size: 1024
    .name:           _ZN9rocsolver6v33100L20latrd_dot_scale_axpyILi1024E19rocblas_complex_numIfEiPS3_EEvT1_T2_llPT0_llS8_l
    .private_segment_fixed_size: 0
    .sgpr_count:     35
    .sgpr_spill_count: 0
    .symbol:         _ZN9rocsolver6v33100L20latrd_dot_scale_axpyILi1024E19rocblas_complex_numIfEiPS3_EEvT1_T2_llPT0_llS8_l.kd
    .uniform_work_group_size: 1
    .uses_dynamic_stack: false
    .vgpr_count:     20
    .vgpr_spill_count: 0
    .wavefront_size: 64
  - .agpr_count:     0
    .args:
      - .offset:         0
        .size:           4
        .value_kind:     by_value
      - .offset:         4
        .size:           4
        .value_kind:     by_value
      - .offset:         8
        .size:           4
        .value_kind:     by_value
      - .address_space:  global
        .offset:         16
        .size:           8
        .value_kind:     global_buffer
      - .offset:         24
        .size:           4
        .value_kind:     by_value
      - .offset:         28
        .size:           4
        .value_kind:     by_value
      - .offset:         32
        .size:           8
        .value_kind:     by_value
      - .address_space:  global
        .offset:         40
        .size:           8
        .value_kind:     global_buffer
      - .offset:         48
        .size:           4
        .value_kind:     by_value
      - .offset:         52
        .size:           4
        .value_kind:     by_value
      - .offset:         56
        .size:           8
        .value_kind:     by_value
      - .offset:         64
        .size:           4
        .value_kind:     hidden_block_count_x
      - .offset:         68
        .size:           4
        .value_kind:     hidden_block_count_y
      - .offset:         72
        .size:           4
        .value_kind:     hidden_block_count_z
      - .offset:         76
        .size:           2
        .value_kind:     hidden_group_size_x
      - .offset:         78
        .size:           2
        .value_kind:     hidden_group_size_y
      - .offset:         80
        .size:           2
        .value_kind:     hidden_group_size_z
      - .offset:         82
        .size:           2
        .value_kind:     hidden_remainder_x
      - .offset:         84
        .size:           2
        .value_kind:     hidden_remainder_y
      - .offset:         86
        .size:           2
        .value_kind:     hidden_remainder_z
      - .offset:         104
        .size:           8
        .value_kind:     hidden_global_offset_x
      - .offset:         112
        .size:           8
        .value_kind:     hidden_global_offset_y
      - .offset:         120
        .size:           8
        .value_kind:     hidden_global_offset_z
      - .offset:         128
        .size:           2
        .value_kind:     hidden_grid_dims
      - .offset:         184
        .size:           4
        .value_kind:     hidden_dynamic_lds_size
    .group_segment_fixed_size: 0
    .kernarg_segment_align: 8
    .kernarg_segment_size: 320
    .language:       OpenCL C
    .language_version:
      - 2
      - 0
    .max_flat_workgroup_size: 1024
    .name:           _ZN9rocsolver6v33100L26latrd_upper_updateA_kernelI19rocblas_complex_numIfEPS3_EEviiiT0_iilPT_iil
    .private_segment_fixed_size: 0
    .sgpr_count:     46
    .sgpr_spill_count: 0
    .symbol:         _ZN9rocsolver6v33100L26latrd_upper_updateA_kernelI19rocblas_complex_numIfEPS3_EEviiiT0_iilPT_iil.kd
    .uniform_work_group_size: 1
    .uses_dynamic_stack: false
    .vgpr_count:     32
    .vgpr_spill_count: 0
    .wavefront_size: 64
  - .agpr_count:     0
    .args:
      - .offset:         0
        .size:           4
        .value_kind:     by_value
      - .offset:         4
        .size:           4
        .value_kind:     by_value
      - .offset:         8
        .size:           4
        .value_kind:     by_value
      - .address_space:  global
        .offset:         16
        .size:           8
        .value_kind:     global_buffer
      - .offset:         24
        .size:           4
        .value_kind:     by_value
      - .offset:         28
        .size:           4
        .value_kind:     by_value
      - .offset:         32
        .size:           8
        .value_kind:     by_value
      - .address_space:  global
        .offset:         40
        .size:           8
        .value_kind:     global_buffer
      - .offset:         48
        .size:           4
        .value_kind:     by_value
      - .offset:         52
        .size:           4
        .value_kind:     by_value
      - .offset:         56
        .size:           8
        .value_kind:     by_value
      - .address_space:  global
        .offset:         64
        .size:           8
        .value_kind:     global_buffer
      - .offset:         72
        .size:           4
        .value_kind:     by_value
      - .offset:         76
        .size:           4
        .value_kind:     by_value
      - .offset:         80
        .size:           8
        .value_kind:     by_value
      - .address_space:  global
        .offset:         88
        .size:           8
        .value_kind:     global_buffer
      - .offset:         96
        .size:           8
        .value_kind:     by_value
    .group_segment_fixed_size: 2048
    .kernarg_segment_align: 8
    .kernarg_segment_size: 104
    .language:       OpenCL C
    .language_version:
      - 2
      - 0
    .max_flat_workgroup_size: 1024
    .name:           _ZN9rocsolver6v33100L33latrd_upper_computeW_gemvt_kernelILi256E19rocblas_complex_numIfEPS3_EEviiiT1_iilPT0_iilS7_iilS7_l
    .private_segment_fixed_size: 0
    .sgpr_count:     36
    .sgpr_spill_count: 0
    .symbol:         _ZN9rocsolver6v33100L33latrd_upper_computeW_gemvt_kernelILi256E19rocblas_complex_numIfEPS3_EEviiiT1_iilPT0_iilS7_iilS7_l.kd
    .uniform_work_group_size: 1
    .uses_dynamic_stack: false
    .vgpr_count:     16
    .vgpr_spill_count: 0
    .wavefront_size: 64
  - .agpr_count:     0
    .args:
      - .offset:         0
        .size:           4
        .value_kind:     by_value
      - .offset:         4
        .size:           4
        .value_kind:     by_value
      - .offset:         8
        .size:           4
        .value_kind:     by_value
      - .address_space:  global
        .offset:         16
        .size:           8
        .value_kind:     global_buffer
      - .offset:         24
        .size:           4
        .value_kind:     by_value
      - .offset:         28
        .size:           4
        .value_kind:     by_value
      - .offset:         32
        .size:           8
        .value_kind:     by_value
      - .address_space:  global
        .offset:         40
        .size:           8
        .value_kind:     global_buffer
      - .offset:         48
        .size:           4
        .value_kind:     by_value
      - .offset:         52
        .size:           4
        .value_kind:     by_value
      - .offset:         56
        .size:           8
        .value_kind:     by_value
      - .address_space:  global
        .offset:         64
        .size:           8
        .value_kind:     global_buffer
      - .offset:         72
        .size:           8
        .value_kind:     by_value
      - .address_space:  global
        .offset:         80
        .size:           8
        .value_kind:     global_buffer
      - .offset:         88
        .size:           8
        .value_kind:     by_value
      - .offset:         96
        .size:           4
        .value_kind:     hidden_block_count_x
      - .offset:         100
        .size:           4
        .value_kind:     hidden_block_count_y
      - .offset:         104
        .size:           4
        .value_kind:     hidden_block_count_z
      - .offset:         108
        .size:           2
        .value_kind:     hidden_group_size_x
      - .offset:         110
        .size:           2
        .value_kind:     hidden_group_size_y
      - .offset:         112
        .size:           2
        .value_kind:     hidden_group_size_z
      - .offset:         114
        .size:           2
        .value_kind:     hidden_remainder_x
      - .offset:         116
        .size:           2
        .value_kind:     hidden_remainder_y
      - .offset:         118
        .size:           2
        .value_kind:     hidden_remainder_z
      - .offset:         136
        .size:           8
        .value_kind:     hidden_global_offset_x
      - .offset:         144
        .size:           8
        .value_kind:     hidden_global_offset_y
      - .offset:         152
        .size:           8
        .value_kind:     hidden_global_offset_z
      - .offset:         160
        .size:           2
        .value_kind:     hidden_grid_dims
      - .offset:         216
        .size:           4
        .value_kind:     hidden_dynamic_lds_size
    .group_segment_fixed_size: 0
    .kernarg_segment_align: 8
    .kernarg_segment_size: 352
    .language:       OpenCL C
    .language_version:
      - 2
      - 0
    .max_flat_workgroup_size: 1024
    .name:           _ZN9rocsolver6v33100L26latrd_upper_updateW_kernelI19rocblas_complex_numIfEPS3_EEviiiT0_iilPT_iilS7_lS7_l
    .private_segment_fixed_size: 0
    .sgpr_count:     46
    .sgpr_spill_count: 0
    .symbol:         _ZN9rocsolver6v33100L26latrd_upper_updateW_kernelI19rocblas_complex_numIfEPS3_EEviiiT0_iilPT_iilS7_lS7_l.kd
    .uniform_work_group_size: 1
    .uses_dynamic_stack: false
    .vgpr_count:     32
    .vgpr_spill_count: 0
    .wavefront_size: 64
  - .agpr_count:     0
    .args:
      - .offset:         0
        .size:           4
        .value_kind:     by_value
      - .offset:         4
        .size:           4
        .value_kind:     by_value
      - .address_space:  global
        .offset:         8
        .size:           8
        .value_kind:     global_buffer
      - .offset:         16
        .size:           4
        .value_kind:     by_value
      - .offset:         20
        .size:           4
        .value_kind:     by_value
      - .offset:         24
        .size:           8
        .value_kind:     by_value
      - .address_space:  global
        .offset:         32
        .size:           8
        .value_kind:     global_buffer
      - .offset:         40
        .size:           8
        .value_kind:     by_value
      - .address_space:  global
        .offset:         48
        .size:           8
        .value_kind:     global_buffer
      - .offset:         56
        .size:           8
        .value_kind:     by_value
      - .offset:         64
        .size:           4
        .value_kind:     hidden_block_count_x
      - .offset:         68
        .size:           4
        .value_kind:     hidden_block_count_y
      - .offset:         72
        .size:           4
        .value_kind:     hidden_block_count_z
      - .offset:         76
        .size:           2
        .value_kind:     hidden_group_size_x
      - .offset:         78
        .size:           2
        .value_kind:     hidden_group_size_y
      - .offset:         80
        .size:           2
        .value_kind:     hidden_group_size_z
      - .offset:         82
        .size:           2
        .value_kind:     hidden_remainder_x
      - .offset:         84
        .size:           2
        .value_kind:     hidden_remainder_y
      - .offset:         86
        .size:           2
        .value_kind:     hidden_remainder_z
      - .offset:         104
        .size:           8
        .value_kind:     hidden_global_offset_x
      - .offset:         112
        .size:           8
        .value_kind:     hidden_global_offset_y
      - .offset:         120
        .size:           8
        .value_kind:     hidden_global_offset_z
      - .offset:         128
        .size:           2
        .value_kind:     hidden_grid_dims
    .group_segment_fixed_size: 0
    .kernarg_segment_align: 8
    .kernarg_segment_size: 320
    .language:       OpenCL C
    .language_version:
      - 2
      - 0
    .max_flat_workgroup_size: 1024
    .name:           _ZN9rocsolver6v33100L11set_tridiagI19rocblas_complex_numIfEfPS3_TnNSt9enable_ifIX18rocblas_is_complexIT_EEiE4typeELi0EEEv13rocblas_fill_iT1_iilPT0_lSC_l
    .private_segment_fixed_size: 0
    .sgpr_count:     26
    .sgpr_spill_count: 0
    .symbol:         _ZN9rocsolver6v33100L11set_tridiagI19rocblas_complex_numIfEfPS3_TnNSt9enable_ifIX18rocblas_is_complexIT_EEiE4typeELi0EEEv13rocblas_fill_iT1_iilPT0_lSC_l.kd
    .uniform_work_group_size: 1
    .uses_dynamic_stack: false
    .vgpr_count:     12
    .vgpr_spill_count: 0
    .wavefront_size: 64
  - .agpr_count:     0
    .args:
      - .offset:         0
        .size:           4
        .value_kind:     by_value
      - .offset:         4
        .size:           4
        .value_kind:     by_value
      - .address_space:  global
        .offset:         8
        .size:           8
        .value_kind:     global_buffer
      - .offset:         16
        .size:           4
        .value_kind:     by_value
      - .offset:         20
        .size:           4
        .value_kind:     by_value
      - .offset:         24
        .size:           8
        .value_kind:     by_value
      - .offset:         32
        .size:           4
        .value_kind:     hidden_block_count_x
      - .offset:         36
        .size:           4
        .value_kind:     hidden_block_count_y
      - .offset:         40
        .size:           4
        .value_kind:     hidden_block_count_z
      - .offset:         44
        .size:           2
        .value_kind:     hidden_group_size_x
      - .offset:         46
        .size:           2
        .value_kind:     hidden_group_size_y
      - .offset:         48
        .size:           2
        .value_kind:     hidden_group_size_z
      - .offset:         50
        .size:           2
        .value_kind:     hidden_remainder_x
      - .offset:         52
        .size:           2
        .value_kind:     hidden_remainder_y
      - .offset:         54
        .size:           2
        .value_kind:     hidden_remainder_z
      - .offset:         72
        .size:           8
        .value_kind:     hidden_global_offset_x
      - .offset:         80
        .size:           8
        .value_kind:     hidden_global_offset_y
      - .offset:         88
        .size:           8
        .value_kind:     hidden_global_offset_z
      - .offset:         96
        .size:           2
        .value_kind:     hidden_grid_dims
    .group_segment_fixed_size: 0
    .kernarg_segment_align: 8
    .kernarg_segment_size: 288
    .language:       OpenCL C
    .language_version:
      - 2
      - 0
    .max_flat_workgroup_size: 1024
    .name:           _ZN9rocsolver6v33100L10init_identI19rocblas_complex_numIfEPS3_EEviiT0_iil
    .private_segment_fixed_size: 0
    .sgpr_count:     13
    .sgpr_spill_count: 0
    .symbol:         _ZN9rocsolver6v33100L10init_identI19rocblas_complex_numIfEPS3_EEviiT0_iil.kd
    .uniform_work_group_size: 1
    .uses_dynamic_stack: false
    .vgpr_count:     6
    .vgpr_spill_count: 0
    .wavefront_size: 64
  - .agpr_count:     0
    .args:
      - .offset:         0
        .size:           4
        .value_kind:     by_value
      - .offset:         4
        .size:           4
        .value_kind:     by_value
      - .offset:         8
        .size:           4
        .value_kind:     by_value
      - .offset:         12
        .size:           4
        .value_kind:     by_value
      - .offset:         16
        .size:           4
        .value_kind:     by_value
      - .address_space:  global
        .offset:         24
        .size:           8
        .value_kind:     global_buffer
      - .offset:         32
        .size:           8
        .value_kind:     by_value
      - .address_space:  global
        .offset:         40
        .size:           8
        .value_kind:     global_buffer
      - .offset:         48
        .size:           8
        .value_kind:     by_value
      - .address_space:  global
        .offset:         56
        .size:           8
        .value_kind:     global_buffer
      - .offset:         64
        .size:           8
        .value_kind:     by_value
      - .offset:         72
        .size:           4
        .value_kind:     by_value
      - .offset:         80
        .size:           8
        .value_kind:     by_value
      - .offset:         88
        .size:           4
        .value_kind:     by_value
      - .offset:         96
        .size:           4
        .value_kind:     hidden_block_count_x
      - .offset:         100
        .size:           4
        .value_kind:     hidden_block_count_y
      - .offset:         104
        .size:           4
        .value_kind:     hidden_block_count_z
      - .offset:         108
        .size:           2
        .value_kind:     hidden_group_size_x
      - .offset:         110
        .size:           2
        .value_kind:     hidden_group_size_y
      - .offset:         112
        .size:           2
        .value_kind:     hidden_group_size_z
      - .offset:         114
        .size:           2
        .value_kind:     hidden_remainder_x
      - .offset:         116
        .size:           2
        .value_kind:     hidden_remainder_y
      - .offset:         118
        .size:           2
        .value_kind:     hidden_remainder_z
      - .offset:         136
        .size:           8
        .value_kind:     hidden_global_offset_x
      - .offset:         144
        .size:           8
        .value_kind:     hidden_global_offset_y
      - .offset:         152
        .size:           8
        .value_kind:     hidden_global_offset_z
      - .offset:         160
        .size:           2
        .value_kind:     hidden_grid_dims
    .group_segment_fixed_size: 0
    .kernarg_segment_align: 8
    .kernarg_segment_size: 352
    .language:       OpenCL C
    .language_version:
      - 2
      - 0
    .max_flat_workgroup_size: 64
    .name:           _ZN9rocsolver6v33100L11lasr_kernelI19rocblas_complex_numIfEfPS3_iEEv13rocblas_side_14rocblas_pivot_15rocblas_direct_T2_S8_PT0_lSA_lT1_lS8_lS8_
    .private_segment_fixed_size: 0
    .sgpr_count:     100
    .sgpr_spill_count: 10
    .symbol:         _ZN9rocsolver6v33100L11lasr_kernelI19rocblas_complex_numIfEfPS3_iEEv13rocblas_side_14rocblas_pivot_15rocblas_direct_T2_S8_PT0_lSA_lT1_lS8_lS8_.kd
    .uniform_work_group_size: 1
    .uses_dynamic_stack: false
    .vgpr_count:     49
    .vgpr_spill_count: 0
    .wavefront_size: 64
  - .agpr_count:     0
    .args:
      - .offset:         0
        .size:           4
        .value_kind:     by_value
      - .address_space:  global
        .offset:         8
        .size:           8
        .value_kind:     global_buffer
      - .offset:         16
        .size:           4
        .value_kind:     by_value
      - .address_space:  global
        .offset:         24
        .size:           8
        .value_kind:     global_buffer
      - .offset:         32
        .size:           4
        .value_kind:     by_value
      - .offset:         40
        .size:           4
        .value_kind:     hidden_block_count_x
      - .offset:         44
        .size:           4
        .value_kind:     hidden_block_count_y
      - .offset:         48
        .size:           4
        .value_kind:     hidden_block_count_z
      - .offset:         52
        .size:           2
        .value_kind:     hidden_group_size_x
      - .offset:         54
        .size:           2
        .value_kind:     hidden_group_size_y
      - .offset:         56
        .size:           2
        .value_kind:     hidden_group_size_z
      - .offset:         58
        .size:           2
        .value_kind:     hidden_remainder_x
      - .offset:         60
        .size:           2
        .value_kind:     hidden_remainder_y
      - .offset:         62
        .size:           2
        .value_kind:     hidden_remainder_z
      - .offset:         80
        .size:           8
        .value_kind:     hidden_global_offset_x
      - .offset:         88
        .size:           8
        .value_kind:     hidden_global_offset_y
      - .offset:         96
        .size:           8
        .value_kind:     hidden_global_offset_z
      - .offset:         104
        .size:           2
        .value_kind:     hidden_grid_dims
    .group_segment_fixed_size: 0
    .kernarg_segment_align: 8
    .kernarg_segment_size: 296
    .language:       OpenCL C
    .language_version:
      - 2
      - 0
    .max_flat_workgroup_size: 1024
    .name:           _ZN9rocsolver6v33100L11swap_kernelI19rocblas_complex_numIfEiEEvT0_PT_S4_S6_S4_
    .private_segment_fixed_size: 0
    .sgpr_count:     21
    .sgpr_spill_count: 0
    .symbol:         _ZN9rocsolver6v33100L11swap_kernelI19rocblas_complex_numIfEiEEvT0_PT_S4_S6_S4_.kd
    .uniform_work_group_size: 1
    .uses_dynamic_stack: false
    .vgpr_count:     14
    .vgpr_spill_count: 0
    .wavefront_size: 64
  - .agpr_count:     0
    .args:
      - .offset:         0
        .size:           4
        .value_kind:     by_value
      - .address_space:  global
        .offset:         8
        .size:           8
        .value_kind:     global_buffer
      - .offset:         16
        .size:           8
        .value_kind:     by_value
      - .address_space:  global
        .offset:         24
        .size:           8
        .value_kind:     global_buffer
      - .offset:         32
        .size:           8
        .value_kind:     by_value
      - .address_space:  global
        .offset:         40
        .size:           8
        .value_kind:     global_buffer
      - .offset:         48
        .size:           4
        .value_kind:     by_value
      - .offset:         52
        .size:           4
        .value_kind:     by_value
      - .offset:         56
        .size:           8
        .value_kind:     by_value
      - .address_space:  global
        .offset:         64
        .size:           8
        .value_kind:     global_buffer
      - .address_space:  global
        .offset:         72
        .size:           8
        .value_kind:     global_buffer
      - .offset:         80
        .size:           4
        .value_kind:     by_value
      - .offset:         84
        .size:           4
        .value_kind:     by_value
      - .offset:         88
        .size:           4
        .value_kind:     by_value
      - .offset:         92
        .size:           4
        .value_kind:     by_value
      - .offset:         96
        .size:           4
        .value_kind:     hidden_block_count_x
      - .offset:         100
        .size:           4
        .value_kind:     hidden_block_count_y
      - .offset:         104
        .size:           4
        .value_kind:     hidden_block_count_z
      - .offset:         108
        .size:           2
        .value_kind:     hidden_group_size_x
      - .offset:         110
        .size:           2
        .value_kind:     hidden_group_size_y
      - .offset:         112
        .size:           2
        .value_kind:     hidden_group_size_z
      - .offset:         114
        .size:           2
        .value_kind:     hidden_remainder_x
      - .offset:         116
        .size:           2
        .value_kind:     hidden_remainder_y
      - .offset:         118
        .size:           2
        .value_kind:     hidden_remainder_z
      - .offset:         136
        .size:           8
        .value_kind:     hidden_global_offset_x
      - .offset:         144
        .size:           8
        .value_kind:     hidden_global_offset_y
      - .offset:         152
        .size:           8
        .value_kind:     hidden_global_offset_z
      - .offset:         160
        .size:           2
        .value_kind:     hidden_grid_dims
    .group_segment_fixed_size: 36
    .kernarg_segment_align: 8
    .kernarg_segment_size: 352
    .language:       OpenCL C
    .language_version:
      - 2
      - 0
    .max_flat_workgroup_size: 1024
    .name:           _ZN9rocsolver6v33100L12steqr_kernelI19rocblas_complex_numIfEfPS3_EEviPT0_lS6_lT1_iilPiS6_iS5_S5_S5_
    .private_segment_fixed_size: 0
    .sgpr_count:     100
    .sgpr_spill_count: 2
    .symbol:         _ZN9rocsolver6v33100L12steqr_kernelI19rocblas_complex_numIfEfPS3_EEviPT0_lS6_lT1_iilPiS6_iS5_S5_S5_.kd
    .uniform_work_group_size: 1
    .uses_dynamic_stack: false
    .vgpr_count:     63
    .vgpr_spill_count: 0
    .wavefront_size: 64
  - .agpr_count:     0
    .args:
      - .offset:         0
        .size:           4
        .value_kind:     by_value
      - .offset:         4
        .size:           4
        .value_kind:     by_value
      - .offset:         8
        .size:           4
        .value_kind:     by_value
      - .address_space:  global
        .offset:         16
        .size:           8
        .value_kind:     global_buffer
      - .offset:         24
        .size:           4
        .value_kind:     by_value
      - .offset:         28
        .size:           4
        .value_kind:     by_value
      - .offset:         32
        .size:           8
        .value_kind:     by_value
      - .address_space:  global
        .offset:         40
        .size:           8
        .value_kind:     global_buffer
      - .offset:         48
        .size:           4
        .value_kind:     by_value
      - .offset:         52
        .size:           4
        .value_kind:     by_value
      - .offset:         56
        .size:           4
        .value_kind:     hidden_block_count_x
      - .offset:         60
        .size:           4
        .value_kind:     hidden_block_count_y
      - .offset:         64
        .size:           4
        .value_kind:     hidden_block_count_z
      - .offset:         68
        .size:           2
        .value_kind:     hidden_group_size_x
      - .offset:         70
        .size:           2
        .value_kind:     hidden_group_size_y
      - .offset:         72
        .size:           2
        .value_kind:     hidden_group_size_z
      - .offset:         74
        .size:           2
        .value_kind:     hidden_remainder_x
      - .offset:         76
        .size:           2
        .value_kind:     hidden_remainder_y
      - .offset:         78
        .size:           2
        .value_kind:     hidden_remainder_z
      - .offset:         96
        .size:           8
        .value_kind:     hidden_global_offset_x
      - .offset:         104
        .size:           8
        .value_kind:     hidden_global_offset_y
      - .offset:         112
        .size:           8
        .value_kind:     hidden_global_offset_z
      - .offset:         120
        .size:           2
        .value_kind:     hidden_grid_dims
    .group_segment_fixed_size: 0
    .kernarg_segment_align: 8
    .kernarg_segment_size: 312
    .language:       OpenCL C
    .language_version:
      - 2
      - 0
    .max_flat_workgroup_size: 1024
    .name:           _ZN9rocsolver6v33100L8copy_matI19rocblas_complex_numIfEfLb0EPS3_TnNSt9enable_ifIX18rocblas_is_complexIT_EEiE4typeELi0EEEvNS0_17copymat_directionEiiT2_iilPT0_13rocblas_fill_17rocblas_diagonal_
    .private_segment_fixed_size: 0
    .sgpr_count:     28
    .sgpr_spill_count: 0
    .symbol:         _ZN9rocsolver6v33100L8copy_matI19rocblas_complex_numIfEfLb0EPS3_TnNSt9enable_ifIX18rocblas_is_complexIT_EEiE4typeELi0EEEvNS0_17copymat_directionEiiT2_iilPT0_13rocblas_fill_17rocblas_diagonal_.kd
    .uniform_work_group_size: 1
    .uses_dynamic_stack: false
    .vgpr_count:     8
    .vgpr_spill_count: 0
    .wavefront_size: 64
  - .agpr_count:     0
    .args:
      - .offset:         0
        .size:           4
        .value_kind:     by_value
      - .offset:         4
        .size:           4
        .value_kind:     by_value
      - .address_space:  global
        .offset:         8
        .size:           8
        .value_kind:     global_buffer
      - .offset:         16
        .size:           4
        .value_kind:     by_value
      - .offset:         20
        .size:           4
        .value_kind:     by_value
      - .offset:         24
        .size:           8
        .value_kind:     by_value
      - .offset:         32
        .size:           4
        .value_kind:     by_value
      - .offset:         40
        .size:           4
        .value_kind:     hidden_block_count_x
      - .offset:         44
        .size:           4
        .value_kind:     hidden_block_count_y
      - .offset:         48
        .size:           4
        .value_kind:     hidden_block_count_z
      - .offset:         52
        .size:           2
        .value_kind:     hidden_group_size_x
      - .offset:         54
        .size:           2
        .value_kind:     hidden_group_size_y
      - .offset:         56
        .size:           2
        .value_kind:     hidden_group_size_z
      - .offset:         58
        .size:           2
        .value_kind:     hidden_remainder_x
      - .offset:         60
        .size:           2
        .value_kind:     hidden_remainder_y
      - .offset:         62
        .size:           2
        .value_kind:     hidden_remainder_z
      - .offset:         80
        .size:           8
        .value_kind:     hidden_global_offset_x
      - .offset:         88
        .size:           8
        .value_kind:     hidden_global_offset_y
      - .offset:         96
        .size:           8
        .value_kind:     hidden_global_offset_z
      - .offset:         104
        .size:           2
        .value_kind:     hidden_grid_dims
    .group_segment_fixed_size: 0
    .kernarg_segment_align: 8
    .kernarg_segment_size: 296
    .language:       OpenCL C
    .language_version:
      - 2
      - 0
    .max_flat_workgroup_size: 1024
    .name:           _ZN9rocsolver6v33100L8set_zeroI19rocblas_complex_numIfEPS3_EEviiT0_iil13rocblas_fill_
    .private_segment_fixed_size: 0
    .sgpr_count:     13
    .sgpr_spill_count: 0
    .symbol:         _ZN9rocsolver6v33100L8set_zeroI19rocblas_complex_numIfEPS3_EEviiT0_iil13rocblas_fill_.kd
    .uniform_work_group_size: 1
    .uses_dynamic_stack: false
    .vgpr_count:     4
    .vgpr_spill_count: 0
    .wavefront_size: 64
  - .agpr_count:     0
    .args:
      - .offset:         0
        .size:           4
        .value_kind:     by_value
      - .offset:         4
        .size:           4
        .value_kind:     by_value
      - .offset:         8
        .size:           4
        .value_kind:     by_value
      - .address_space:  global
        .offset:         16
        .size:           8
        .value_kind:     global_buffer
      - .offset:         24
        .size:           4
        .value_kind:     by_value
      - .offset:         28
        .size:           4
        .value_kind:     by_value
      - .offset:         32
        .size:           8
        .value_kind:     by_value
      - .address_space:  global
        .offset:         40
        .size:           8
        .value_kind:     global_buffer
      - .offset:         48
        .size:           4
        .value_kind:     by_value
      - .offset:         52
        .size:           4
        .value_kind:     by_value
      - .offset:         56
        .size:           4
        .value_kind:     hidden_block_count_x
      - .offset:         60
        .size:           4
        .value_kind:     hidden_block_count_y
      - .offset:         64
        .size:           4
        .value_kind:     hidden_block_count_z
      - .offset:         68
        .size:           2
        .value_kind:     hidden_group_size_x
      - .offset:         70
        .size:           2
        .value_kind:     hidden_group_size_y
      - .offset:         72
        .size:           2
        .value_kind:     hidden_group_size_z
      - .offset:         74
        .size:           2
        .value_kind:     hidden_remainder_x
      - .offset:         76
        .size:           2
        .value_kind:     hidden_remainder_y
      - .offset:         78
        .size:           2
        .value_kind:     hidden_remainder_z
      - .offset:         96
        .size:           8
        .value_kind:     hidden_global_offset_x
      - .offset:         104
        .size:           8
        .value_kind:     hidden_global_offset_y
      - .offset:         112
        .size:           8
        .value_kind:     hidden_global_offset_z
      - .offset:         120
        .size:           2
        .value_kind:     hidden_grid_dims
    .group_segment_fixed_size: 0
    .kernarg_segment_align: 8
    .kernarg_segment_size: 312
    .language:       OpenCL C
    .language_version:
      - 2
      - 0
    .max_flat_workgroup_size: 1024
    .name:           _ZN9rocsolver6v33100L8copy_matI19rocblas_complex_numIfEfLb1EPS3_TnNSt9enable_ifIX18rocblas_is_complexIT_EEiE4typeELi0EEEvNS0_17copymat_directionEiiT2_iilPT0_13rocblas_fill_17rocblas_diagonal_
    .private_segment_fixed_size: 0
    .sgpr_count:     22
    .sgpr_spill_count: 0
    .symbol:         _ZN9rocsolver6v33100L8copy_matI19rocblas_complex_numIfEfLb1EPS3_TnNSt9enable_ifIX18rocblas_is_complexIT_EEiE4typeELi0EEEvNS0_17copymat_directionEiiT2_iilPT0_13rocblas_fill_17rocblas_diagonal_.kd
    .uniform_work_group_size: 1
    .uses_dynamic_stack: false
    .vgpr_count:     8
    .vgpr_spill_count: 0
    .wavefront_size: 64
  - .agpr_count:     0
    .args:
      - .offset:         0
        .size:           4
        .value_kind:     by_value
      - .address_space:  global
        .offset:         8
        .size:           8
        .value_kind:     global_buffer
      - .offset:         16
        .size:           4
        .value_kind:     by_value
      - .offset:         20
        .size:           4
        .value_kind:     by_value
      - .offset:         24
        .size:           8
        .value_kind:     by_value
      - .address_space:  global
        .offset:         32
        .size:           8
        .value_kind:     global_buffer
      - .offset:         40
        .size:           4
        .value_kind:     by_value
      - .offset:         44
        .size:           4
        .value_kind:     by_value
      - .offset:         48
        .size:           8
        .value_kind:     by_value
      - .offset:         56
        .size:           4
        .value_kind:     hidden_block_count_x
      - .offset:         60
        .size:           4
        .value_kind:     hidden_block_count_y
      - .offset:         64
        .size:           4
        .value_kind:     hidden_block_count_z
      - .offset:         68
        .size:           2
        .value_kind:     hidden_group_size_x
      - .offset:         70
        .size:           2
        .value_kind:     hidden_group_size_y
      - .offset:         72
        .size:           2
        .value_kind:     hidden_group_size_z
      - .offset:         74
        .size:           2
        .value_kind:     hidden_remainder_x
      - .offset:         76
        .size:           2
        .value_kind:     hidden_remainder_y
      - .offset:         78
        .size:           2
        .value_kind:     hidden_remainder_z
      - .offset:         96
        .size:           8
        .value_kind:     hidden_global_offset_x
      - .offset:         104
        .size:           8
        .value_kind:     hidden_global_offset_y
      - .offset:         112
        .size:           8
        .value_kind:     hidden_global_offset_z
      - .offset:         120
        .size:           2
        .value_kind:     hidden_grid_dims
    .group_segment_fixed_size: 0
    .kernarg_segment_align: 8
    .kernarg_segment_size: 312
    .language:       OpenCL C
    .language_version:
      - 2
      - 0
    .max_flat_workgroup_size: 512
    .name:           _ZN9rocsolver6v33100L11stedc_copyCI19rocblas_complex_numIfEPS3_S4_EEviT0_iilT1_iil
    .private_segment_fixed_size: 0
    .sgpr_count:     61
    .sgpr_spill_count: 0
    .symbol:         _ZN9rocsolver6v33100L11stedc_copyCI19rocblas_complex_numIfEPS3_S4_EEviT0_iilT1_iil.kd
    .uniform_work_group_size: 1
    .uses_dynamic_stack: false
    .vgpr_count:     66
    .vgpr_spill_count: 0
    .wavefront_size: 64
  - .agpr_count:     0
    .args:
      - .offset:         0
        .size:           4
        .value_kind:     by_value
      - .address_space:  global
        .offset:         8
        .size:           8
        .value_kind:     global_buffer
      - .offset:         16
        .size:           8
        .value_kind:     by_value
      - .address_space:  global
        .offset:         24
        .size:           8
        .value_kind:     global_buffer
      - .offset:         32
        .size:           8
        .value_kind:     by_value
      - .address_space:  global
        .offset:         40
        .size:           8
        .value_kind:     global_buffer
      - .offset:         48
        .size:           4
        .value_kind:     by_value
      - .offset:         52
        .size:           4
        .value_kind:     by_value
      - .offset:         56
        .size:           8
        .value_kind:     by_value
      - .address_space:  global
        .offset:         64
        .size:           8
        .value_kind:     global_buffer
      - .offset:         72
        .size:           4
        .value_kind:     by_value
      - .offset:         76
        .size:           4
        .value_kind:     by_value
      - .offset:         80
        .size:           8
        .value_kind:     by_value
      - .offset:         88
        .size:           4
        .value_kind:     hidden_block_count_x
      - .offset:         92
        .size:           4
        .value_kind:     hidden_block_count_y
      - .offset:         96
        .size:           4
        .value_kind:     hidden_block_count_z
      - .offset:         100
        .size:           2
        .value_kind:     hidden_group_size_x
      - .offset:         102
        .size:           2
        .value_kind:     hidden_group_size_y
      - .offset:         104
        .size:           2
        .value_kind:     hidden_group_size_z
      - .offset:         106
        .size:           2
        .value_kind:     hidden_remainder_x
      - .offset:         108
        .size:           2
        .value_kind:     hidden_remainder_y
      - .offset:         110
        .size:           2
        .value_kind:     hidden_remainder_z
      - .offset:         128
        .size:           8
        .value_kind:     hidden_global_offset_x
      - .offset:         136
        .size:           8
        .value_kind:     hidden_global_offset_y
      - .offset:         144
        .size:           8
        .value_kind:     hidden_global_offset_z
      - .offset:         152
        .size:           2
        .value_kind:     hidden_grid_dims
    .group_segment_fixed_size: 2048
    .kernarg_segment_align: 8
    .kernarg_segment_size: 344
    .language:       OpenCL C
    .language_version:
      - 2
      - 0
    .max_flat_workgroup_size: 512
    .name:           _ZN9rocsolver6v33100L10stedc_sortI19rocblas_complex_numIfEfPS3_S4_EEviPT0_lS6_lT1_iilT2_iil
    .private_segment_fixed_size: 0
    .sgpr_count:     76
    .sgpr_spill_count: 0
    .symbol:         _ZN9rocsolver6v33100L10stedc_sortI19rocblas_complex_numIfEfPS3_S4_EEviPT0_lS6_lT1_iilT2_iil.kd
    .uniform_work_group_size: 1
    .uses_dynamic_stack: false
    .vgpr_count:     66
    .vgpr_spill_count: 0
    .wavefront_size: 64
  - .agpr_count:     0
    .args:
      - .offset:         0
        .size:           4
        .value_kind:     by_value
      - .offset:         4
        .size:           4
        .value_kind:     by_value
      - .address_space:  global
        .offset:         8
        .size:           8
        .value_kind:     global_buffer
      - .offset:         16
        .size:           8
        .value_kind:     by_value
      - .offset:         24
        .size:           4
        .value_kind:     by_value
      - .offset:         32
        .size:           8
        .value_kind:     by_value
      - .offset:         40
        .size:           4
        .value_kind:     hidden_block_count_x
      - .offset:         44
        .size:           4
        .value_kind:     hidden_block_count_y
      - .offset:         48
        .size:           4
        .value_kind:     hidden_block_count_z
      - .offset:         52
        .size:           2
        .value_kind:     hidden_group_size_x
      - .offset:         54
        .size:           2
        .value_kind:     hidden_group_size_y
      - .offset:         56
        .size:           2
        .value_kind:     hidden_group_size_z
      - .offset:         58
        .size:           2
        .value_kind:     hidden_remainder_x
      - .offset:         60
        .size:           2
        .value_kind:     hidden_remainder_y
      - .offset:         62
        .size:           2
        .value_kind:     hidden_remainder_z
      - .offset:         80
        .size:           8
        .value_kind:     hidden_global_offset_x
      - .offset:         88
        .size:           8
        .value_kind:     hidden_global_offset_y
      - .offset:         96
        .size:           8
        .value_kind:     hidden_global_offset_z
      - .offset:         104
        .size:           2
        .value_kind:     hidden_grid_dims
    .group_segment_fixed_size: 0
    .kernarg_segment_align: 8
    .kernarg_segment_size: 296
    .language:       OpenCL C
    .language_version:
      - 2
      - 0
    .max_flat_workgroup_size: 1024
    .name:           _ZN9rocsolver6v33100L13conj_in_placeI19rocblas_complex_numIfEiPS3_TnNSt9enable_ifIX18rocblas_is_complexIT_EEiE4typeELi0EEEvT0_S9_T1_lS9_l
    .private_segment_fixed_size: 0
    .sgpr_count:     14
    .sgpr_spill_count: 0
    .symbol:         _ZN9rocsolver6v33100L13conj_in_placeI19rocblas_complex_numIfEiPS3_TnNSt9enable_ifIX18rocblas_is_complexIT_EEiE4typeELi0EEEvT0_S9_T1_lS9_l.kd
    .uniform_work_group_size: 1
    .uses_dynamic_stack: false
    .vgpr_count:     7
    .vgpr_spill_count: 0
    .wavefront_size: 64
  - .agpr_count:     0
    .args:
      - .address_space:  global
        .offset:         0
        .size:           8
        .value_kind:     global_buffer
      - .offset:         8
        .size:           8
        .value_kind:     by_value
      - .offset:         16
        .size:           8
        .value_kind:     by_value
      - .address_space:  global
        .offset:         24
        .size:           8
        .value_kind:     global_buffer
      - .offset:         32
        .size:           8
        .value_kind:     by_value
      - .offset:         40
        .size:           4
        .value_kind:     by_value
      - .offset:         48
        .size:           8
        .value_kind:     by_value
      - .offset:         56
        .size:           4
        .value_kind:     by_value
      - .offset:         60
        .size:           1
        .value_kind:     by_value
      - .offset:         64
        .size:           4
        .value_kind:     hidden_block_count_x
      - .offset:         68
        .size:           4
        .value_kind:     hidden_block_count_y
      - .offset:         72
        .size:           4
        .value_kind:     hidden_block_count_z
      - .offset:         76
        .size:           2
        .value_kind:     hidden_group_size_x
      - .offset:         78
        .size:           2
        .value_kind:     hidden_group_size_y
      - .offset:         80
        .size:           2
        .value_kind:     hidden_group_size_z
      - .offset:         82
        .size:           2
        .value_kind:     hidden_remainder_x
      - .offset:         84
        .size:           2
        .value_kind:     hidden_remainder_y
      - .offset:         86
        .size:           2
        .value_kind:     hidden_remainder_z
      - .offset:         104
        .size:           8
        .value_kind:     hidden_global_offset_x
      - .offset:         112
        .size:           8
        .value_kind:     hidden_global_offset_y
      - .offset:         120
        .size:           8
        .value_kind:     hidden_global_offset_z
      - .offset:         128
        .size:           2
        .value_kind:     hidden_grid_dims
    .group_segment_fixed_size: 0
    .kernarg_segment_align: 8
    .kernarg_segment_size: 320
    .language:       OpenCL C
    .language_version:
      - 2
      - 0
    .max_flat_workgroup_size: 1024
    .name:           _ZN9rocsolver6v33100L8set_diagI19rocblas_complex_numIfEiS3_PS3_TnNSt9enable_ifIXoont18rocblas_is_complexIT_E18rocblas_is_complexIT1_EEiE4typeELi0EEEvPS7_llT2_lT0_lSC_b
    .private_segment_fixed_size: 0
    .sgpr_count:     23
    .sgpr_spill_count: 0
    .symbol:         _ZN9rocsolver6v33100L8set_diagI19rocblas_complex_numIfEiS3_PS3_TnNSt9enable_ifIXoont18rocblas_is_complexIT_E18rocblas_is_complexIT1_EEiE4typeELi0EEEvPS7_llT2_lT0_lSC_b.kd
    .uniform_work_group_size: 1
    .uses_dynamic_stack: false
    .vgpr_count:     7
    .vgpr_spill_count: 0
    .wavefront_size: 64
  - .agpr_count:     0
    .args:
      - .offset:         0
        .size:           4
        .value_kind:     by_value
      - .offset:         4
        .size:           4
        .value_kind:     by_value
      - .address_space:  global
        .offset:         8
        .size:           8
        .value_kind:     global_buffer
      - .offset:         16
        .size:           8
        .value_kind:     by_value
      - .offset:         24
        .size:           4
        .value_kind:     by_value
      - .offset:         32
        .size:           8
        .value_kind:     by_value
      - .address_space:  global
        .offset:         40
        .size:           8
        .value_kind:     global_buffer
      - .offset:         48
        .size:           8
        .value_kind:     by_value
      - .address_space:  global
        .offset:         56
        .size:           8
        .value_kind:     global_buffer
      - .offset:         64
        .size:           8
        .value_kind:     by_value
      - .offset:         72
        .size:           4
        .value_kind:     by_value
      - .offset:         80
        .size:           8
        .value_kind:     by_value
    .group_segment_fixed_size: 0
    .kernarg_segment_align: 8
    .kernarg_segment_size: 88
    .language:       OpenCL C
    .language_version:
      - 2
      - 0
    .max_flat_workgroup_size: 1024
    .name:           _ZN9rocsolver6v33100L16larf_left_kernelILi1024E19rocblas_complex_numIfEiPS3_EEvT1_S5_T2_lS5_lPKT0_lS6_lS5_l
    .private_segment_fixed_size: 0
    .sgpr_count:     36
    .sgpr_spill_count: 0
    .symbol:         _ZN9rocsolver6v33100L16larf_left_kernelILi1024E19rocblas_complex_numIfEiPS3_EEvT1_S5_T2_lS5_lPKT0_lS6_lS5_l.kd
    .uniform_work_group_size: 1
    .uses_dynamic_stack: false
    .vgpr_count:     30
    .vgpr_spill_count: 0
    .wavefront_size: 64
  - .agpr_count:     0
    .args:
      - .offset:         0
        .size:           4
        .value_kind:     by_value
      - .offset:         4
        .size:           4
        .value_kind:     by_value
      - .address_space:  global
        .offset:         8
        .size:           8
        .value_kind:     global_buffer
      - .offset:         16
        .size:           8
        .value_kind:     by_value
      - .offset:         24
        .size:           4
        .value_kind:     by_value
      - .offset:         32
        .size:           8
        .value_kind:     by_value
      - .address_space:  global
        .offset:         40
        .size:           8
        .value_kind:     global_buffer
      - .offset:         48
        .size:           8
        .value_kind:     by_value
      - .address_space:  global
        .offset:         56
        .size:           8
        .value_kind:     global_buffer
      - .offset:         64
        .size:           8
        .value_kind:     by_value
      - .offset:         72
        .size:           4
        .value_kind:     by_value
      - .offset:         80
        .size:           8
        .value_kind:     by_value
    .group_segment_fixed_size: 0
    .kernarg_segment_align: 8
    .kernarg_segment_size: 88
    .language:       OpenCL C
    .language_version:
      - 2
      - 0
    .max_flat_workgroup_size: 1024
    .name:           _ZN9rocsolver6v33100L17larf_right_kernelILi1024E19rocblas_complex_numIfEiPS3_EEvT1_S5_T2_lS5_lPKT0_lS6_lS5_l
    .private_segment_fixed_size: 0
    .sgpr_count:     40
    .sgpr_spill_count: 0
    .symbol:         _ZN9rocsolver6v33100L17larf_right_kernelILi1024E19rocblas_complex_numIfEiPS3_EEvT1_S5_T2_lS5_lPKT0_lS6_lS5_l.kd
    .uniform_work_group_size: 1
    .uses_dynamic_stack: false
    .vgpr_count:     21
    .vgpr_spill_count: 0
    .wavefront_size: 64
  - .agpr_count:     0
    .args:
      - .address_space:  global
        .offset:         0
        .size:           8
        .value_kind:     global_buffer
      - .offset:         8
        .size:           8
        .value_kind:     by_value
      - .offset:         16
        .size:           8
        .value_kind:     by_value
      - .address_space:  global
        .offset:         24
        .size:           8
        .value_kind:     global_buffer
      - .offset:         32
        .size:           8
        .value_kind:     by_value
      - .offset:         40
        .size:           4
        .value_kind:     by_value
      - .offset:         48
        .size:           8
        .value_kind:     by_value
      - .offset:         56
        .size:           4
        .value_kind:     by_value
      - .offset:         64
        .size:           4
        .value_kind:     hidden_block_count_x
      - .offset:         68
        .size:           4
        .value_kind:     hidden_block_count_y
      - .offset:         72
        .size:           4
        .value_kind:     hidden_block_count_z
      - .offset:         76
        .size:           2
        .value_kind:     hidden_group_size_x
      - .offset:         78
        .size:           2
        .value_kind:     hidden_group_size_y
      - .offset:         80
        .size:           2
        .value_kind:     hidden_group_size_z
      - .offset:         82
        .size:           2
        .value_kind:     hidden_remainder_x
      - .offset:         84
        .size:           2
        .value_kind:     hidden_remainder_y
      - .offset:         86
        .size:           2
        .value_kind:     hidden_remainder_z
      - .offset:         104
        .size:           8
        .value_kind:     hidden_global_offset_x
      - .offset:         112
        .size:           8
        .value_kind:     hidden_global_offset_y
      - .offset:         120
        .size:           8
        .value_kind:     hidden_global_offset_z
      - .offset:         128
        .size:           2
        .value_kind:     hidden_grid_dims
    .group_segment_fixed_size: 0
    .kernarg_segment_align: 8
    .kernarg_segment_size: 320
    .language:       OpenCL C
    .language_version:
      - 2
      - 0
    .max_flat_workgroup_size: 1024
    .name:           _ZN9rocsolver6v33100L12restore_diagI19rocblas_complex_numIfEiS3_PS3_EEvPT1_llT2_lT0_lS8_
    .private_segment_fixed_size: 0
    .sgpr_count:     20
    .sgpr_spill_count: 0
    .symbol:         _ZN9rocsolver6v33100L12restore_diagI19rocblas_complex_numIfEiS3_PS3_EEvPT1_llT2_lT0_lS8_.kd
    .uniform_work_group_size: 1
    .uses_dynamic_stack: false
    .vgpr_count:     5
    .vgpr_spill_count: 0
    .wavefront_size: 64
  - .agpr_count:     0
    .args:
      - .offset:         0
        .size:           4
        .value_kind:     by_value
      - .offset:         4
        .size:           4
        .value_kind:     by_value
      - .address_space:  global
        .offset:         8
        .size:           8
        .value_kind:     global_buffer
      - .offset:         16
        .size:           4
        .value_kind:     by_value
      - .offset:         20
        .size:           4
        .value_kind:     by_value
      - .offset:         24
        .size:           8
        .value_kind:     by_value
      - .address_space:  global
        .offset:         32
        .size:           8
        .value_kind:     global_buffer
      - .offset:         40
        .size:           8
        .value_kind:     by_value
      - .address_space:  global
        .offset:         48
        .size:           8
        .value_kind:     global_buffer
      - .offset:         56
        .size:           4
        .value_kind:     by_value
      - .offset:         64
        .size:           8
        .value_kind:     by_value
      - .offset:         72
        .size:           4
        .value_kind:     by_value
      - .offset:         76
        .size:           4
        .value_kind:     by_value
      - .offset:         80
        .size:           1
        .value_kind:     by_value
      - .offset:         88
        .size:           4
        .value_kind:     hidden_block_count_x
      - .offset:         92
        .size:           4
        .value_kind:     hidden_block_count_y
      - .offset:         96
        .size:           4
        .value_kind:     hidden_block_count_z
      - .offset:         100
        .size:           2
        .value_kind:     hidden_group_size_x
      - .offset:         102
        .size:           2
        .value_kind:     hidden_group_size_y
      - .offset:         104
        .size:           2
        .value_kind:     hidden_group_size_z
      - .offset:         106
        .size:           2
        .value_kind:     hidden_remainder_x
      - .offset:         108
        .size:           2
        .value_kind:     hidden_remainder_y
      - .offset:         110
        .size:           2
        .value_kind:     hidden_remainder_z
      - .offset:         128
        .size:           8
        .value_kind:     hidden_global_offset_x
      - .offset:         136
        .size:           8
        .value_kind:     hidden_global_offset_y
      - .offset:         144
        .size:           8
        .value_kind:     hidden_global_offset_z
      - .offset:         152
        .size:           2
        .value_kind:     hidden_grid_dims
    .group_segment_fixed_size: 0
    .kernarg_segment_align: 8
    .kernarg_segment_size: 344
    .language:       OpenCL C
    .language_version:
      - 2
      - 0
    .max_flat_workgroup_size: 1024
    .name:           _ZN9rocsolver6v33100L14set_triangularI19rocblas_complex_numIfEPS3_TnNSt9enable_ifIX18rocblas_is_complexIT_EEiE4typeELi0EEEviiT0_iilPS6_lSA_il15rocblas_direct_15rocblas_storev_b
    .private_segment_fixed_size: 0
    .sgpr_count:     27
    .sgpr_spill_count: 0
    .symbol:         _ZN9rocsolver6v33100L14set_triangularI19rocblas_complex_numIfEPS3_TnNSt9enable_ifIX18rocblas_is_complexIT_EEiE4typeELi0EEEviiT0_iilPS6_lSA_il15rocblas_direct_15rocblas_storev_b.kd
    .uniform_work_group_size: 1
    .uses_dynamic_stack: false
    .vgpr_count:     18
    .vgpr_spill_count: 0
    .wavefront_size: 64
  - .agpr_count:     0
    .args:
      - .offset:         0
        .size:           4
        .value_kind:     by_value
      - .address_space:  global
        .offset:         8
        .size:           8
        .value_kind:     global_buffer
      - .offset:         16
        .size:           8
        .value_kind:     by_value
      - .offset:         24
        .size:           4
        .value_kind:     hidden_block_count_x
      - .offset:         28
        .size:           4
        .value_kind:     hidden_block_count_y
      - .offset:         32
        .size:           4
        .value_kind:     hidden_block_count_z
      - .offset:         36
        .size:           2
        .value_kind:     hidden_group_size_x
      - .offset:         38
        .size:           2
        .value_kind:     hidden_group_size_y
      - .offset:         40
        .size:           2
        .value_kind:     hidden_group_size_z
      - .offset:         42
        .size:           2
        .value_kind:     hidden_remainder_x
      - .offset:         44
        .size:           2
        .value_kind:     hidden_remainder_y
      - .offset:         46
        .size:           2
        .value_kind:     hidden_remainder_z
      - .offset:         64
        .size:           8
        .value_kind:     hidden_global_offset_x
      - .offset:         72
        .size:           8
        .value_kind:     hidden_global_offset_y
      - .offset:         80
        .size:           8
        .value_kind:     hidden_global_offset_z
      - .offset:         88
        .size:           2
        .value_kind:     hidden_grid_dims
    .group_segment_fixed_size: 0
    .kernarg_segment_align: 8
    .kernarg_segment_size: 280
    .language:       OpenCL C
    .language_version:
      - 2
      - 0
    .max_flat_workgroup_size: 1024
    .name:           _ZN9rocsolver6v33100L7set_tauI19rocblas_complex_numIfEEEviPT_l
    .private_segment_fixed_size: 0
    .sgpr_count:     12
    .sgpr_spill_count: 0
    .symbol:         _ZN9rocsolver6v33100L7set_tauI19rocblas_complex_numIfEEEviPT_l.kd
    .uniform_work_group_size: 1
    .uses_dynamic_stack: false
    .vgpr_count:     4
    .vgpr_spill_count: 0
    .wavefront_size: 64
  - .agpr_count:     0
    .args:
      - .offset:         0
        .size:           4
        .value_kind:     by_value
      - .offset:         4
        .size:           4
        .value_kind:     by_value
      - .offset:         8
        .size:           4
        .value_kind:     by_value
      - .address_space:  global
        .offset:         16
        .size:           8
        .value_kind:     global_buffer
      - .offset:         24
        .size:           4
        .value_kind:     by_value
      - .offset:         28
        .size:           4
        .value_kind:     by_value
      - .offset:         32
        .size:           8
        .value_kind:     by_value
      - .address_space:  global
        .offset:         40
        .size:           8
        .value_kind:     global_buffer
      - .offset:         48
        .size:           8
        .value_kind:     by_value
      - .address_space:  global
        .offset:         56
        .size:           8
        .value_kind:     global_buffer
      - .offset:         64
        .size:           4
        .value_kind:     by_value
      - .offset:         72
        .size:           8
        .value_kind:     by_value
      - .offset:         80
        .size:           4
        .value_kind:     hidden_block_count_x
      - .offset:         84
        .size:           4
        .value_kind:     hidden_block_count_y
      - .offset:         88
        .size:           4
        .value_kind:     hidden_block_count_z
      - .offset:         92
        .size:           2
        .value_kind:     hidden_group_size_x
      - .offset:         94
        .size:           2
        .value_kind:     hidden_group_size_y
      - .offset:         96
        .size:           2
        .value_kind:     hidden_group_size_z
      - .offset:         98
        .size:           2
        .value_kind:     hidden_remainder_x
      - .offset:         100
        .size:           2
        .value_kind:     hidden_remainder_y
      - .offset:         102
        .size:           2
        .value_kind:     hidden_remainder_z
      - .offset:         120
        .size:           8
        .value_kind:     hidden_global_offset_x
      - .offset:         128
        .size:           8
        .value_kind:     hidden_global_offset_y
      - .offset:         136
        .size:           8
        .value_kind:     hidden_global_offset_z
      - .offset:         144
        .size:           2
        .value_kind:     hidden_grid_dims
      - .offset:         200
        .size:           4
        .value_kind:     hidden_dynamic_lds_size
    .group_segment_fixed_size: 0
    .kernarg_segment_align: 8
    .kernarg_segment_size: 336
    .language:       OpenCL C
    .language_version:
      - 2
      - 0
    .max_flat_workgroup_size: 1024
    .name:           _ZN9rocsolver6v33100L20larft_kernel_forwardI19rocblas_complex_numIfEPS3_EEv15rocblas_storev_iiT0_iilPT_lS8_il
    .private_segment_fixed_size: 0
    .sgpr_count:     56
    .sgpr_spill_count: 0
    .symbol:         _ZN9rocsolver6v33100L20larft_kernel_forwardI19rocblas_complex_numIfEPS3_EEv15rocblas_storev_iiT0_iilPT_lS8_il.kd
    .uniform_work_group_size: 1
    .uses_dynamic_stack: false
    .vgpr_count:     24
    .vgpr_spill_count: 0
    .wavefront_size: 64
  - .agpr_count:     0
    .args:
      - .offset:         0
        .size:           4
        .value_kind:     by_value
      - .offset:         4
        .size:           4
        .value_kind:     by_value
      - .offset:         8
        .size:           4
        .value_kind:     by_value
      - .address_space:  global
        .offset:         16
        .size:           8
        .value_kind:     global_buffer
      - .offset:         24
        .size:           4
        .value_kind:     by_value
      - .offset:         28
        .size:           4
        .value_kind:     by_value
      - .offset:         32
        .size:           8
        .value_kind:     by_value
      - .address_space:  global
        .offset:         40
        .size:           8
        .value_kind:     global_buffer
      - .offset:         48
        .size:           8
        .value_kind:     by_value
      - .address_space:  global
        .offset:         56
        .size:           8
        .value_kind:     global_buffer
      - .offset:         64
        .size:           4
        .value_kind:     by_value
      - .offset:         72
        .size:           8
        .value_kind:     by_value
      - .offset:         80
        .size:           4
        .value_kind:     hidden_block_count_x
      - .offset:         84
        .size:           4
        .value_kind:     hidden_block_count_y
      - .offset:         88
        .size:           4
        .value_kind:     hidden_block_count_z
      - .offset:         92
        .size:           2
        .value_kind:     hidden_group_size_x
      - .offset:         94
        .size:           2
        .value_kind:     hidden_group_size_y
      - .offset:         96
        .size:           2
        .value_kind:     hidden_group_size_z
      - .offset:         98
        .size:           2
        .value_kind:     hidden_remainder_x
      - .offset:         100
        .size:           2
        .value_kind:     hidden_remainder_y
      - .offset:         102
        .size:           2
        .value_kind:     hidden_remainder_z
      - .offset:         120
        .size:           8
        .value_kind:     hidden_global_offset_x
      - .offset:         128
        .size:           8
        .value_kind:     hidden_global_offset_y
      - .offset:         136
        .size:           8
        .value_kind:     hidden_global_offset_z
      - .offset:         144
        .size:           2
        .value_kind:     hidden_grid_dims
      - .offset:         200
        .size:           4
        .value_kind:     hidden_dynamic_lds_size
    .group_segment_fixed_size: 0
    .kernarg_segment_align: 8
    .kernarg_segment_size: 336
    .language:       OpenCL C
    .language_version:
      - 2
      - 0
    .max_flat_workgroup_size: 1024
    .name:           _ZN9rocsolver6v33100L21larft_kernel_backwardI19rocblas_complex_numIfEPS3_EEv15rocblas_storev_iiT0_iilPT_lS8_il
    .private_segment_fixed_size: 0
    .sgpr_count:     60
    .sgpr_spill_count: 0
    .symbol:         _ZN9rocsolver6v33100L21larft_kernel_backwardI19rocblas_complex_numIfEPS3_EEv15rocblas_storev_iiT0_iilPT_lS8_il.kd
    .uniform_work_group_size: 1
    .uses_dynamic_stack: false
    .vgpr_count:     20
    .vgpr_spill_count: 0
    .wavefront_size: 64
  - .agpr_count:     0
    .args:
      - .offset:         0
        .size:           4
        .value_kind:     by_value
      - .offset:         4
        .size:           4
        .value_kind:     by_value
      - .address_space:  global
        .offset:         8
        .size:           8
        .value_kind:     global_buffer
      - .offset:         16
        .size:           4
        .value_kind:     by_value
      - .offset:         20
        .size:           4
        .value_kind:     by_value
      - .offset:         24
        .size:           8
        .value_kind:     by_value
      - .address_space:  global
        .offset:         32
        .size:           8
        .value_kind:     global_buffer
      - .offset:         40
        .size:           4
        .value_kind:     hidden_block_count_x
      - .offset:         44
        .size:           4
        .value_kind:     hidden_block_count_y
      - .offset:         48
        .size:           4
        .value_kind:     hidden_block_count_z
      - .offset:         52
        .size:           2
        .value_kind:     hidden_group_size_x
      - .offset:         54
        .size:           2
        .value_kind:     hidden_group_size_y
      - .offset:         56
        .size:           2
        .value_kind:     hidden_group_size_z
      - .offset:         58
        .size:           2
        .value_kind:     hidden_remainder_x
      - .offset:         60
        .size:           2
        .value_kind:     hidden_remainder_y
      - .offset:         62
        .size:           2
        .value_kind:     hidden_remainder_z
      - .offset:         80
        .size:           8
        .value_kind:     hidden_global_offset_x
      - .offset:         88
        .size:           8
        .value_kind:     hidden_global_offset_y
      - .offset:         96
        .size:           8
        .value_kind:     hidden_global_offset_z
      - .offset:         104
        .size:           2
        .value_kind:     hidden_grid_dims
    .group_segment_fixed_size: 0
    .kernarg_segment_align: 8
    .kernarg_segment_size: 296
    .language:       OpenCL C
    .language_version:
      - 2
      - 0
    .max_flat_workgroup_size: 1024
    .name:           _ZN9rocsolver6v33100L9copymatA1I19rocblas_complex_numIfEPS3_EEviiT0_iilPT_
    .private_segment_fixed_size: 0
    .sgpr_count:     24
    .sgpr_spill_count: 0
    .symbol:         _ZN9rocsolver6v33100L9copymatA1I19rocblas_complex_numIfEPS3_EEviiT0_iilPT_.kd
    .uniform_work_group_size: 1
    .uses_dynamic_stack: false
    .vgpr_count:     6
    .vgpr_spill_count: 0
    .wavefront_size: 64
  - .agpr_count:     0
    .args:
      - .offset:         0
        .size:           4
        .value_kind:     by_value
      - .offset:         4
        .size:           4
        .value_kind:     by_value
      - .address_space:  global
        .offset:         8
        .size:           8
        .value_kind:     global_buffer
      - .offset:         16
        .size:           4
        .value_kind:     by_value
      - .offset:         20
        .size:           4
        .value_kind:     by_value
      - .offset:         24
        .size:           8
        .value_kind:     by_value
      - .address_space:  global
        .offset:         32
        .size:           8
        .value_kind:     global_buffer
      - .offset:         40
        .size:           4
        .value_kind:     hidden_block_count_x
      - .offset:         44
        .size:           4
        .value_kind:     hidden_block_count_y
      - .offset:         48
        .size:           4
        .value_kind:     hidden_block_count_z
      - .offset:         52
        .size:           2
        .value_kind:     hidden_group_size_x
      - .offset:         54
        .size:           2
        .value_kind:     hidden_group_size_y
      - .offset:         56
        .size:           2
        .value_kind:     hidden_group_size_z
      - .offset:         58
        .size:           2
        .value_kind:     hidden_remainder_x
      - .offset:         60
        .size:           2
        .value_kind:     hidden_remainder_y
      - .offset:         62
        .size:           2
        .value_kind:     hidden_remainder_z
      - .offset:         80
        .size:           8
        .value_kind:     hidden_global_offset_x
      - .offset:         88
        .size:           8
        .value_kind:     hidden_global_offset_y
      - .offset:         96
        .size:           8
        .value_kind:     hidden_global_offset_z
      - .offset:         104
        .size:           2
        .value_kind:     hidden_grid_dims
    .group_segment_fixed_size: 0
    .kernarg_segment_align: 8
    .kernarg_segment_size: 296
    .language:       OpenCL C
    .language_version:
      - 2
      - 0
    .max_flat_workgroup_size: 1024
    .name:           _ZN9rocsolver6v33100L8addmatA1I19rocblas_complex_numIfEPS3_EEviiT0_iilPT_
    .private_segment_fixed_size: 0
    .sgpr_count:     19
    .sgpr_spill_count: 0
    .symbol:         _ZN9rocsolver6v33100L8addmatA1I19rocblas_complex_numIfEPS3_EEviiT0_iilPT_.kd
    .uniform_work_group_size: 1
    .uses_dynamic_stack: false
    .vgpr_count:     8
    .vgpr_spill_count: 0
    .wavefront_size: 64
  - .agpr_count:     0
    .args:
      - .offset:         0
        .size:           4
        .value_kind:     by_value
      - .offset:         4
        .size:           4
        .value_kind:     by_value
      - .address_space:  global
        .offset:         8
        .size:           8
        .value_kind:     global_buffer
      - .offset:         16
        .size:           4
        .value_kind:     by_value
      - .offset:         20
        .size:           4
        .value_kind:     by_value
      - .offset:         24
        .size:           8
        .value_kind:     by_value
      - .address_space:  global
        .offset:         32
        .size:           8
        .value_kind:     global_buffer
      - .offset:         40
        .size:           4
        .value_kind:     by_value
      - .offset:         44
        .size:           4
        .value_kind:     by_value
      - .offset:         48
        .size:           8
        .value_kind:     by_value
      - .offset:         56
        .size:           1
        .value_kind:     by_value
      - .offset:         60
        .size:           4
        .value_kind:     by_value
      - .offset:         64
        .size:           4
        .value_kind:     by_value
      - .offset:         72
        .size:           4
        .value_kind:     hidden_block_count_x
      - .offset:         76
        .size:           4
        .value_kind:     hidden_block_count_y
      - .offset:         80
        .size:           4
        .value_kind:     hidden_block_count_z
      - .offset:         84
        .size:           2
        .value_kind:     hidden_group_size_x
      - .offset:         86
        .size:           2
        .value_kind:     hidden_group_size_y
      - .offset:         88
        .size:           2
        .value_kind:     hidden_group_size_z
      - .offset:         90
        .size:           2
        .value_kind:     hidden_remainder_x
      - .offset:         92
        .size:           2
        .value_kind:     hidden_remainder_y
      - .offset:         94
        .size:           2
        .value_kind:     hidden_remainder_z
      - .offset:         112
        .size:           8
        .value_kind:     hidden_global_offset_x
      - .offset:         120
        .size:           8
        .value_kind:     hidden_global_offset_y
      - .offset:         128
        .size:           8
        .value_kind:     hidden_global_offset_z
      - .offset:         136
        .size:           2
        .value_kind:     hidden_grid_dims
    .group_segment_fixed_size: 0
    .kernarg_segment_align: 8
    .kernarg_segment_size: 328
    .language:       OpenCL C
    .language_version:
      - 2
      - 0
    .max_flat_workgroup_size: 1024
    .name:           _ZN9rocsolver6v33100L8copy_matI19rocblas_complex_numIfEPS3_S4_NS0_7no_maskEEEviiT0_iilT1_iilT2_13rocblas_fill_17rocblas_diagonal_
    .private_segment_fixed_size: 0
    .sgpr_count:     24
    .sgpr_spill_count: 0
    .symbol:         _ZN9rocsolver6v33100L8copy_matI19rocblas_complex_numIfEPS3_S4_NS0_7no_maskEEEviiT0_iilT1_iilT2_13rocblas_fill_17rocblas_diagonal_.kd
    .uniform_work_group_size: 1
    .uses_dynamic_stack: false
    .vgpr_count:     6
    .vgpr_spill_count: 0
    .wavefront_size: 64
  - .agpr_count:     0
    .args:
      - .offset:         0
        .size:           4
        .value_kind:     by_value
      - .offset:         4
        .size:           4
        .value_kind:     by_value
      - .address_space:  global
        .offset:         8
        .size:           8
        .value_kind:     global_buffer
      - .offset:         16
        .size:           8
        .value_kind:     by_value
      - .offset:         24
        .size:           4
        .value_kind:     by_value
      - .offset:         32
        .size:           8
        .value_kind:     by_value
      - .address_space:  global
        .offset:         40
        .size:           8
        .value_kind:     global_buffer
      - .offset:         48
        .size:           8
        .value_kind:     by_value
      - .address_space:  global
        .offset:         56
        .size:           8
        .value_kind:     global_buffer
      - .offset:         64
        .size:           8
        .value_kind:     by_value
    .group_segment_fixed_size: 0
    .kernarg_segment_align: 8
    .kernarg_segment_size: 72
    .language:       OpenCL C
    .language_version:
      - 2
      - 0
    .max_flat_workgroup_size: 256
    .name:           _ZN9rocsolver6v33100L18geqr2_kernel_smallILi256E19rocblas_complex_numIfEifPS3_EEvT1_S5_T3_lS5_lPT2_lPT0_l
    .private_segment_fixed_size: 0
    .sgpr_count:     53
    .sgpr_spill_count: 0
    .symbol:         _ZN9rocsolver6v33100L18geqr2_kernel_smallILi256E19rocblas_complex_numIfEifPS3_EEvT1_S5_T3_lS5_lPT2_lPT0_l.kd
    .uniform_work_group_size: 1
    .uses_dynamic_stack: false
    .vgpr_count:     32
    .vgpr_spill_count: 0
    .wavefront_size: 64
  - .agpr_count:     0
    .args:
      - .address_space:  global
        .offset:         0
        .size:           8
        .value_kind:     global_buffer
      - .offset:         8
        .size:           8
        .value_kind:     by_value
      - .offset:         16
        .size:           8
        .value_kind:     by_value
      - .address_space:  global
        .offset:         24
        .size:           8
        .value_kind:     global_buffer
      - .offset:         32
        .size:           8
        .value_kind:     by_value
      - .offset:         40
        .size:           4
        .value_kind:     by_value
      - .offset:         48
        .size:           8
        .value_kind:     by_value
      - .offset:         56
        .size:           4
        .value_kind:     by_value
      - .offset:         64
        .size:           4
        .value_kind:     hidden_block_count_x
      - .offset:         68
        .size:           4
        .value_kind:     hidden_block_count_y
      - .offset:         72
        .size:           4
        .value_kind:     hidden_block_count_z
      - .offset:         76
        .size:           2
        .value_kind:     hidden_group_size_x
      - .offset:         78
        .size:           2
        .value_kind:     hidden_group_size_y
      - .offset:         80
        .size:           2
        .value_kind:     hidden_group_size_z
      - .offset:         82
        .size:           2
        .value_kind:     hidden_remainder_x
      - .offset:         84
        .size:           2
        .value_kind:     hidden_remainder_y
      - .offset:         86
        .size:           2
        .value_kind:     hidden_remainder_z
      - .offset:         104
        .size:           8
        .value_kind:     hidden_global_offset_x
      - .offset:         112
        .size:           8
        .value_kind:     hidden_global_offset_y
      - .offset:         120
        .size:           8
        .value_kind:     hidden_global_offset_z
      - .offset:         128
        .size:           2
        .value_kind:     hidden_grid_dims
    .group_segment_fixed_size: 0
    .kernarg_segment_align: 8
    .kernarg_segment_size: 320
    .language:       OpenCL C
    .language_version:
      - 2
      - 0
    .max_flat_workgroup_size: 1024
    .name:           _ZN9rocsolver6v33100L12restore_diagI19rocblas_complex_numIfEifPS3_EEvPT1_llT2_lT0_lS8_
    .private_segment_fixed_size: 0
    .sgpr_count:     20
    .sgpr_spill_count: 0
    .symbol:         _ZN9rocsolver6v33100L12restore_diagI19rocblas_complex_numIfEifPS3_EEvPT1_llT2_lT0_lS8_.kd
    .uniform_work_group_size: 1
    .uses_dynamic_stack: false
    .vgpr_count:     4
    .vgpr_spill_count: 0
    .wavefront_size: 64
  - .agpr_count:     0
    .args:
      - .offset:         0
        .size:           4
        .value_kind:     by_value
      - .address_space:  global
        .offset:         8
        .size:           8
        .value_kind:     global_buffer
      - .offset:         16
        .size:           8
        .value_kind:     by_value
      - .address_space:  global
        .offset:         24
        .size:           8
        .value_kind:     global_buffer
      - .offset:         32
        .size:           4
        .value_kind:     by_value
      - .offset:         40
        .size:           8
        .value_kind:     by_value
      - .address_space:  global
        .offset:         48
        .size:           8
        .value_kind:     global_buffer
      - .offset:         56
        .size:           4
        .value_kind:     by_value
      - .offset:         64
        .size:           8
        .value_kind:     by_value
      - .offset:         72
        .size:           4
        .value_kind:     by_value
      - .offset:         80
        .size:           4
        .value_kind:     hidden_block_count_x
      - .offset:         84
        .size:           4
        .value_kind:     hidden_block_count_y
      - .offset:         88
        .size:           4
        .value_kind:     hidden_block_count_z
      - .offset:         92
        .size:           2
        .value_kind:     hidden_group_size_x
      - .offset:         94
        .size:           2
        .value_kind:     hidden_group_size_y
      - .offset:         96
        .size:           2
        .value_kind:     hidden_group_size_z
      - .offset:         98
        .size:           2
        .value_kind:     hidden_remainder_x
      - .offset:         100
        .size:           2
        .value_kind:     hidden_remainder_y
      - .offset:         102
        .size:           2
        .value_kind:     hidden_remainder_z
      - .offset:         120
        .size:           8
        .value_kind:     hidden_global_offset_x
      - .offset:         128
        .size:           8
        .value_kind:     hidden_global_offset_y
      - .offset:         136
        .size:           8
        .value_kind:     hidden_global_offset_z
      - .offset:         144
        .size:           2
        .value_kind:     hidden_grid_dims
    .group_segment_fixed_size: 0
    .kernarg_segment_align: 8
    .kernarg_segment_size: 336
    .language:       OpenCL C
    .language_version:
      - 2
      - 0
    .max_flat_workgroup_size: 1024
    .name:           _ZN9rocsolver6v33100L16gesdd_flip_signsI19rocblas_complex_numIfEfEEviPT0_lPT_ilS7_ili
    .private_segment_fixed_size: 0
    .sgpr_count:     47
    .sgpr_spill_count: 0
    .symbol:         _ZN9rocsolver6v33100L16gesdd_flip_signsI19rocblas_complex_numIfEfEEviPT0_lPT_ilS7_ili.kd
    .uniform_work_group_size: 1
    .uses_dynamic_stack: false
    .vgpr_count:     10
    .vgpr_spill_count: 0
    .wavefront_size: 64
  - .agpr_count:     0
    .args:
      - .offset:         0
        .size:           4
        .value_kind:     by_value
      - .offset:         4
        .size:           4
        .value_kind:     by_value
      - .offset:         8
        .size:           4
        .value_kind:     by_value
      - .address_space:  global
        .offset:         16
        .size:           8
        .value_kind:     global_buffer
      - .offset:         24
        .size:           4
        .value_kind:     by_value
      - .offset:         28
        .size:           4
        .value_kind:     by_value
      - .offset:         32
        .size:           8
        .value_kind:     by_value
      - .offset:         40
        .size:           4
        .value_kind:     hidden_block_count_x
      - .offset:         44
        .size:           4
        .value_kind:     hidden_block_count_y
      - .offset:         48
        .size:           4
        .value_kind:     hidden_block_count_z
      - .offset:         52
        .size:           2
        .value_kind:     hidden_group_size_x
      - .offset:         54
        .size:           2
        .value_kind:     hidden_group_size_y
      - .offset:         56
        .size:           2
        .value_kind:     hidden_group_size_z
      - .offset:         58
        .size:           2
        .value_kind:     hidden_remainder_x
      - .offset:         60
        .size:           2
        .value_kind:     hidden_remainder_y
      - .offset:         62
        .size:           2
        .value_kind:     hidden_remainder_z
      - .offset:         80
        .size:           8
        .value_kind:     hidden_global_offset_x
      - .offset:         88
        .size:           8
        .value_kind:     hidden_global_offset_y
      - .offset:         96
        .size:           8
        .value_kind:     hidden_global_offset_z
      - .offset:         104
        .size:           2
        .value_kind:     hidden_grid_dims
    .group_segment_fixed_size: 0
    .kernarg_segment_align: 8
    .kernarg_segment_size: 296
    .language:       OpenCL C
    .language_version:
      - 2
      - 0
    .max_flat_workgroup_size: 1024
    .name:           _ZN9rocsolver6v33100L16org2r_init_identI19rocblas_complex_numIfEPS3_EEviiiT0_iil
    .private_segment_fixed_size: 0
    .sgpr_count:     20
    .sgpr_spill_count: 0
    .symbol:         _ZN9rocsolver6v33100L16org2r_init_identI19rocblas_complex_numIfEPS3_EEviiiT0_iil.kd
    .uniform_work_group_size: 1
    .uses_dynamic_stack: false
    .vgpr_count:     6
    .vgpr_spill_count: 0
    .wavefront_size: 64
  - .agpr_count:     0
    .args:
      - .offset:         0
        .size:           4
        .value_kind:     by_value
      - .offset:         4
        .size:           4
        .value_kind:     by_value
      - .address_space:  global
        .offset:         8
        .size:           8
        .value_kind:     global_buffer
      - .offset:         16
        .size:           4
        .value_kind:     by_value
      - .offset:         20
        .size:           4
        .value_kind:     by_value
      - .offset:         24
        .size:           8
        .value_kind:     by_value
      - .address_space:  global
        .offset:         32
        .size:           8
        .value_kind:     global_buffer
      - .offset:         40
        .size:           8
        .value_kind:     by_value
    .group_segment_fixed_size: 0
    .kernarg_segment_align: 8
    .kernarg_segment_size: 48
    .language:       OpenCL C
    .language_version:
      - 2
      - 0
    .max_flat_workgroup_size: 1024
    .name:           _ZN9rocsolver6v33100L12subtract_tauI19rocblas_complex_numIfEPS3_EEviiT0_iilPT_l
    .private_segment_fixed_size: 0
    .sgpr_count:     20
    .sgpr_spill_count: 0
    .symbol:         _ZN9rocsolver6v33100L12subtract_tauI19rocblas_complex_numIfEPS3_EEviiT0_iilPT_l.kd
    .uniform_work_group_size: 1
    .uses_dynamic_stack: false
    .vgpr_count:     3
    .vgpr_spill_count: 0
    .wavefront_size: 64
  - .agpr_count:     0
    .args:
      - .offset:         0
        .size:           4
        .value_kind:     by_value
      - .address_space:  global
        .offset:         8
        .size:           8
        .value_kind:     global_buffer
      - .offset:         16
        .size:           8
        .value_kind:     by_value
      - .offset:         24
        .size:           4
        .value_kind:     hidden_block_count_x
      - .offset:         28
        .size:           4
        .value_kind:     hidden_block_count_y
      - .offset:         32
        .size:           4
        .value_kind:     hidden_block_count_z
      - .offset:         36
        .size:           2
        .value_kind:     hidden_group_size_x
      - .offset:         38
        .size:           2
        .value_kind:     hidden_group_size_y
      - .offset:         40
        .size:           2
        .value_kind:     hidden_group_size_z
      - .offset:         42
        .size:           2
        .value_kind:     hidden_remainder_x
      - .offset:         44
        .size:           2
        .value_kind:     hidden_remainder_y
      - .offset:         46
        .size:           2
        .value_kind:     hidden_remainder_z
      - .offset:         64
        .size:           8
        .value_kind:     hidden_global_offset_x
      - .offset:         72
        .size:           8
        .value_kind:     hidden_global_offset_y
      - .offset:         80
        .size:           8
        .value_kind:     hidden_global_offset_z
      - .offset:         88
        .size:           2
        .value_kind:     hidden_grid_dims
    .group_segment_fixed_size: 0
    .kernarg_segment_align: 8
    .kernarg_segment_size: 280
    .language:       OpenCL C
    .language_version:
      - 2
      - 0
    .max_flat_workgroup_size: 1024
    .name:           _ZN9rocsolver6v33100L6restauI19rocblas_complex_numIfEEEviPT_l
    .private_segment_fixed_size: 0
    .sgpr_count:     12
    .sgpr_spill_count: 0
    .symbol:         _ZN9rocsolver6v33100L6restauI19rocblas_complex_numIfEEEviPT_l.kd
    .uniform_work_group_size: 1
    .uses_dynamic_stack: false
    .vgpr_count:     4
    .vgpr_spill_count: 0
    .wavefront_size: 64
  - .agpr_count:     0
    .args:
      - .offset:         0
        .size:           4
        .value_kind:     by_value
      - .offset:         4
        .size:           4
        .value_kind:     by_value
      - .offset:         8
        .size:           4
        .value_kind:     by_value
      - .address_space:  global
        .offset:         16
        .size:           8
        .value_kind:     global_buffer
      - .offset:         24
        .size:           4
        .value_kind:     by_value
      - .offset:         28
        .size:           4
        .value_kind:     by_value
      - .offset:         32
        .size:           8
        .value_kind:     by_value
      - .address_space:  global
        .offset:         40
        .size:           8
        .value_kind:     global_buffer
      - .offset:         48
        .size:           4
        .value_kind:     by_value
      - .offset:         52
        .size:           4
        .value_kind:     by_value
      - .offset:         56
        .size:           8
        .value_kind:     by_value
      - .offset:         64
        .size:           1
        .value_kind:     by_value
      - .offset:         68
        .size:           4
        .value_kind:     by_value
      - .offset:         72
        .size:           4
        .value_kind:     by_value
      - .offset:         80
        .size:           4
        .value_kind:     hidden_block_count_x
      - .offset:         84
        .size:           4
        .value_kind:     hidden_block_count_y
      - .offset:         88
        .size:           4
        .value_kind:     hidden_block_count_z
      - .offset:         92
        .size:           2
        .value_kind:     hidden_group_size_x
      - .offset:         94
        .size:           2
        .value_kind:     hidden_group_size_y
      - .offset:         96
        .size:           2
        .value_kind:     hidden_group_size_z
      - .offset:         98
        .size:           2
        .value_kind:     hidden_remainder_x
      - .offset:         100
        .size:           2
        .value_kind:     hidden_remainder_y
      - .offset:         102
        .size:           2
        .value_kind:     hidden_remainder_z
      - .offset:         120
        .size:           8
        .value_kind:     hidden_global_offset_x
      - .offset:         128
        .size:           8
        .value_kind:     hidden_global_offset_y
      - .offset:         136
        .size:           8
        .value_kind:     hidden_global_offset_z
      - .offset:         144
        .size:           2
        .value_kind:     hidden_grid_dims
    .group_segment_fixed_size: 0
    .kernarg_segment_align: 8
    .kernarg_segment_size: 336
    .language:       OpenCL C
    .language_version:
      - 2
      - 0
    .max_flat_workgroup_size: 1024
    .name:           _ZN9rocsolver6v33100L14copy_trans_matI19rocblas_complex_numIfES3_PS3_S4_NS0_7no_maskEEEv18rocblas_operation_iiT1_iilT2_iilT3_13rocblas_fill_17rocblas_diagonal_
    .private_segment_fixed_size: 0
    .sgpr_count:     28
    .sgpr_spill_count: 0
    .symbol:         _ZN9rocsolver6v33100L14copy_trans_matI19rocblas_complex_numIfES3_PS3_S4_NS0_7no_maskEEEv18rocblas_operation_iiT1_iilT2_iilT3_13rocblas_fill_17rocblas_diagonal_.kd
    .uniform_work_group_size: 1
    .uses_dynamic_stack: false
    .vgpr_count:     10
    .vgpr_spill_count: 0
    .wavefront_size: 64
  - .agpr_count:     0
    .args:
      - .offset:         0
        .size:           4
        .value_kind:     by_value
      - .offset:         4
        .size:           4
        .value_kind:     by_value
      - .offset:         8
        .size:           4
        .value_kind:     by_value
      - .address_space:  global
        .offset:         16
        .size:           8
        .value_kind:     global_buffer
      - .offset:         24
        .size:           4
        .value_kind:     by_value
      - .offset:         28
        .size:           4
        .value_kind:     by_value
      - .offset:         32
        .size:           8
        .value_kind:     by_value
      - .offset:         40
        .size:           4
        .value_kind:     hidden_block_count_x
      - .offset:         44
        .size:           4
        .value_kind:     hidden_block_count_y
      - .offset:         48
        .size:           4
        .value_kind:     hidden_block_count_z
      - .offset:         52
        .size:           2
        .value_kind:     hidden_group_size_x
      - .offset:         54
        .size:           2
        .value_kind:     hidden_group_size_y
      - .offset:         56
        .size:           2
        .value_kind:     hidden_group_size_z
      - .offset:         58
        .size:           2
        .value_kind:     hidden_remainder_x
      - .offset:         60
        .size:           2
        .value_kind:     hidden_remainder_y
      - .offset:         62
        .size:           2
        .value_kind:     hidden_remainder_z
      - .offset:         80
        .size:           8
        .value_kind:     hidden_global_offset_x
      - .offset:         88
        .size:           8
        .value_kind:     hidden_global_offset_y
      - .offset:         96
        .size:           8
        .value_kind:     hidden_global_offset_z
      - .offset:         104
        .size:           2
        .value_kind:     hidden_grid_dims
    .group_segment_fixed_size: 0
    .kernarg_segment_align: 8
    .kernarg_segment_size: 296
    .language:       OpenCL C
    .language_version:
      - 2
      - 0
    .max_flat_workgroup_size: 1024
    .name:           _ZN9rocsolver6v33100L16orgl2_init_identI19rocblas_complex_numIfEPS3_EEviiiT0_iil
    .private_segment_fixed_size: 0
    .sgpr_count:     20
    .sgpr_spill_count: 0
    .symbol:         _ZN9rocsolver6v33100L16orgl2_init_identI19rocblas_complex_numIfEPS3_EEviiiT0_iil.kd
    .uniform_work_group_size: 1
    .uses_dynamic_stack: false
    .vgpr_count:     6
    .vgpr_spill_count: 0
    .wavefront_size: 64
  - .agpr_count:     0
    .args:
      - .address_space:  global
        .offset:         0
        .size:           8
        .value_kind:     global_buffer
      - .offset:         8
        .size:           4
        .value_kind:     by_value
      - .offset:         16
        .size:           16
        .value_kind:     by_value
    .group_segment_fixed_size: 0
    .kernarg_segment_align: 8
    .kernarg_segment_size: 32
    .language:       OpenCL C
    .language_version:
      - 2
      - 0
    .max_flat_workgroup_size: 32
    .name:           _ZN9rocsolver6v33100L6iota_nI19rocblas_complex_numIdEEEvPT_jS4_
    .private_segment_fixed_size: 0
    .sgpr_count:     12
    .sgpr_spill_count: 0
    .symbol:         _ZN9rocsolver6v33100L6iota_nI19rocblas_complex_numIdEEEvPT_jS4_.kd
    .uniform_work_group_size: 1
    .uses_dynamic_stack: false
    .vgpr_count:     5
    .vgpr_spill_count: 0
    .wavefront_size: 64
  - .agpr_count:     0
    .args:
      - .offset:         0
        .size:           4
        .value_kind:     by_value
      - .address_space:  global
        .offset:         8
        .size:           8
        .value_kind:     global_buffer
      - .offset:         16
        .size:           8
        .value_kind:     by_value
      - .address_space:  global
        .offset:         24
        .size:           8
        .value_kind:     global_buffer
      - .offset:         32
        .size:           8
        .value_kind:     by_value
      - .offset:         40
        .size:           4
        .value_kind:     by_value
      - .offset:         48
        .size:           4
        .value_kind:     hidden_block_count_x
      - .offset:         52
        .size:           4
        .value_kind:     hidden_block_count_y
      - .offset:         56
        .size:           4
        .value_kind:     hidden_block_count_z
      - .offset:         60
        .size:           2
        .value_kind:     hidden_group_size_x
      - .offset:         62
        .size:           2
        .value_kind:     hidden_group_size_y
      - .offset:         64
        .size:           2
        .value_kind:     hidden_group_size_z
      - .offset:         66
        .size:           2
        .value_kind:     hidden_remainder_x
      - .offset:         68
        .size:           2
        .value_kind:     hidden_remainder_y
      - .offset:         70
        .size:           2
        .value_kind:     hidden_remainder_z
      - .offset:         88
        .size:           8
        .value_kind:     hidden_global_offset_x
      - .offset:         96
        .size:           8
        .value_kind:     hidden_global_offset_y
      - .offset:         104
        .size:           8
        .value_kind:     hidden_global_offset_z
      - .offset:         112
        .size:           2
        .value_kind:     hidden_grid_dims
    .group_segment_fixed_size: 0
    .kernarg_segment_align: 8
    .kernarg_segment_size: 304
    .language:       OpenCL C
    .language_version:
      - 2
      - 0
    .max_flat_workgroup_size: 1024
    .name:           _ZN9rocsolver6v33100L16syev_scalar_caseI19rocblas_complex_numIdEdPS3_TnNSt9enable_ifIX18rocblas_is_complexIT_EEiE4typeELi0EEEv14rocblas_evect_T1_lPT0_li
    .private_segment_fixed_size: 0
    .sgpr_count:     20
    .sgpr_spill_count: 0
    .symbol:         _ZN9rocsolver6v33100L16syev_scalar_caseI19rocblas_complex_numIdEdPS3_TnNSt9enable_ifIX18rocblas_is_complexIT_EEiE4typeELi0EEEv14rocblas_evect_T1_lPT0_li.kd
    .uniform_work_group_size: 1
    .uses_dynamic_stack: false
    .vgpr_count:     8
    .vgpr_spill_count: 0
    .wavefront_size: 64
  - .agpr_count:     0
    .args:
      - .offset:         0
        .size:           4
        .value_kind:     by_value
      - .address_space:  global
        .offset:         8
        .size:           8
        .value_kind:     global_buffer
      - .offset:         16
        .size:           8
        .value_kind:     by_value
      - .offset:         24
        .size:           4
        .value_kind:     by_value
      - .offset:         32
        .size:           8
        .value_kind:     by_value
      - .address_space:  global
        .offset:         40
        .size:           8
        .value_kind:     global_buffer
      - .offset:         48
        .size:           8
        .value_kind:     by_value
      - .address_space:  global
        .offset:         56
        .size:           8
        .value_kind:     global_buffer
      - .offset:         64
        .size:           8
        .value_kind:     by_value
      - .address_space:  global
        .offset:         72
        .size:           8
        .value_kind:     global_buffer
      - .offset:         80
        .size:           8
        .value_kind:     by_value
    .group_segment_fixed_size: 0
    .kernarg_segment_align: 8
    .kernarg_segment_size: 88
    .language:       OpenCL C
    .language_version:
      - 2
      - 0
    .max_flat_workgroup_size: 256
    .name:           _ZN9rocsolver6v33100L24sytd2_lower_kernel_smallILi256E19rocblas_complex_numIdEidPS3_EEvT1_T3_lS5_lPT2_lS8_lPT0_l
    .private_segment_fixed_size: 0
    .sgpr_count:     55
    .sgpr_spill_count: 0
    .symbol:         _ZN9rocsolver6v33100L24sytd2_lower_kernel_smallILi256E19rocblas_complex_numIdEidPS3_EEvT1_T3_lS5_lPT2_lS8_lPT0_l.kd
    .uniform_work_group_size: 1
    .uses_dynamic_stack: false
    .vgpr_count:     48
    .vgpr_spill_count: 0
    .wavefront_size: 64
  - .agpr_count:     0
    .args:
      - .address_space:  global
        .offset:         0
        .size:           8
        .value_kind:     global_buffer
      - .offset:         8
        .size:           8
        .value_kind:     by_value
      - .offset:         16
        .size:           4
        .value_kind:     by_value
      - .offset:         20
        .size:           4
        .value_kind:     by_value
      - .offset:         24
        .size:           4
        .value_kind:     hidden_block_count_x
      - .offset:         28
        .size:           4
        .value_kind:     hidden_block_count_y
      - .offset:         32
        .size:           4
        .value_kind:     hidden_block_count_z
      - .offset:         36
        .size:           2
        .value_kind:     hidden_group_size_x
      - .offset:         38
        .size:           2
        .value_kind:     hidden_group_size_y
      - .offset:         40
        .size:           2
        .value_kind:     hidden_group_size_z
      - .offset:         42
        .size:           2
        .value_kind:     hidden_remainder_x
      - .offset:         44
        .size:           2
        .value_kind:     hidden_remainder_y
      - .offset:         46
        .size:           2
        .value_kind:     hidden_remainder_z
      - .offset:         64
        .size:           8
        .value_kind:     hidden_global_offset_x
      - .offset:         72
        .size:           8
        .value_kind:     hidden_global_offset_y
      - .offset:         80
        .size:           8
        .value_kind:     hidden_global_offset_z
      - .offset:         88
        .size:           2
        .value_kind:     hidden_grid_dims
    .group_segment_fixed_size: 0
    .kernarg_segment_align: 8
    .kernarg_segment_size: 280
    .language:       OpenCL C
    .language_version:
      - 2
      - 0
    .max_flat_workgroup_size: 1024
    .name:           _ZN9rocsolver6v33100L16reset_batch_infoI19rocblas_complex_numIdEiiPS3_EEvT2_lT0_T1_
    .private_segment_fixed_size: 0
    .sgpr_count:     16
    .sgpr_spill_count: 0
    .symbol:         _ZN9rocsolver6v33100L16reset_batch_infoI19rocblas_complex_numIdEiiPS3_EEvT2_lT0_T1_.kd
    .uniform_work_group_size: 1
    .uses_dynamic_stack: false
    .vgpr_count:     6
    .vgpr_spill_count: 0
    .wavefront_size: 64
  - .agpr_count:     0
    .args:
      - .address_space:  global
        .offset:         0
        .size:           8
        .value_kind:     global_buffer
      - .offset:         8
        .size:           8
        .value_kind:     by_value
      - .offset:         16
        .size:           8
        .value_kind:     by_value
      - .address_space:  global
        .offset:         24
        .size:           8
        .value_kind:     global_buffer
      - .offset:         32
        .size:           8
        .value_kind:     by_value
      - .offset:         40
        .size:           4
        .value_kind:     by_value
      - .offset:         48
        .size:           8
        .value_kind:     by_value
      - .offset:         56
        .size:           4
        .value_kind:     by_value
      - .offset:         60
        .size:           1
        .value_kind:     by_value
      - .offset:         64
        .size:           4
        .value_kind:     hidden_block_count_x
      - .offset:         68
        .size:           4
        .value_kind:     hidden_block_count_y
      - .offset:         72
        .size:           4
        .value_kind:     hidden_block_count_z
      - .offset:         76
        .size:           2
        .value_kind:     hidden_group_size_x
      - .offset:         78
        .size:           2
        .value_kind:     hidden_group_size_y
      - .offset:         80
        .size:           2
        .value_kind:     hidden_group_size_z
      - .offset:         82
        .size:           2
        .value_kind:     hidden_remainder_x
      - .offset:         84
        .size:           2
        .value_kind:     hidden_remainder_y
      - .offset:         86
        .size:           2
        .value_kind:     hidden_remainder_z
      - .offset:         104
        .size:           8
        .value_kind:     hidden_global_offset_x
      - .offset:         112
        .size:           8
        .value_kind:     hidden_global_offset_y
      - .offset:         120
        .size:           8
        .value_kind:     hidden_global_offset_z
      - .offset:         128
        .size:           2
        .value_kind:     hidden_grid_dims
    .group_segment_fixed_size: 0
    .kernarg_segment_align: 8
    .kernarg_segment_size: 320
    .language:       OpenCL C
    .language_version:
      - 2
      - 0
    .max_flat_workgroup_size: 1024
    .name:           _ZN9rocsolver6v33100L8set_diagI19rocblas_complex_numIdEidPS3_TnNSt9enable_ifIXaa18rocblas_is_complexIT_Ent18rocblas_is_complexIT1_EEiE4typeELi0EEEvPS7_llT2_lT0_lSC_b
    .private_segment_fixed_size: 0
    .sgpr_count:     23
    .sgpr_spill_count: 0
    .symbol:         _ZN9rocsolver6v33100L8set_diagI19rocblas_complex_numIdEidPS3_TnNSt9enable_ifIXaa18rocblas_is_complexIT_Ent18rocblas_is_complexIT1_EEiE4typeELi0EEEvPS7_llT2_lT0_lSC_b.kd
    .uniform_work_group_size: 1
    .uses_dynamic_stack: false
    .vgpr_count:     7
    .vgpr_spill_count: 0
    .wavefront_size: 64
  - .agpr_count:     0
    .args:
      - .address_space:  global
        .offset:         0
        .size:           8
        .value_kind:     global_buffer
      - .offset:         8
        .size:           8
        .value_kind:     by_value
      - .address_space:  global
        .offset:         16
        .size:           8
        .value_kind:     global_buffer
      - .address_space:  global
        .offset:         24
        .size:           8
        .value_kind:     global_buffer
      - .offset:         32
        .size:           8
        .value_kind:     by_value
      - .offset:         40
        .size:           8
        .value_kind:     by_value
      - .address_space:  global
        .offset:         48
        .size:           8
        .value_kind:     global_buffer
      - .offset:         56
        .size:           8
        .value_kind:     by_value
      - .offset:         64
        .size:           8
        .value_kind:     by_value
    .group_segment_fixed_size: 0
    .kernarg_segment_align: 8
    .kernarg_segment_size: 72
    .language:       OpenCL C
    .language_version:
      - 2
      - 0
    .max_flat_workgroup_size: 1024
    .name:           _ZN9rocsolver6v33100L11set_taubetaI19rocblas_complex_numIdEidPS3_EEvPT_lS6_T2_llPT1_ll
    .private_segment_fixed_size: 0
    .sgpr_count:     30
    .sgpr_spill_count: 0
    .symbol:         _ZN9rocsolver6v33100L11set_taubetaI19rocblas_complex_numIdEidPS3_EEvPT_lS6_T2_llPT1_ll.kd
    .uniform_work_group_size: 1
    .uses_dynamic_stack: false
    .vgpr_count:     16
    .vgpr_spill_count: 0
    .wavefront_size: 64
  - .agpr_count:     0
    .args:
      - .offset:         0
        .size:           4
        .value_kind:     by_value
      - .address_space:  global
        .offset:         8
        .size:           8
        .value_kind:     global_buffer
      - .offset:         16
        .size:           8
        .value_kind:     by_value
      - .offset:         24
        .size:           8
        .value_kind:     by_value
      - .address_space:  global
        .offset:         32
        .size:           8
        .value_kind:     global_buffer
      - .offset:         40
        .size:           8
        .value_kind:     by_value
      - .offset:         48
        .size:           8
        .value_kind:     by_value
      - .address_space:  global
        .offset:         56
        .size:           8
        .value_kind:     global_buffer
      - .offset:         64
        .size:           8
        .value_kind:     by_value
    .group_segment_fixed_size: 2064
    .kernarg_segment_align: 8
    .kernarg_segment_size: 72
    .language:       OpenCL C
    .language_version:
      - 2
      - 0
    .max_flat_workgroup_size: 64
    .name:           _ZN9rocsolver6v33100L20latrd_dot_scale_axpyILi64E19rocblas_complex_numIdEiPS3_EEvT1_T2_llPT0_llS8_l
    .private_segment_fixed_size: 0
    .sgpr_count:     38
    .sgpr_spill_count: 0
    .symbol:         _ZN9rocsolver6v33100L20latrd_dot_scale_axpyILi64E19rocblas_complex_numIdEiPS3_EEvT1_T2_llPT0_llS8_l.kd
    .uniform_work_group_size: 1
    .uses_dynamic_stack: false
    .vgpr_count:     22
    .vgpr_spill_count: 0
    .wavefront_size: 64
  - .agpr_count:     0
    .args:
      - .offset:         0
        .size:           4
        .value_kind:     by_value
      - .address_space:  global
        .offset:         8
        .size:           8
        .value_kind:     global_buffer
      - .address_space:  global
        .offset:         16
        .size:           8
        .value_kind:     global_buffer
      - .offset:         24
        .size:           8
        .value_kind:     by_value
      - .offset:         32
        .size:           4
        .value_kind:     hidden_block_count_x
      - .offset:         36
        .size:           4
        .value_kind:     hidden_block_count_y
      - .offset:         40
        .size:           4
        .value_kind:     hidden_block_count_z
      - .offset:         44
        .size:           2
        .value_kind:     hidden_group_size_x
      - .offset:         46
        .size:           2
        .value_kind:     hidden_group_size_y
      - .offset:         48
        .size:           2
        .value_kind:     hidden_group_size_z
      - .offset:         50
        .size:           2
        .value_kind:     hidden_remainder_x
      - .offset:         52
        .size:           2
        .value_kind:     hidden_remainder_y
      - .offset:         54
        .size:           2
        .value_kind:     hidden_remainder_z
      - .offset:         72
        .size:           8
        .value_kind:     hidden_global_offset_x
      - .offset:         80
        .size:           8
        .value_kind:     hidden_global_offset_y
      - .offset:         88
        .size:           8
        .value_kind:     hidden_global_offset_z
      - .offset:         96
        .size:           2
        .value_kind:     hidden_grid_dims
    .group_segment_fixed_size: 0
    .kernarg_segment_align: 8
    .kernarg_segment_size: 288
    .language:       OpenCL C
    .language_version:
      - 2
      - 0
    .max_flat_workgroup_size: 1024
    .name:           _ZN9rocsolver6v33100L7set_tauI19rocblas_complex_numIdEEEviPT_S5_l
    .private_segment_fixed_size: 0
    .sgpr_count:     12
    .sgpr_spill_count: 0
    .symbol:         _ZN9rocsolver6v33100L7set_tauI19rocblas_complex_numIdEEEviPT_S5_l.kd
    .uniform_work_group_size: 1
    .uses_dynamic_stack: false
    .vgpr_count:     8
    .vgpr_spill_count: 0
    .wavefront_size: 64
  - .agpr_count:     0
    .args:
      - .offset:         0
        .size:           4
        .value_kind:     by_value
      - .address_space:  global
        .offset:         8
        .size:           8
        .value_kind:     global_buffer
      - .offset:         16
        .size:           8
        .value_kind:     by_value
      - .offset:         24
        .size:           4
        .value_kind:     by_value
      - .offset:         32
        .size:           8
        .value_kind:     by_value
      - .address_space:  global
        .offset:         40
        .size:           8
        .value_kind:     global_buffer
      - .offset:         48
        .size:           8
        .value_kind:     by_value
      - .address_space:  global
        .offset:         56
        .size:           8
        .value_kind:     global_buffer
      - .offset:         64
        .size:           8
        .value_kind:     by_value
      - .address_space:  global
        .offset:         72
        .size:           8
        .value_kind:     global_buffer
      - .offset:         80
        .size:           8
        .value_kind:     by_value
    .group_segment_fixed_size: 0
    .kernarg_segment_align: 8
    .kernarg_segment_size: 88
    .language:       OpenCL C
    .language_version:
      - 2
      - 0
    .max_flat_workgroup_size: 256
    .name:           _ZN9rocsolver6v33100L24sytd2_upper_kernel_smallILi256E19rocblas_complex_numIdEidPS3_EEvT1_T3_lS5_lPT2_lS8_lPT0_l
    .private_segment_fixed_size: 0
    .sgpr_count:     55
    .sgpr_spill_count: 0
    .symbol:         _ZN9rocsolver6v33100L24sytd2_upper_kernel_smallILi256E19rocblas_complex_numIdEidPS3_EEvT1_T3_lS5_lPT2_lS8_lPT0_l.kd
    .uniform_work_group_size: 1
    .uses_dynamic_stack: false
    .vgpr_count:     48
    .vgpr_spill_count: 0
    .wavefront_size: 64
  - .agpr_count:     0
    .args:
      - .offset:         0
        .size:           4
        .value_kind:     by_value
      - .offset:         4
        .size:           4
        .value_kind:     by_value
      - .offset:         8
        .size:           4
        .value_kind:     by_value
      - .address_space:  global
        .offset:         16
        .size:           8
        .value_kind:     global_buffer
      - .offset:         24
        .size:           4
        .value_kind:     by_value
      - .offset:         28
        .size:           4
        .value_kind:     by_value
      - .offset:         32
        .size:           8
        .value_kind:     by_value
      - .address_space:  global
        .offset:         40
        .size:           8
        .value_kind:     global_buffer
      - .offset:         48
        .size:           1
        .value_kind:     by_value
      - .offset:         52
        .size:           4
        .value_kind:     by_value
      - .offset:         56
        .size:           4
        .value_kind:     by_value
      - .offset:         64
        .size:           4
        .value_kind:     hidden_block_count_x
      - .offset:         68
        .size:           4
        .value_kind:     hidden_block_count_y
      - .offset:         72
        .size:           4
        .value_kind:     hidden_block_count_z
      - .offset:         76
        .size:           2
        .value_kind:     hidden_group_size_x
      - .offset:         78
        .size:           2
        .value_kind:     hidden_group_size_y
      - .offset:         80
        .size:           2
        .value_kind:     hidden_group_size_z
      - .offset:         82
        .size:           2
        .value_kind:     hidden_remainder_x
      - .offset:         84
        .size:           2
        .value_kind:     hidden_remainder_y
      - .offset:         86
        .size:           2
        .value_kind:     hidden_remainder_z
      - .offset:         104
        .size:           8
        .value_kind:     hidden_global_offset_x
      - .offset:         112
        .size:           8
        .value_kind:     hidden_global_offset_y
      - .offset:         120
        .size:           8
        .value_kind:     hidden_global_offset_z
      - .offset:         128
        .size:           2
        .value_kind:     hidden_grid_dims
    .group_segment_fixed_size: 0
    .kernarg_segment_align: 8
    .kernarg_segment_size: 320
    .language:       OpenCL C
    .language_version:
      - 2
      - 0
    .max_flat_workgroup_size: 1024
    .name:           _ZN9rocsolver6v33100L8copy_matI19rocblas_complex_numIdEPS3_NS0_7no_maskEEEvNS0_17copymat_directionEiiT0_iilPT_T1_13rocblas_fill_17rocblas_diagonal_
    .private_segment_fixed_size: 0
    .sgpr_count:     22
    .sgpr_spill_count: 0
    .symbol:         _ZN9rocsolver6v33100L8copy_matI19rocblas_complex_numIdEPS3_NS0_7no_maskEEEvNS0_17copymat_directionEiiT0_iilPT_T1_13rocblas_fill_17rocblas_diagonal_.kd
    .uniform_work_group_size: 1
    .uses_dynamic_stack: false
    .vgpr_count:     8
    .vgpr_spill_count: 0
    .wavefront_size: 64
  - .agpr_count:     0
    .args:
      - .offset:         0
        .size:           4
        .value_kind:     by_value
      - .offset:         4
        .size:           4
        .value_kind:     by_value
      - .address_space:  global
        .offset:         8
        .size:           8
        .value_kind:     global_buffer
      - .offset:         16
        .size:           4
        .value_kind:     by_value
      - .offset:         20
        .size:           4
        .value_kind:     by_value
      - .offset:         24
        .size:           8
        .value_kind:     by_value
      - .address_space:  global
        .offset:         32
        .size:           8
        .value_kind:     global_buffer
      - .offset:         40
        .size:           4
        .value_kind:     by_value
      - .offset:         44
        .size:           4
        .value_kind:     by_value
      - .offset:         48
        .size:           8
        .value_kind:     by_value
      - .offset:         56
        .size:           4
        .value_kind:     hidden_block_count_x
      - .offset:         60
        .size:           4
        .value_kind:     hidden_block_count_y
      - .offset:         64
        .size:           4
        .value_kind:     hidden_block_count_z
      - .offset:         68
        .size:           2
        .value_kind:     hidden_group_size_x
      - .offset:         70
        .size:           2
        .value_kind:     hidden_group_size_y
      - .offset:         72
        .size:           2
        .value_kind:     hidden_group_size_z
      - .offset:         74
        .size:           2
        .value_kind:     hidden_remainder_x
      - .offset:         76
        .size:           2
        .value_kind:     hidden_remainder_y
      - .offset:         78
        .size:           2
        .value_kind:     hidden_remainder_z
      - .offset:         96
        .size:           8
        .value_kind:     hidden_global_offset_x
      - .offset:         104
        .size:           8
        .value_kind:     hidden_global_offset_y
      - .offset:         112
        .size:           8
        .value_kind:     hidden_global_offset_z
      - .offset:         120
        .size:           2
        .value_kind:     hidden_grid_dims
      - .offset:         176
        .size:           4
        .value_kind:     hidden_dynamic_lds_size
    .group_segment_fixed_size: 0
    .kernarg_segment_align: 8
    .kernarg_segment_size: 312
    .language:       OpenCL C
    .language_version:
      - 2
      - 0
    .max_flat_workgroup_size: 1024
    .name:           _ZN9rocsolver6v33100L26latrd_lower_updateA_kernelI19rocblas_complex_numIdEPS3_EEviiT0_iilPT_iil
    .private_segment_fixed_size: 0
    .sgpr_count:     39
    .sgpr_spill_count: 0
    .symbol:         _ZN9rocsolver6v33100L26latrd_lower_updateA_kernelI19rocblas_complex_numIdEPS3_EEviiT0_iilPT_iil.kd
    .uniform_work_group_size: 1
    .uses_dynamic_stack: false
    .vgpr_count:     40
    .vgpr_spill_count: 0
    .wavefront_size: 64
  - .agpr_count:     0
    .args:
      - .offset:         0
        .size:           4
        .value_kind:     by_value
      - .offset:         4
        .size:           4
        .value_kind:     by_value
      - .address_space:  global
        .offset:         8
        .size:           8
        .value_kind:     global_buffer
      - .offset:         16
        .size:           4
        .value_kind:     by_value
      - .offset:         20
        .size:           4
        .value_kind:     by_value
      - .offset:         24
        .size:           8
        .value_kind:     by_value
      - .address_space:  global
        .offset:         32
        .size:           8
        .value_kind:     global_buffer
      - .offset:         40
        .size:           4
        .value_kind:     by_value
      - .offset:         44
        .size:           4
        .value_kind:     by_value
      - .offset:         48
        .size:           8
        .value_kind:     by_value
      - .address_space:  global
        .offset:         56
        .size:           8
        .value_kind:     global_buffer
      - .offset:         64
        .size:           4
        .value_kind:     by_value
      - .offset:         68
        .size:           4
        .value_kind:     by_value
      - .offset:         72
        .size:           8
        .value_kind:     by_value
      - .address_space:  global
        .offset:         80
        .size:           8
        .value_kind:     global_buffer
      - .offset:         88
        .size:           8
        .value_kind:     by_value
    .group_segment_fixed_size: 4096
    .kernarg_segment_align: 8
    .kernarg_segment_size: 96
    .language:       OpenCL C
    .language_version:
      - 2
      - 0
    .max_flat_workgroup_size: 1024
    .name:           _ZN9rocsolver6v33100L33latrd_lower_computeW_gemvt_kernelILi256E19rocblas_complex_numIdEPS3_EEviiT1_iilPT0_iilS7_iilS7_l
    .private_segment_fixed_size: 0
    .sgpr_count:     36
    .sgpr_spill_count: 0
    .symbol:         _ZN9rocsolver6v33100L33latrd_lower_computeW_gemvt_kernelILi256E19rocblas_complex_numIdEPS3_EEviiT1_iilPT0_iilS7_iilS7_l.kd
    .uniform_work_group_size: 1
    .uses_dynamic_stack: false
    .vgpr_count:     22
    .vgpr_spill_count: 0
    .wavefront_size: 64
  - .agpr_count:     0
    .args:
      - .offset:         0
        .size:           4
        .value_kind:     by_value
      - .offset:         4
        .size:           4
        .value_kind:     by_value
      - .address_space:  global
        .offset:         8
        .size:           8
        .value_kind:     global_buffer
      - .offset:         16
        .size:           4
        .value_kind:     by_value
      - .offset:         20
        .size:           4
        .value_kind:     by_value
      - .offset:         24
        .size:           8
        .value_kind:     by_value
      - .address_space:  global
        .offset:         32
        .size:           8
        .value_kind:     global_buffer
      - .offset:         40
        .size:           4
        .value_kind:     by_value
      - .offset:         44
        .size:           4
        .value_kind:     by_value
      - .offset:         48
        .size:           8
        .value_kind:     by_value
      - .address_space:  global
        .offset:         56
        .size:           8
        .value_kind:     global_buffer
      - .offset:         64
        .size:           8
        .value_kind:     by_value
      - .address_space:  global
        .offset:         72
        .size:           8
        .value_kind:     global_buffer
      - .offset:         80
        .size:           8
        .value_kind:     by_value
      - .offset:         88
        .size:           4
        .value_kind:     hidden_block_count_x
      - .offset:         92
        .size:           4
        .value_kind:     hidden_block_count_y
      - .offset:         96
        .size:           4
        .value_kind:     hidden_block_count_z
      - .offset:         100
        .size:           2
        .value_kind:     hidden_group_size_x
      - .offset:         102
        .size:           2
        .value_kind:     hidden_group_size_y
      - .offset:         104
        .size:           2
        .value_kind:     hidden_group_size_z
      - .offset:         106
        .size:           2
        .value_kind:     hidden_remainder_x
      - .offset:         108
        .size:           2
        .value_kind:     hidden_remainder_y
      - .offset:         110
        .size:           2
        .value_kind:     hidden_remainder_z
      - .offset:         128
        .size:           8
        .value_kind:     hidden_global_offset_x
      - .offset:         136
        .size:           8
        .value_kind:     hidden_global_offset_y
      - .offset:         144
        .size:           8
        .value_kind:     hidden_global_offset_z
      - .offset:         152
        .size:           2
        .value_kind:     hidden_grid_dims
      - .offset:         208
        .size:           4
        .value_kind:     hidden_dynamic_lds_size
    .group_segment_fixed_size: 0
    .kernarg_segment_align: 8
    .kernarg_segment_size: 344
    .language:       OpenCL C
    .language_version:
      - 2
      - 0
    .max_flat_workgroup_size: 1024
    .name:           _ZN9rocsolver6v33100L26latrd_lower_updateW_kernelI19rocblas_complex_numIdEPS3_EEviiT0_iilPT_iilS7_lS7_l
    .private_segment_fixed_size: 0
    .sgpr_count:     45
    .sgpr_spill_count: 0
    .symbol:         _ZN9rocsolver6v33100L26latrd_lower_updateW_kernelI19rocblas_complex_numIdEPS3_EEviiT0_iilPT_iilS7_lS7_l.kd
    .uniform_work_group_size: 1
    .uses_dynamic_stack: false
    .vgpr_count:     40
    .vgpr_spill_count: 0
    .wavefront_size: 64
  - .agpr_count:     0
    .args:
      - .offset:         0
        .size:           4
        .value_kind:     by_value
      - .address_space:  global
        .offset:         8
        .size:           8
        .value_kind:     global_buffer
      - .offset:         16
        .size:           8
        .value_kind:     by_value
      - .offset:         24
        .size:           8
        .value_kind:     by_value
      - .address_space:  global
        .offset:         32
        .size:           8
        .value_kind:     global_buffer
      - .offset:         40
        .size:           8
        .value_kind:     by_value
      - .offset:         48
        .size:           8
        .value_kind:     by_value
      - .address_space:  global
        .offset:         56
        .size:           8
        .value_kind:     global_buffer
      - .offset:         64
        .size:           8
        .value_kind:     by_value
    .group_segment_fixed_size: 33024
    .kernarg_segment_align: 8
    .kernarg_segment_size: 72
    .language:       OpenCL C
    .language_version:
      - 2
      - 0
    .max_flat_workgroup_size: 1024
    .name:           _ZN9rocsolver6v33100L20latrd_dot_scale_axpyILi1024E19rocblas_complex_numIdEiPS3_EEvT1_T2_llPT0_llS8_l
    .private_segment_fixed_size: 0
    .sgpr_count:     29
    .sgpr_spill_count: 0
    .symbol:         _ZN9rocsolver6v33100L20latrd_dot_scale_axpyILi1024E19rocblas_complex_numIdEiPS3_EEvT1_T2_llPT0_llS8_l.kd
    .uniform_work_group_size: 1
    .uses_dynamic_stack: false
    .vgpr_count:     24
    .vgpr_spill_count: 0
    .wavefront_size: 64
  - .agpr_count:     0
    .args:
      - .offset:         0
        .size:           4
        .value_kind:     by_value
      - .offset:         4
        .size:           4
        .value_kind:     by_value
      - .offset:         8
        .size:           4
        .value_kind:     by_value
      - .address_space:  global
        .offset:         16
        .size:           8
        .value_kind:     global_buffer
      - .offset:         24
        .size:           4
        .value_kind:     by_value
      - .offset:         28
        .size:           4
        .value_kind:     by_value
      - .offset:         32
        .size:           8
        .value_kind:     by_value
      - .address_space:  global
        .offset:         40
        .size:           8
        .value_kind:     global_buffer
      - .offset:         48
        .size:           4
        .value_kind:     by_value
      - .offset:         52
        .size:           4
        .value_kind:     by_value
      - .offset:         56
        .size:           8
        .value_kind:     by_value
      - .offset:         64
        .size:           4
        .value_kind:     hidden_block_count_x
      - .offset:         68
        .size:           4
        .value_kind:     hidden_block_count_y
      - .offset:         72
        .size:           4
        .value_kind:     hidden_block_count_z
      - .offset:         76
        .size:           2
        .value_kind:     hidden_group_size_x
      - .offset:         78
        .size:           2
        .value_kind:     hidden_group_size_y
      - .offset:         80
        .size:           2
        .value_kind:     hidden_group_size_z
      - .offset:         82
        .size:           2
        .value_kind:     hidden_remainder_x
      - .offset:         84
        .size:           2
        .value_kind:     hidden_remainder_y
      - .offset:         86
        .size:           2
        .value_kind:     hidden_remainder_z
      - .offset:         104
        .size:           8
        .value_kind:     hidden_global_offset_x
      - .offset:         112
        .size:           8
        .value_kind:     hidden_global_offset_y
      - .offset:         120
        .size:           8
        .value_kind:     hidden_global_offset_z
      - .offset:         128
        .size:           2
        .value_kind:     hidden_grid_dims
      - .offset:         184
        .size:           4
        .value_kind:     hidden_dynamic_lds_size
    .group_segment_fixed_size: 0
    .kernarg_segment_align: 8
    .kernarg_segment_size: 320
    .language:       OpenCL C
    .language_version:
      - 2
      - 0
    .max_flat_workgroup_size: 1024
    .name:           _ZN9rocsolver6v33100L26latrd_upper_updateA_kernelI19rocblas_complex_numIdEPS3_EEviiiT0_iilPT_iil
    .private_segment_fixed_size: 0
    .sgpr_count:     45
    .sgpr_spill_count: 0
    .symbol:         _ZN9rocsolver6v33100L26latrd_upper_updateA_kernelI19rocblas_complex_numIdEPS3_EEviiiT0_iilPT_iil.kd
    .uniform_work_group_size: 1
    .uses_dynamic_stack: false
    .vgpr_count:     40
    .vgpr_spill_count: 0
    .wavefront_size: 64
  - .agpr_count:     0
    .args:
      - .offset:         0
        .size:           4
        .value_kind:     by_value
      - .offset:         4
        .size:           4
        .value_kind:     by_value
      - .offset:         8
        .size:           4
        .value_kind:     by_value
      - .address_space:  global
        .offset:         16
        .size:           8
        .value_kind:     global_buffer
      - .offset:         24
        .size:           4
        .value_kind:     by_value
      - .offset:         28
        .size:           4
        .value_kind:     by_value
      - .offset:         32
        .size:           8
        .value_kind:     by_value
      - .address_space:  global
        .offset:         40
        .size:           8
        .value_kind:     global_buffer
      - .offset:         48
        .size:           4
        .value_kind:     by_value
      - .offset:         52
        .size:           4
        .value_kind:     by_value
      - .offset:         56
        .size:           8
        .value_kind:     by_value
      - .address_space:  global
        .offset:         64
        .size:           8
        .value_kind:     global_buffer
      - .offset:         72
        .size:           4
        .value_kind:     by_value
      - .offset:         76
        .size:           4
        .value_kind:     by_value
      - .offset:         80
        .size:           8
        .value_kind:     by_value
      - .address_space:  global
        .offset:         88
        .size:           8
        .value_kind:     global_buffer
      - .offset:         96
        .size:           8
        .value_kind:     by_value
    .group_segment_fixed_size: 4096
    .kernarg_segment_align: 8
    .kernarg_segment_size: 104
    .language:       OpenCL C
    .language_version:
      - 2
      - 0
    .max_flat_workgroup_size: 1024
    .name:           _ZN9rocsolver6v33100L33latrd_upper_computeW_gemvt_kernelILi256E19rocblas_complex_numIdEPS3_EEviiiT1_iilPT0_iilS7_iilS7_l
    .private_segment_fixed_size: 0
    .sgpr_count:     36
    .sgpr_spill_count: 0
    .symbol:         _ZN9rocsolver6v33100L33latrd_upper_computeW_gemvt_kernelILi256E19rocblas_complex_numIdEPS3_EEviiiT1_iilPT0_iilS7_iilS7_l.kd
    .uniform_work_group_size: 1
    .uses_dynamic_stack: false
    .vgpr_count:     20
    .vgpr_spill_count: 0
    .wavefront_size: 64
  - .agpr_count:     0
    .args:
      - .offset:         0
        .size:           4
        .value_kind:     by_value
      - .offset:         4
        .size:           4
        .value_kind:     by_value
      - .offset:         8
        .size:           4
        .value_kind:     by_value
      - .address_space:  global
        .offset:         16
        .size:           8
        .value_kind:     global_buffer
      - .offset:         24
        .size:           4
        .value_kind:     by_value
      - .offset:         28
        .size:           4
        .value_kind:     by_value
      - .offset:         32
        .size:           8
        .value_kind:     by_value
      - .address_space:  global
        .offset:         40
        .size:           8
        .value_kind:     global_buffer
      - .offset:         48
        .size:           4
        .value_kind:     by_value
      - .offset:         52
        .size:           4
        .value_kind:     by_value
      - .offset:         56
        .size:           8
        .value_kind:     by_value
      - .address_space:  global
        .offset:         64
        .size:           8
        .value_kind:     global_buffer
      - .offset:         72
        .size:           8
        .value_kind:     by_value
      - .address_space:  global
        .offset:         80
        .size:           8
        .value_kind:     global_buffer
      - .offset:         88
        .size:           8
        .value_kind:     by_value
      - .offset:         96
        .size:           4
        .value_kind:     hidden_block_count_x
      - .offset:         100
        .size:           4
        .value_kind:     hidden_block_count_y
      - .offset:         104
        .size:           4
        .value_kind:     hidden_block_count_z
      - .offset:         108
        .size:           2
        .value_kind:     hidden_group_size_x
      - .offset:         110
        .size:           2
        .value_kind:     hidden_group_size_y
      - .offset:         112
        .size:           2
        .value_kind:     hidden_group_size_z
      - .offset:         114
        .size:           2
        .value_kind:     hidden_remainder_x
      - .offset:         116
        .size:           2
        .value_kind:     hidden_remainder_y
      - .offset:         118
        .size:           2
        .value_kind:     hidden_remainder_z
      - .offset:         136
        .size:           8
        .value_kind:     hidden_global_offset_x
      - .offset:         144
        .size:           8
        .value_kind:     hidden_global_offset_y
      - .offset:         152
        .size:           8
        .value_kind:     hidden_global_offset_z
      - .offset:         160
        .size:           2
        .value_kind:     hidden_grid_dims
      - .offset:         216
        .size:           4
        .value_kind:     hidden_dynamic_lds_size
    .group_segment_fixed_size: 0
    .kernarg_segment_align: 8
    .kernarg_segment_size: 352
    .language:       OpenCL C
    .language_version:
      - 2
      - 0
    .max_flat_workgroup_size: 1024
    .name:           _ZN9rocsolver6v33100L26latrd_upper_updateW_kernelI19rocblas_complex_numIdEPS3_EEviiiT0_iilPT_iilS7_lS7_l
    .private_segment_fixed_size: 0
    .sgpr_count:     45
    .sgpr_spill_count: 0
    .symbol:         _ZN9rocsolver6v33100L26latrd_upper_updateW_kernelI19rocblas_complex_numIdEPS3_EEviiiT0_iilPT_iilS7_lS7_l.kd
    .uniform_work_group_size: 1
    .uses_dynamic_stack: false
    .vgpr_count:     40
    .vgpr_spill_count: 0
    .wavefront_size: 64
  - .agpr_count:     0
    .args:
      - .offset:         0
        .size:           4
        .value_kind:     by_value
      - .offset:         4
        .size:           4
        .value_kind:     by_value
      - .address_space:  global
        .offset:         8
        .size:           8
        .value_kind:     global_buffer
      - .offset:         16
        .size:           4
        .value_kind:     by_value
      - .offset:         20
        .size:           4
        .value_kind:     by_value
      - .offset:         24
        .size:           8
        .value_kind:     by_value
      - .address_space:  global
        .offset:         32
        .size:           8
        .value_kind:     global_buffer
      - .offset:         40
        .size:           8
        .value_kind:     by_value
      - .address_space:  global
        .offset:         48
        .size:           8
        .value_kind:     global_buffer
      - .offset:         56
        .size:           8
        .value_kind:     by_value
      - .offset:         64
        .size:           4
        .value_kind:     hidden_block_count_x
      - .offset:         68
        .size:           4
        .value_kind:     hidden_block_count_y
      - .offset:         72
        .size:           4
        .value_kind:     hidden_block_count_z
      - .offset:         76
        .size:           2
        .value_kind:     hidden_group_size_x
      - .offset:         78
        .size:           2
        .value_kind:     hidden_group_size_y
      - .offset:         80
        .size:           2
        .value_kind:     hidden_group_size_z
      - .offset:         82
        .size:           2
        .value_kind:     hidden_remainder_x
      - .offset:         84
        .size:           2
        .value_kind:     hidden_remainder_y
      - .offset:         86
        .size:           2
        .value_kind:     hidden_remainder_z
      - .offset:         104
        .size:           8
        .value_kind:     hidden_global_offset_x
      - .offset:         112
        .size:           8
        .value_kind:     hidden_global_offset_y
      - .offset:         120
        .size:           8
        .value_kind:     hidden_global_offset_z
      - .offset:         128
        .size:           2
        .value_kind:     hidden_grid_dims
    .group_segment_fixed_size: 0
    .kernarg_segment_align: 8
    .kernarg_segment_size: 320
    .language:       OpenCL C
    .language_version:
      - 2
      - 0
    .max_flat_workgroup_size: 1024
    .name:           _ZN9rocsolver6v33100L11set_tridiagI19rocblas_complex_numIdEdPS3_TnNSt9enable_ifIX18rocblas_is_complexIT_EEiE4typeELi0EEEv13rocblas_fill_iT1_iilPT0_lSC_l
    .private_segment_fixed_size: 0
    .sgpr_count:     26
    .sgpr_spill_count: 0
    .symbol:         _ZN9rocsolver6v33100L11set_tridiagI19rocblas_complex_numIdEdPS3_TnNSt9enable_ifIX18rocblas_is_complexIT_EEiE4typeELi0EEEv13rocblas_fill_iT1_iilPT0_lSC_l.kd
    .uniform_work_group_size: 1
    .uses_dynamic_stack: false
    .vgpr_count:     14
    .vgpr_spill_count: 0
    .wavefront_size: 64
  - .agpr_count:     0
    .args:
      - .offset:         0
        .size:           4
        .value_kind:     by_value
      - .offset:         4
        .size:           4
        .value_kind:     by_value
      - .address_space:  global
        .offset:         8
        .size:           8
        .value_kind:     global_buffer
      - .offset:         16
        .size:           4
        .value_kind:     by_value
      - .offset:         20
        .size:           4
        .value_kind:     by_value
      - .offset:         24
        .size:           8
        .value_kind:     by_value
      - .offset:         32
        .size:           4
        .value_kind:     hidden_block_count_x
      - .offset:         36
        .size:           4
        .value_kind:     hidden_block_count_y
      - .offset:         40
        .size:           4
        .value_kind:     hidden_block_count_z
      - .offset:         44
        .size:           2
        .value_kind:     hidden_group_size_x
      - .offset:         46
        .size:           2
        .value_kind:     hidden_group_size_y
      - .offset:         48
        .size:           2
        .value_kind:     hidden_group_size_z
      - .offset:         50
        .size:           2
        .value_kind:     hidden_remainder_x
      - .offset:         52
        .size:           2
        .value_kind:     hidden_remainder_y
      - .offset:         54
        .size:           2
        .value_kind:     hidden_remainder_z
      - .offset:         72
        .size:           8
        .value_kind:     hidden_global_offset_x
      - .offset:         80
        .size:           8
        .value_kind:     hidden_global_offset_y
      - .offset:         88
        .size:           8
        .value_kind:     hidden_global_offset_z
      - .offset:         96
        .size:           2
        .value_kind:     hidden_grid_dims
    .group_segment_fixed_size: 0
    .kernarg_segment_align: 8
    .kernarg_segment_size: 288
    .language:       OpenCL C
    .language_version:
      - 2
      - 0
    .max_flat_workgroup_size: 1024
    .name:           _ZN9rocsolver6v33100L10init_identI19rocblas_complex_numIdEPS3_EEviiT0_iil
    .private_segment_fixed_size: 0
    .sgpr_count:     13
    .sgpr_spill_count: 0
    .symbol:         _ZN9rocsolver6v33100L10init_identI19rocblas_complex_numIdEPS3_EEviiT0_iil.kd
    .uniform_work_group_size: 1
    .uses_dynamic_stack: false
    .vgpr_count:     6
    .vgpr_spill_count: 0
    .wavefront_size: 64
  - .agpr_count:     0
    .args:
      - .offset:         0
        .size:           4
        .value_kind:     by_value
      - .offset:         4
        .size:           4
        .value_kind:     by_value
      - .offset:         8
        .size:           4
        .value_kind:     by_value
      - .offset:         12
        .size:           4
        .value_kind:     by_value
      - .offset:         16
        .size:           4
        .value_kind:     by_value
      - .address_space:  global
        .offset:         24
        .size:           8
        .value_kind:     global_buffer
      - .offset:         32
        .size:           8
        .value_kind:     by_value
      - .address_space:  global
        .offset:         40
        .size:           8
        .value_kind:     global_buffer
      - .offset:         48
        .size:           8
        .value_kind:     by_value
      - .address_space:  global
        .offset:         56
        .size:           8
        .value_kind:     global_buffer
      - .offset:         64
        .size:           8
        .value_kind:     by_value
      - .offset:         72
        .size:           4
        .value_kind:     by_value
      - .offset:         80
        .size:           8
        .value_kind:     by_value
      - .offset:         88
        .size:           4
        .value_kind:     by_value
      - .offset:         96
        .size:           4
        .value_kind:     hidden_block_count_x
      - .offset:         100
        .size:           4
        .value_kind:     hidden_block_count_y
      - .offset:         104
        .size:           4
        .value_kind:     hidden_block_count_z
      - .offset:         108
        .size:           2
        .value_kind:     hidden_group_size_x
      - .offset:         110
        .size:           2
        .value_kind:     hidden_group_size_y
      - .offset:         112
        .size:           2
        .value_kind:     hidden_group_size_z
      - .offset:         114
        .size:           2
        .value_kind:     hidden_remainder_x
      - .offset:         116
        .size:           2
        .value_kind:     hidden_remainder_y
      - .offset:         118
        .size:           2
        .value_kind:     hidden_remainder_z
      - .offset:         136
        .size:           8
        .value_kind:     hidden_global_offset_x
      - .offset:         144
        .size:           8
        .value_kind:     hidden_global_offset_y
      - .offset:         152
        .size:           8
        .value_kind:     hidden_global_offset_z
      - .offset:         160
        .size:           2
        .value_kind:     hidden_grid_dims
    .group_segment_fixed_size: 0
    .kernarg_segment_align: 8
    .kernarg_segment_size: 352
    .language:       OpenCL C
    .language_version:
      - 2
      - 0
    .max_flat_workgroup_size: 64
    .name:           _ZN9rocsolver6v33100L11lasr_kernelI19rocblas_complex_numIdEdPS3_iEEv13rocblas_side_14rocblas_pivot_15rocblas_direct_T2_S8_PT0_lSA_lT1_lS8_lS8_
    .private_segment_fixed_size: 0
    .sgpr_count:     100
    .sgpr_spill_count: 10
    .symbol:         _ZN9rocsolver6v33100L11lasr_kernelI19rocblas_complex_numIdEdPS3_iEEv13rocblas_side_14rocblas_pivot_15rocblas_direct_T2_S8_PT0_lSA_lT1_lS8_lS8_.kd
    .uniform_work_group_size: 1
    .uses_dynamic_stack: false
    .vgpr_count:     60
    .vgpr_spill_count: 0
    .wavefront_size: 64
  - .agpr_count:     0
    .args:
      - .offset:         0
        .size:           4
        .value_kind:     by_value
      - .address_space:  global
        .offset:         8
        .size:           8
        .value_kind:     global_buffer
      - .offset:         16
        .size:           4
        .value_kind:     by_value
      - .address_space:  global
        .offset:         24
        .size:           8
        .value_kind:     global_buffer
      - .offset:         32
        .size:           4
        .value_kind:     by_value
      - .offset:         40
        .size:           4
        .value_kind:     hidden_block_count_x
      - .offset:         44
        .size:           4
        .value_kind:     hidden_block_count_y
      - .offset:         48
        .size:           4
        .value_kind:     hidden_block_count_z
      - .offset:         52
        .size:           2
        .value_kind:     hidden_group_size_x
      - .offset:         54
        .size:           2
        .value_kind:     hidden_group_size_y
      - .offset:         56
        .size:           2
        .value_kind:     hidden_group_size_z
      - .offset:         58
        .size:           2
        .value_kind:     hidden_remainder_x
      - .offset:         60
        .size:           2
        .value_kind:     hidden_remainder_y
      - .offset:         62
        .size:           2
        .value_kind:     hidden_remainder_z
      - .offset:         80
        .size:           8
        .value_kind:     hidden_global_offset_x
      - .offset:         88
        .size:           8
        .value_kind:     hidden_global_offset_y
      - .offset:         96
        .size:           8
        .value_kind:     hidden_global_offset_z
      - .offset:         104
        .size:           2
        .value_kind:     hidden_grid_dims
    .group_segment_fixed_size: 32768
    .kernarg_segment_align: 8
    .kernarg_segment_size: 296
    .language:       OpenCL C
    .language_version:
      - 2
      - 0
    .max_flat_workgroup_size: 1024
    .name:           _ZN9rocsolver6v33100L11swap_kernelI19rocblas_complex_numIdEiEEvT0_PT_S4_S6_S4_
    .private_segment_fixed_size: 0
    .sgpr_count:     21
    .sgpr_spill_count: 0
    .symbol:         _ZN9rocsolver6v33100L11swap_kernelI19rocblas_complex_numIdEiEEvT0_PT_S4_S6_S4_.kd
    .uniform_work_group_size: 1
    .uses_dynamic_stack: false
    .vgpr_count:     20
    .vgpr_spill_count: 0
    .wavefront_size: 64
  - .agpr_count:     0
    .args:
      - .offset:         0
        .size:           4
        .value_kind:     by_value
      - .address_space:  global
        .offset:         8
        .size:           8
        .value_kind:     global_buffer
      - .offset:         16
        .size:           8
        .value_kind:     by_value
      - .address_space:  global
        .offset:         24
        .size:           8
        .value_kind:     global_buffer
      - .offset:         32
        .size:           8
        .value_kind:     by_value
      - .address_space:  global
        .offset:         40
        .size:           8
        .value_kind:     global_buffer
      - .offset:         48
        .size:           4
        .value_kind:     by_value
      - .offset:         52
        .size:           4
        .value_kind:     by_value
      - .offset:         56
        .size:           8
        .value_kind:     by_value
      - .address_space:  global
        .offset:         64
        .size:           8
        .value_kind:     global_buffer
      - .address_space:  global
        .offset:         72
        .size:           8
        .value_kind:     global_buffer
      - .offset:         80
        .size:           4
        .value_kind:     by_value
      - .offset:         88
        .size:           8
        .value_kind:     by_value
      - .offset:         96
        .size:           8
        .value_kind:     by_value
      - .offset:         104
        .size:           8
        .value_kind:     by_value
      - .offset:         112
        .size:           4
        .value_kind:     hidden_block_count_x
      - .offset:         116
        .size:           4
        .value_kind:     hidden_block_count_y
      - .offset:         120
        .size:           4
        .value_kind:     hidden_block_count_z
      - .offset:         124
        .size:           2
        .value_kind:     hidden_group_size_x
      - .offset:         126
        .size:           2
        .value_kind:     hidden_group_size_y
      - .offset:         128
        .size:           2
        .value_kind:     hidden_group_size_z
      - .offset:         130
        .size:           2
        .value_kind:     hidden_remainder_x
      - .offset:         132
        .size:           2
        .value_kind:     hidden_remainder_y
      - .offset:         134
        .size:           2
        .value_kind:     hidden_remainder_z
      - .offset:         152
        .size:           8
        .value_kind:     hidden_global_offset_x
      - .offset:         160
        .size:           8
        .value_kind:     hidden_global_offset_y
      - .offset:         168
        .size:           8
        .value_kind:     hidden_global_offset_z
      - .offset:         176
        .size:           2
        .value_kind:     hidden_grid_dims
    .group_segment_fixed_size: 16432
    .kernarg_segment_align: 8
    .kernarg_segment_size: 368
    .language:       OpenCL C
    .language_version:
      - 2
      - 0
    .max_flat_workgroup_size: 1024
    .name:           _ZN9rocsolver6v33100L12steqr_kernelI19rocblas_complex_numIdEdPS3_EEviPT0_lS6_lT1_iilPiS6_iS5_S5_S5_
    .private_segment_fixed_size: 0
    .sgpr_count:     100
    .sgpr_spill_count: 10
    .symbol:         _ZN9rocsolver6v33100L12steqr_kernelI19rocblas_complex_numIdEdPS3_EEviPT0_lS6_lT1_iilPiS6_iS5_S5_S5_.kd
    .uniform_work_group_size: 1
    .uses_dynamic_stack: false
    .vgpr_count:     71
    .vgpr_spill_count: 0
    .wavefront_size: 64
  - .agpr_count:     0
    .args:
      - .offset:         0
        .size:           4
        .value_kind:     by_value
      - .offset:         4
        .size:           4
        .value_kind:     by_value
      - .offset:         8
        .size:           4
        .value_kind:     by_value
      - .address_space:  global
        .offset:         16
        .size:           8
        .value_kind:     global_buffer
      - .offset:         24
        .size:           4
        .value_kind:     by_value
      - .offset:         28
        .size:           4
        .value_kind:     by_value
      - .offset:         32
        .size:           8
        .value_kind:     by_value
      - .address_space:  global
        .offset:         40
        .size:           8
        .value_kind:     global_buffer
      - .offset:         48
        .size:           4
        .value_kind:     by_value
      - .offset:         52
        .size:           4
        .value_kind:     by_value
      - .offset:         56
        .size:           4
        .value_kind:     hidden_block_count_x
      - .offset:         60
        .size:           4
        .value_kind:     hidden_block_count_y
      - .offset:         64
        .size:           4
        .value_kind:     hidden_block_count_z
      - .offset:         68
        .size:           2
        .value_kind:     hidden_group_size_x
      - .offset:         70
        .size:           2
        .value_kind:     hidden_group_size_y
      - .offset:         72
        .size:           2
        .value_kind:     hidden_group_size_z
      - .offset:         74
        .size:           2
        .value_kind:     hidden_remainder_x
      - .offset:         76
        .size:           2
        .value_kind:     hidden_remainder_y
      - .offset:         78
        .size:           2
        .value_kind:     hidden_remainder_z
      - .offset:         96
        .size:           8
        .value_kind:     hidden_global_offset_x
      - .offset:         104
        .size:           8
        .value_kind:     hidden_global_offset_y
      - .offset:         112
        .size:           8
        .value_kind:     hidden_global_offset_z
      - .offset:         120
        .size:           2
        .value_kind:     hidden_grid_dims
    .group_segment_fixed_size: 0
    .kernarg_segment_align: 8
    .kernarg_segment_size: 312
    .language:       OpenCL C
    .language_version:
      - 2
      - 0
    .max_flat_workgroup_size: 1024
    .name:           _ZN9rocsolver6v33100L8copy_matI19rocblas_complex_numIdEdLb0EPS3_TnNSt9enable_ifIX18rocblas_is_complexIT_EEiE4typeELi0EEEvNS0_17copymat_directionEiiT2_iilPT0_13rocblas_fill_17rocblas_diagonal_
    .private_segment_fixed_size: 0
    .sgpr_count:     28
    .sgpr_spill_count: 0
    .symbol:         _ZN9rocsolver6v33100L8copy_matI19rocblas_complex_numIdEdLb0EPS3_TnNSt9enable_ifIX18rocblas_is_complexIT_EEiE4typeELi0EEEvNS0_17copymat_directionEiiT2_iilPT0_13rocblas_fill_17rocblas_diagonal_.kd
    .uniform_work_group_size: 1
    .uses_dynamic_stack: false
    .vgpr_count:     8
    .vgpr_spill_count: 0
    .wavefront_size: 64
  - .agpr_count:     0
    .args:
      - .offset:         0
        .size:           4
        .value_kind:     by_value
      - .offset:         4
        .size:           4
        .value_kind:     by_value
      - .address_space:  global
        .offset:         8
        .size:           8
        .value_kind:     global_buffer
      - .offset:         16
        .size:           4
        .value_kind:     by_value
      - .offset:         20
        .size:           4
        .value_kind:     by_value
      - .offset:         24
        .size:           8
        .value_kind:     by_value
      - .offset:         32
        .size:           4
        .value_kind:     by_value
      - .offset:         40
        .size:           4
        .value_kind:     hidden_block_count_x
      - .offset:         44
        .size:           4
        .value_kind:     hidden_block_count_y
      - .offset:         48
        .size:           4
        .value_kind:     hidden_block_count_z
      - .offset:         52
        .size:           2
        .value_kind:     hidden_group_size_x
      - .offset:         54
        .size:           2
        .value_kind:     hidden_group_size_y
      - .offset:         56
        .size:           2
        .value_kind:     hidden_group_size_z
      - .offset:         58
        .size:           2
        .value_kind:     hidden_remainder_x
      - .offset:         60
        .size:           2
        .value_kind:     hidden_remainder_y
      - .offset:         62
        .size:           2
        .value_kind:     hidden_remainder_z
      - .offset:         80
        .size:           8
        .value_kind:     hidden_global_offset_x
      - .offset:         88
        .size:           8
        .value_kind:     hidden_global_offset_y
      - .offset:         96
        .size:           8
        .value_kind:     hidden_global_offset_z
      - .offset:         104
        .size:           2
        .value_kind:     hidden_grid_dims
    .group_segment_fixed_size: 0
    .kernarg_segment_align: 8
    .kernarg_segment_size: 296
    .language:       OpenCL C
    .language_version:
      - 2
      - 0
    .max_flat_workgroup_size: 1024
    .name:           _ZN9rocsolver6v33100L8set_zeroI19rocblas_complex_numIdEPS3_EEviiT0_iil13rocblas_fill_
    .private_segment_fixed_size: 0
    .sgpr_count:     13
    .sgpr_spill_count: 0
    .symbol:         _ZN9rocsolver6v33100L8set_zeroI19rocblas_complex_numIdEPS3_EEviiT0_iil13rocblas_fill_.kd
    .uniform_work_group_size: 1
    .uses_dynamic_stack: false
    .vgpr_count:     6
    .vgpr_spill_count: 0
    .wavefront_size: 64
  - .agpr_count:     0
    .args:
      - .offset:         0
        .size:           4
        .value_kind:     by_value
      - .offset:         4
        .size:           4
        .value_kind:     by_value
      - .offset:         8
        .size:           4
        .value_kind:     by_value
      - .address_space:  global
        .offset:         16
        .size:           8
        .value_kind:     global_buffer
      - .offset:         24
        .size:           4
        .value_kind:     by_value
      - .offset:         28
        .size:           4
        .value_kind:     by_value
      - .offset:         32
        .size:           8
        .value_kind:     by_value
      - .address_space:  global
        .offset:         40
        .size:           8
        .value_kind:     global_buffer
      - .offset:         48
        .size:           4
        .value_kind:     by_value
      - .offset:         52
        .size:           4
        .value_kind:     by_value
      - .offset:         56
        .size:           4
        .value_kind:     hidden_block_count_x
      - .offset:         60
        .size:           4
        .value_kind:     hidden_block_count_y
      - .offset:         64
        .size:           4
        .value_kind:     hidden_block_count_z
      - .offset:         68
        .size:           2
        .value_kind:     hidden_group_size_x
      - .offset:         70
        .size:           2
        .value_kind:     hidden_group_size_y
      - .offset:         72
        .size:           2
        .value_kind:     hidden_group_size_z
      - .offset:         74
        .size:           2
        .value_kind:     hidden_remainder_x
      - .offset:         76
        .size:           2
        .value_kind:     hidden_remainder_y
      - .offset:         78
        .size:           2
        .value_kind:     hidden_remainder_z
      - .offset:         96
        .size:           8
        .value_kind:     hidden_global_offset_x
      - .offset:         104
        .size:           8
        .value_kind:     hidden_global_offset_y
      - .offset:         112
        .size:           8
        .value_kind:     hidden_global_offset_z
      - .offset:         120
        .size:           2
        .value_kind:     hidden_grid_dims
    .group_segment_fixed_size: 0
    .kernarg_segment_align: 8
    .kernarg_segment_size: 312
    .language:       OpenCL C
    .language_version:
      - 2
      - 0
    .max_flat_workgroup_size: 1024
    .name:           _ZN9rocsolver6v33100L8copy_matI19rocblas_complex_numIdEdLb1EPS3_TnNSt9enable_ifIX18rocblas_is_complexIT_EEiE4typeELi0EEEvNS0_17copymat_directionEiiT2_iilPT0_13rocblas_fill_17rocblas_diagonal_
    .private_segment_fixed_size: 0
    .sgpr_count:     22
    .sgpr_spill_count: 0
    .symbol:         _ZN9rocsolver6v33100L8copy_matI19rocblas_complex_numIdEdLb1EPS3_TnNSt9enable_ifIX18rocblas_is_complexIT_EEiE4typeELi0EEEvNS0_17copymat_directionEiiT2_iilPT0_13rocblas_fill_17rocblas_diagonal_.kd
    .uniform_work_group_size: 1
    .uses_dynamic_stack: false
    .vgpr_count:     9
    .vgpr_spill_count: 0
    .wavefront_size: 64
  - .agpr_count:     0
    .args:
      - .offset:         0
        .size:           4
        .value_kind:     by_value
      - .address_space:  global
        .offset:         8
        .size:           8
        .value_kind:     global_buffer
      - .offset:         16
        .size:           4
        .value_kind:     by_value
      - .offset:         20
        .size:           4
        .value_kind:     by_value
      - .offset:         24
        .size:           8
        .value_kind:     by_value
      - .address_space:  global
        .offset:         32
        .size:           8
        .value_kind:     global_buffer
      - .offset:         40
        .size:           4
        .value_kind:     by_value
      - .offset:         44
        .size:           4
        .value_kind:     by_value
      - .offset:         48
        .size:           8
        .value_kind:     by_value
      - .offset:         56
        .size:           4
        .value_kind:     hidden_block_count_x
      - .offset:         60
        .size:           4
        .value_kind:     hidden_block_count_y
      - .offset:         64
        .size:           4
        .value_kind:     hidden_block_count_z
      - .offset:         68
        .size:           2
        .value_kind:     hidden_group_size_x
      - .offset:         70
        .size:           2
        .value_kind:     hidden_group_size_y
      - .offset:         72
        .size:           2
        .value_kind:     hidden_group_size_z
      - .offset:         74
        .size:           2
        .value_kind:     hidden_remainder_x
      - .offset:         76
        .size:           2
        .value_kind:     hidden_remainder_y
      - .offset:         78
        .size:           2
        .value_kind:     hidden_remainder_z
      - .offset:         96
        .size:           8
        .value_kind:     hidden_global_offset_x
      - .offset:         104
        .size:           8
        .value_kind:     hidden_global_offset_y
      - .offset:         112
        .size:           8
        .value_kind:     hidden_global_offset_z
      - .offset:         120
        .size:           2
        .value_kind:     hidden_grid_dims
    .group_segment_fixed_size: 0
    .kernarg_segment_align: 8
    .kernarg_segment_size: 312
    .language:       OpenCL C
    .language_version:
      - 2
      - 0
    .max_flat_workgroup_size: 512
    .name:           _ZN9rocsolver6v33100L11stedc_copyCI19rocblas_complex_numIdEPS3_S4_EEviT0_iilT1_iil
    .private_segment_fixed_size: 272
    .sgpr_count:     65
    .sgpr_spill_count: 0
    .symbol:         _ZN9rocsolver6v33100L11stedc_copyCI19rocblas_complex_numIdEPS3_S4_EEviT0_iilT1_iil.kd
    .uniform_work_group_size: 1
    .uses_dynamic_stack: false
    .vgpr_count:     54
    .vgpr_spill_count: 0
    .wavefront_size: 64
  - .agpr_count:     0
    .args:
      - .offset:         0
        .size:           4
        .value_kind:     by_value
      - .address_space:  global
        .offset:         8
        .size:           8
        .value_kind:     global_buffer
      - .offset:         16
        .size:           8
        .value_kind:     by_value
      - .address_space:  global
        .offset:         24
        .size:           8
        .value_kind:     global_buffer
      - .offset:         32
        .size:           8
        .value_kind:     by_value
      - .address_space:  global
        .offset:         40
        .size:           8
        .value_kind:     global_buffer
      - .offset:         48
        .size:           4
        .value_kind:     by_value
      - .offset:         52
        .size:           4
        .value_kind:     by_value
      - .offset:         56
        .size:           8
        .value_kind:     by_value
      - .address_space:  global
        .offset:         64
        .size:           8
        .value_kind:     global_buffer
      - .offset:         72
        .size:           4
        .value_kind:     by_value
      - .offset:         76
        .size:           4
        .value_kind:     by_value
      - .offset:         80
        .size:           8
        .value_kind:     by_value
      - .offset:         88
        .size:           4
        .value_kind:     hidden_block_count_x
      - .offset:         92
        .size:           4
        .value_kind:     hidden_block_count_y
      - .offset:         96
        .size:           4
        .value_kind:     hidden_block_count_z
      - .offset:         100
        .size:           2
        .value_kind:     hidden_group_size_x
      - .offset:         102
        .size:           2
        .value_kind:     hidden_group_size_y
      - .offset:         104
        .size:           2
        .value_kind:     hidden_group_size_z
      - .offset:         106
        .size:           2
        .value_kind:     hidden_remainder_x
      - .offset:         108
        .size:           2
        .value_kind:     hidden_remainder_y
      - .offset:         110
        .size:           2
        .value_kind:     hidden_remainder_z
      - .offset:         128
        .size:           8
        .value_kind:     hidden_global_offset_x
      - .offset:         136
        .size:           8
        .value_kind:     hidden_global_offset_y
      - .offset:         144
        .size:           8
        .value_kind:     hidden_global_offset_z
      - .offset:         152
        .size:           2
        .value_kind:     hidden_grid_dims
    .group_segment_fixed_size: 10240
    .kernarg_segment_align: 8
    .kernarg_segment_size: 344
    .language:       OpenCL C
    .language_version:
      - 2
      - 0
    .max_flat_workgroup_size: 512
    .name:           _ZN9rocsolver6v33100L10stedc_sortI19rocblas_complex_numIdEdPS3_S4_EEviPT0_lS6_lT1_iilT2_iil
    .private_segment_fixed_size: 128
    .sgpr_count:     83
    .sgpr_spill_count: 0
    .symbol:         _ZN9rocsolver6v33100L10stedc_sortI19rocblas_complex_numIdEdPS3_S4_EEviPT0_lS6_lT1_iilT2_iil.kd
    .uniform_work_group_size: 1
    .uses_dynamic_stack: false
    .vgpr_count:     70
    .vgpr_spill_count: 0
    .wavefront_size: 64
  - .agpr_count:     0
    .args:
      - .offset:         0
        .size:           4
        .value_kind:     by_value
      - .offset:         4
        .size:           4
        .value_kind:     by_value
      - .address_space:  global
        .offset:         8
        .size:           8
        .value_kind:     global_buffer
      - .offset:         16
        .size:           8
        .value_kind:     by_value
      - .offset:         24
        .size:           4
        .value_kind:     by_value
      - .offset:         32
        .size:           8
        .value_kind:     by_value
      - .offset:         40
        .size:           4
        .value_kind:     hidden_block_count_x
      - .offset:         44
        .size:           4
        .value_kind:     hidden_block_count_y
      - .offset:         48
        .size:           4
        .value_kind:     hidden_block_count_z
      - .offset:         52
        .size:           2
        .value_kind:     hidden_group_size_x
      - .offset:         54
        .size:           2
        .value_kind:     hidden_group_size_y
      - .offset:         56
        .size:           2
        .value_kind:     hidden_group_size_z
      - .offset:         58
        .size:           2
        .value_kind:     hidden_remainder_x
      - .offset:         60
        .size:           2
        .value_kind:     hidden_remainder_y
      - .offset:         62
        .size:           2
        .value_kind:     hidden_remainder_z
      - .offset:         80
        .size:           8
        .value_kind:     hidden_global_offset_x
      - .offset:         88
        .size:           8
        .value_kind:     hidden_global_offset_y
      - .offset:         96
        .size:           8
        .value_kind:     hidden_global_offset_z
      - .offset:         104
        .size:           2
        .value_kind:     hidden_grid_dims
    .group_segment_fixed_size: 0
    .kernarg_segment_align: 8
    .kernarg_segment_size: 296
    .language:       OpenCL C
    .language_version:
      - 2
      - 0
    .max_flat_workgroup_size: 1024
    .name:           _ZN9rocsolver6v33100L13conj_in_placeI19rocblas_complex_numIdEiPS3_TnNSt9enable_ifIX18rocblas_is_complexIT_EEiE4typeELi0EEEvT0_S9_T1_lS9_l
    .private_segment_fixed_size: 0
    .sgpr_count:     14
    .sgpr_spill_count: 0
    .symbol:         _ZN9rocsolver6v33100L13conj_in_placeI19rocblas_complex_numIdEiPS3_TnNSt9enable_ifIX18rocblas_is_complexIT_EEiE4typeELi0EEEvT0_S9_T1_lS9_l.kd
    .uniform_work_group_size: 1
    .uses_dynamic_stack: false
    .vgpr_count:     8
    .vgpr_spill_count: 0
    .wavefront_size: 64
  - .agpr_count:     0
    .args:
      - .address_space:  global
        .offset:         0
        .size:           8
        .value_kind:     global_buffer
      - .offset:         8
        .size:           8
        .value_kind:     by_value
      - .offset:         16
        .size:           8
        .value_kind:     by_value
      - .address_space:  global
        .offset:         24
        .size:           8
        .value_kind:     global_buffer
      - .offset:         32
        .size:           8
        .value_kind:     by_value
      - .offset:         40
        .size:           4
        .value_kind:     by_value
      - .offset:         48
        .size:           8
        .value_kind:     by_value
      - .offset:         56
        .size:           4
        .value_kind:     by_value
      - .offset:         60
        .size:           1
        .value_kind:     by_value
      - .offset:         64
        .size:           4
        .value_kind:     hidden_block_count_x
      - .offset:         68
        .size:           4
        .value_kind:     hidden_block_count_y
      - .offset:         72
        .size:           4
        .value_kind:     hidden_block_count_z
      - .offset:         76
        .size:           2
        .value_kind:     hidden_group_size_x
      - .offset:         78
        .size:           2
        .value_kind:     hidden_group_size_y
      - .offset:         80
        .size:           2
        .value_kind:     hidden_group_size_z
      - .offset:         82
        .size:           2
        .value_kind:     hidden_remainder_x
      - .offset:         84
        .size:           2
        .value_kind:     hidden_remainder_y
      - .offset:         86
        .size:           2
        .value_kind:     hidden_remainder_z
      - .offset:         104
        .size:           8
        .value_kind:     hidden_global_offset_x
      - .offset:         112
        .size:           8
        .value_kind:     hidden_global_offset_y
      - .offset:         120
        .size:           8
        .value_kind:     hidden_global_offset_z
      - .offset:         128
        .size:           2
        .value_kind:     hidden_grid_dims
    .group_segment_fixed_size: 0
    .kernarg_segment_align: 8
    .kernarg_segment_size: 320
    .language:       OpenCL C
    .language_version:
      - 2
      - 0
    .max_flat_workgroup_size: 1024
    .name:           _ZN9rocsolver6v33100L8set_diagI19rocblas_complex_numIdEiS3_PS3_TnNSt9enable_ifIXoont18rocblas_is_complexIT_E18rocblas_is_complexIT1_EEiE4typeELi0EEEvPS7_llT2_lT0_lSC_b
    .private_segment_fixed_size: 0
    .sgpr_count:     23
    .sgpr_spill_count: 0
    .symbol:         _ZN9rocsolver6v33100L8set_diagI19rocblas_complex_numIdEiS3_PS3_TnNSt9enable_ifIXoont18rocblas_is_complexIT_E18rocblas_is_complexIT1_EEiE4typeELi0EEEvPS7_llT2_lT0_lSC_b.kd
    .uniform_work_group_size: 1
    .uses_dynamic_stack: false
    .vgpr_count:     10
    .vgpr_spill_count: 0
    .wavefront_size: 64
  - .agpr_count:     0
    .args:
      - .offset:         0
        .size:           4
        .value_kind:     by_value
      - .offset:         4
        .size:           4
        .value_kind:     by_value
      - .address_space:  global
        .offset:         8
        .size:           8
        .value_kind:     global_buffer
      - .offset:         16
        .size:           8
        .value_kind:     by_value
      - .offset:         24
        .size:           4
        .value_kind:     by_value
      - .offset:         32
        .size:           8
        .value_kind:     by_value
      - .address_space:  global
        .offset:         40
        .size:           8
        .value_kind:     global_buffer
      - .offset:         48
        .size:           8
        .value_kind:     by_value
      - .address_space:  global
        .offset:         56
        .size:           8
        .value_kind:     global_buffer
      - .offset:         64
        .size:           8
        .value_kind:     by_value
      - .offset:         72
        .size:           4
        .value_kind:     by_value
      - .offset:         80
        .size:           8
        .value_kind:     by_value
    .group_segment_fixed_size: 0
    .kernarg_segment_align: 8
    .kernarg_segment_size: 88
    .language:       OpenCL C
    .language_version:
      - 2
      - 0
    .max_flat_workgroup_size: 1024
    .name:           _ZN9rocsolver6v33100L16larf_left_kernelILi1024E19rocblas_complex_numIdEiPS3_EEvT1_S5_T2_lS5_lPKT0_lS6_lS5_l
    .private_segment_fixed_size: 0
    .sgpr_count:     42
    .sgpr_spill_count: 0
    .symbol:         _ZN9rocsolver6v33100L16larf_left_kernelILi1024E19rocblas_complex_numIdEiPS3_EEvT1_S5_T2_lS5_lPKT0_lS6_lS5_l.kd
    .uniform_work_group_size: 1
    .uses_dynamic_stack: false
    .vgpr_count:     22
    .vgpr_spill_count: 0
    .wavefront_size: 64
  - .agpr_count:     0
    .args:
      - .offset:         0
        .size:           4
        .value_kind:     by_value
      - .offset:         4
        .size:           4
        .value_kind:     by_value
      - .address_space:  global
        .offset:         8
        .size:           8
        .value_kind:     global_buffer
      - .offset:         16
        .size:           8
        .value_kind:     by_value
      - .offset:         24
        .size:           4
        .value_kind:     by_value
      - .offset:         32
        .size:           8
        .value_kind:     by_value
      - .address_space:  global
        .offset:         40
        .size:           8
        .value_kind:     global_buffer
      - .offset:         48
        .size:           8
        .value_kind:     by_value
      - .address_space:  global
        .offset:         56
        .size:           8
        .value_kind:     global_buffer
      - .offset:         64
        .size:           8
        .value_kind:     by_value
      - .offset:         72
        .size:           4
        .value_kind:     by_value
      - .offset:         80
        .size:           8
        .value_kind:     by_value
    .group_segment_fixed_size: 0
    .kernarg_segment_align: 8
    .kernarg_segment_size: 88
    .language:       OpenCL C
    .language_version:
      - 2
      - 0
    .max_flat_workgroup_size: 1024
    .name:           _ZN9rocsolver6v33100L17larf_right_kernelILi1024E19rocblas_complex_numIdEiPS3_EEvT1_S5_T2_lS5_lPKT0_lS6_lS5_l
    .private_segment_fixed_size: 0
    .sgpr_count:     44
    .sgpr_spill_count: 0
    .symbol:         _ZN9rocsolver6v33100L17larf_right_kernelILi1024E19rocblas_complex_numIdEiPS3_EEvT1_S5_T2_lS5_lPKT0_lS6_lS5_l.kd
    .uniform_work_group_size: 1
    .uses_dynamic_stack: false
    .vgpr_count:     23
    .vgpr_spill_count: 0
    .wavefront_size: 64
  - .agpr_count:     0
    .args:
      - .address_space:  global
        .offset:         0
        .size:           8
        .value_kind:     global_buffer
      - .offset:         8
        .size:           8
        .value_kind:     by_value
      - .offset:         16
        .size:           8
        .value_kind:     by_value
      - .address_space:  global
        .offset:         24
        .size:           8
        .value_kind:     global_buffer
      - .offset:         32
        .size:           8
        .value_kind:     by_value
      - .offset:         40
        .size:           4
        .value_kind:     by_value
      - .offset:         48
        .size:           8
        .value_kind:     by_value
      - .offset:         56
        .size:           4
        .value_kind:     by_value
      - .offset:         64
        .size:           4
        .value_kind:     hidden_block_count_x
      - .offset:         68
        .size:           4
        .value_kind:     hidden_block_count_y
      - .offset:         72
        .size:           4
        .value_kind:     hidden_block_count_z
      - .offset:         76
        .size:           2
        .value_kind:     hidden_group_size_x
      - .offset:         78
        .size:           2
        .value_kind:     hidden_group_size_y
      - .offset:         80
        .size:           2
        .value_kind:     hidden_group_size_z
      - .offset:         82
        .size:           2
        .value_kind:     hidden_remainder_x
      - .offset:         84
        .size:           2
        .value_kind:     hidden_remainder_y
      - .offset:         86
        .size:           2
        .value_kind:     hidden_remainder_z
      - .offset:         104
        .size:           8
        .value_kind:     hidden_global_offset_x
      - .offset:         112
        .size:           8
        .value_kind:     hidden_global_offset_y
      - .offset:         120
        .size:           8
        .value_kind:     hidden_global_offset_z
      - .offset:         128
        .size:           2
        .value_kind:     hidden_grid_dims
    .group_segment_fixed_size: 0
    .kernarg_segment_align: 8
    .kernarg_segment_size: 320
    .language:       OpenCL C
    .language_version:
      - 2
      - 0
    .max_flat_workgroup_size: 1024
    .name:           _ZN9rocsolver6v33100L12restore_diagI19rocblas_complex_numIdEiS3_PS3_EEvPT1_llT2_lT0_lS8_
    .private_segment_fixed_size: 0
    .sgpr_count:     20
    .sgpr_spill_count: 0
    .symbol:         _ZN9rocsolver6v33100L12restore_diagI19rocblas_complex_numIdEiS3_PS3_EEvPT1_llT2_lT0_lS8_.kd
    .uniform_work_group_size: 1
    .uses_dynamic_stack: false
    .vgpr_count:     7
    .vgpr_spill_count: 0
    .wavefront_size: 64
  - .agpr_count:     0
    .args:
      - .offset:         0
        .size:           4
        .value_kind:     by_value
      - .offset:         4
        .size:           4
        .value_kind:     by_value
      - .address_space:  global
        .offset:         8
        .size:           8
        .value_kind:     global_buffer
      - .offset:         16
        .size:           4
        .value_kind:     by_value
      - .offset:         20
        .size:           4
        .value_kind:     by_value
      - .offset:         24
        .size:           8
        .value_kind:     by_value
      - .address_space:  global
        .offset:         32
        .size:           8
        .value_kind:     global_buffer
      - .offset:         40
        .size:           8
        .value_kind:     by_value
      - .address_space:  global
        .offset:         48
        .size:           8
        .value_kind:     global_buffer
      - .offset:         56
        .size:           4
        .value_kind:     by_value
      - .offset:         64
        .size:           8
        .value_kind:     by_value
      - .offset:         72
        .size:           4
        .value_kind:     by_value
      - .offset:         76
        .size:           4
        .value_kind:     by_value
      - .offset:         80
        .size:           1
        .value_kind:     by_value
      - .offset:         88
        .size:           4
        .value_kind:     hidden_block_count_x
      - .offset:         92
        .size:           4
        .value_kind:     hidden_block_count_y
      - .offset:         96
        .size:           4
        .value_kind:     hidden_block_count_z
      - .offset:         100
        .size:           2
        .value_kind:     hidden_group_size_x
      - .offset:         102
        .size:           2
        .value_kind:     hidden_group_size_y
      - .offset:         104
        .size:           2
        .value_kind:     hidden_group_size_z
      - .offset:         106
        .size:           2
        .value_kind:     hidden_remainder_x
      - .offset:         108
        .size:           2
        .value_kind:     hidden_remainder_y
      - .offset:         110
        .size:           2
        .value_kind:     hidden_remainder_z
      - .offset:         128
        .size:           8
        .value_kind:     hidden_global_offset_x
      - .offset:         136
        .size:           8
        .value_kind:     hidden_global_offset_y
      - .offset:         144
        .size:           8
        .value_kind:     hidden_global_offset_z
      - .offset:         152
        .size:           2
        .value_kind:     hidden_grid_dims
    .group_segment_fixed_size: 0
    .kernarg_segment_align: 8
    .kernarg_segment_size: 344
    .language:       OpenCL C
    .language_version:
      - 2
      - 0
    .max_flat_workgroup_size: 1024
    .name:           _ZN9rocsolver6v33100L14set_triangularI19rocblas_complex_numIdEPS3_TnNSt9enable_ifIX18rocblas_is_complexIT_EEiE4typeELi0EEEviiT0_iilPS6_lSA_il15rocblas_direct_15rocblas_storev_b
    .private_segment_fixed_size: 0
    .sgpr_count:     27
    .sgpr_spill_count: 0
    .symbol:         _ZN9rocsolver6v33100L14set_triangularI19rocblas_complex_numIdEPS3_TnNSt9enable_ifIX18rocblas_is_complexIT_EEiE4typeELi0EEEviiT0_iilPS6_lSA_il15rocblas_direct_15rocblas_storev_b.kd
    .uniform_work_group_size: 1
    .uses_dynamic_stack: false
    .vgpr_count:     22
    .vgpr_spill_count: 0
    .wavefront_size: 64
  - .agpr_count:     0
    .args:
      - .offset:         0
        .size:           4
        .value_kind:     by_value
      - .address_space:  global
        .offset:         8
        .size:           8
        .value_kind:     global_buffer
      - .offset:         16
        .size:           8
        .value_kind:     by_value
      - .offset:         24
        .size:           4
        .value_kind:     hidden_block_count_x
      - .offset:         28
        .size:           4
        .value_kind:     hidden_block_count_y
      - .offset:         32
        .size:           4
        .value_kind:     hidden_block_count_z
      - .offset:         36
        .size:           2
        .value_kind:     hidden_group_size_x
      - .offset:         38
        .size:           2
        .value_kind:     hidden_group_size_y
      - .offset:         40
        .size:           2
        .value_kind:     hidden_group_size_z
      - .offset:         42
        .size:           2
        .value_kind:     hidden_remainder_x
      - .offset:         44
        .size:           2
        .value_kind:     hidden_remainder_y
      - .offset:         46
        .size:           2
        .value_kind:     hidden_remainder_z
      - .offset:         64
        .size:           8
        .value_kind:     hidden_global_offset_x
      - .offset:         72
        .size:           8
        .value_kind:     hidden_global_offset_y
      - .offset:         80
        .size:           8
        .value_kind:     hidden_global_offset_z
      - .offset:         88
        .size:           2
        .value_kind:     hidden_grid_dims
    .group_segment_fixed_size: 0
    .kernarg_segment_align: 8
    .kernarg_segment_size: 280
    .language:       OpenCL C
    .language_version:
      - 2
      - 0
    .max_flat_workgroup_size: 1024
    .name:           _ZN9rocsolver6v33100L7set_tauI19rocblas_complex_numIdEEEviPT_l
    .private_segment_fixed_size: 0
    .sgpr_count:     12
    .sgpr_spill_count: 0
    .symbol:         _ZN9rocsolver6v33100L7set_tauI19rocblas_complex_numIdEEEviPT_l.kd
    .uniform_work_group_size: 1
    .uses_dynamic_stack: false
    .vgpr_count:     6
    .vgpr_spill_count: 0
    .wavefront_size: 64
  - .agpr_count:     0
    .args:
      - .offset:         0
        .size:           4
        .value_kind:     by_value
      - .offset:         4
        .size:           4
        .value_kind:     by_value
      - .offset:         8
        .size:           4
        .value_kind:     by_value
      - .address_space:  global
        .offset:         16
        .size:           8
        .value_kind:     global_buffer
      - .offset:         24
        .size:           4
        .value_kind:     by_value
      - .offset:         28
        .size:           4
        .value_kind:     by_value
      - .offset:         32
        .size:           8
        .value_kind:     by_value
      - .address_space:  global
        .offset:         40
        .size:           8
        .value_kind:     global_buffer
      - .offset:         48
        .size:           8
        .value_kind:     by_value
      - .address_space:  global
        .offset:         56
        .size:           8
        .value_kind:     global_buffer
      - .offset:         64
        .size:           4
        .value_kind:     by_value
      - .offset:         72
        .size:           8
        .value_kind:     by_value
      - .offset:         80
        .size:           4
        .value_kind:     hidden_block_count_x
      - .offset:         84
        .size:           4
        .value_kind:     hidden_block_count_y
      - .offset:         88
        .size:           4
        .value_kind:     hidden_block_count_z
      - .offset:         92
        .size:           2
        .value_kind:     hidden_group_size_x
      - .offset:         94
        .size:           2
        .value_kind:     hidden_group_size_y
      - .offset:         96
        .size:           2
        .value_kind:     hidden_group_size_z
      - .offset:         98
        .size:           2
        .value_kind:     hidden_remainder_x
      - .offset:         100
        .size:           2
        .value_kind:     hidden_remainder_y
      - .offset:         102
        .size:           2
        .value_kind:     hidden_remainder_z
      - .offset:         120
        .size:           8
        .value_kind:     hidden_global_offset_x
      - .offset:         128
        .size:           8
        .value_kind:     hidden_global_offset_y
      - .offset:         136
        .size:           8
        .value_kind:     hidden_global_offset_z
      - .offset:         144
        .size:           2
        .value_kind:     hidden_grid_dims
      - .offset:         200
        .size:           4
        .value_kind:     hidden_dynamic_lds_size
    .group_segment_fixed_size: 0
    .kernarg_segment_align: 8
    .kernarg_segment_size: 336
    .language:       OpenCL C
    .language_version:
      - 2
      - 0
    .max_flat_workgroup_size: 1024
    .name:           _ZN9rocsolver6v33100L20larft_kernel_forwardI19rocblas_complex_numIdEPS3_EEv15rocblas_storev_iiT0_iilPT_lS8_il
    .private_segment_fixed_size: 0
    .sgpr_count:     60
    .sgpr_spill_count: 0
    .symbol:         _ZN9rocsolver6v33100L20larft_kernel_forwardI19rocblas_complex_numIdEPS3_EEv15rocblas_storev_iiT0_iilPT_lS8_il.kd
    .uniform_work_group_size: 1
    .uses_dynamic_stack: false
    .vgpr_count:     28
    .vgpr_spill_count: 0
    .wavefront_size: 64
  - .agpr_count:     0
    .args:
      - .offset:         0
        .size:           4
        .value_kind:     by_value
      - .offset:         4
        .size:           4
        .value_kind:     by_value
      - .offset:         8
        .size:           4
        .value_kind:     by_value
      - .address_space:  global
        .offset:         16
        .size:           8
        .value_kind:     global_buffer
      - .offset:         24
        .size:           4
        .value_kind:     by_value
      - .offset:         28
        .size:           4
        .value_kind:     by_value
      - .offset:         32
        .size:           8
        .value_kind:     by_value
      - .address_space:  global
        .offset:         40
        .size:           8
        .value_kind:     global_buffer
      - .offset:         48
        .size:           8
        .value_kind:     by_value
      - .address_space:  global
        .offset:         56
        .size:           8
        .value_kind:     global_buffer
      - .offset:         64
        .size:           4
        .value_kind:     by_value
      - .offset:         72
        .size:           8
        .value_kind:     by_value
      - .offset:         80
        .size:           4
        .value_kind:     hidden_block_count_x
      - .offset:         84
        .size:           4
        .value_kind:     hidden_block_count_y
      - .offset:         88
        .size:           4
        .value_kind:     hidden_block_count_z
      - .offset:         92
        .size:           2
        .value_kind:     hidden_group_size_x
      - .offset:         94
        .size:           2
        .value_kind:     hidden_group_size_y
      - .offset:         96
        .size:           2
        .value_kind:     hidden_group_size_z
      - .offset:         98
        .size:           2
        .value_kind:     hidden_remainder_x
      - .offset:         100
        .size:           2
        .value_kind:     hidden_remainder_y
      - .offset:         102
        .size:           2
        .value_kind:     hidden_remainder_z
      - .offset:         120
        .size:           8
        .value_kind:     hidden_global_offset_x
      - .offset:         128
        .size:           8
        .value_kind:     hidden_global_offset_y
      - .offset:         136
        .size:           8
        .value_kind:     hidden_global_offset_z
      - .offset:         144
        .size:           2
        .value_kind:     hidden_grid_dims
      - .offset:         200
        .size:           4
        .value_kind:     hidden_dynamic_lds_size
    .group_segment_fixed_size: 0
    .kernarg_segment_align: 8
    .kernarg_segment_size: 336
    .language:       OpenCL C
    .language_version:
      - 2
      - 0
    .max_flat_workgroup_size: 1024
    .name:           _ZN9rocsolver6v33100L21larft_kernel_backwardI19rocblas_complex_numIdEPS3_EEv15rocblas_storev_iiT0_iilPT_lS8_il
    .private_segment_fixed_size: 0
    .sgpr_count:     60
    .sgpr_spill_count: 0
    .symbol:         _ZN9rocsolver6v33100L21larft_kernel_backwardI19rocblas_complex_numIdEPS3_EEv15rocblas_storev_iiT0_iilPT_lS8_il.kd
    .uniform_work_group_size: 1
    .uses_dynamic_stack: false
    .vgpr_count:     24
    .vgpr_spill_count: 0
    .wavefront_size: 64
  - .agpr_count:     0
    .args:
      - .offset:         0
        .size:           4
        .value_kind:     by_value
      - .offset:         4
        .size:           4
        .value_kind:     by_value
      - .address_space:  global
        .offset:         8
        .size:           8
        .value_kind:     global_buffer
      - .offset:         16
        .size:           4
        .value_kind:     by_value
      - .offset:         20
        .size:           4
        .value_kind:     by_value
      - .offset:         24
        .size:           8
        .value_kind:     by_value
      - .address_space:  global
        .offset:         32
        .size:           8
        .value_kind:     global_buffer
      - .offset:         40
        .size:           4
        .value_kind:     hidden_block_count_x
      - .offset:         44
        .size:           4
        .value_kind:     hidden_block_count_y
      - .offset:         48
        .size:           4
        .value_kind:     hidden_block_count_z
      - .offset:         52
        .size:           2
        .value_kind:     hidden_group_size_x
      - .offset:         54
        .size:           2
        .value_kind:     hidden_group_size_y
      - .offset:         56
        .size:           2
        .value_kind:     hidden_group_size_z
      - .offset:         58
        .size:           2
        .value_kind:     hidden_remainder_x
      - .offset:         60
        .size:           2
        .value_kind:     hidden_remainder_y
      - .offset:         62
        .size:           2
        .value_kind:     hidden_remainder_z
      - .offset:         80
        .size:           8
        .value_kind:     hidden_global_offset_x
      - .offset:         88
        .size:           8
        .value_kind:     hidden_global_offset_y
      - .offset:         96
        .size:           8
        .value_kind:     hidden_global_offset_z
      - .offset:         104
        .size:           2
        .value_kind:     hidden_grid_dims
    .group_segment_fixed_size: 0
    .kernarg_segment_align: 8
    .kernarg_segment_size: 296
    .language:       OpenCL C
    .language_version:
      - 2
      - 0
    .max_flat_workgroup_size: 1024
    .name:           _ZN9rocsolver6v33100L9copymatA1I19rocblas_complex_numIdEPS3_EEviiT0_iilPT_
    .private_segment_fixed_size: 0
    .sgpr_count:     24
    .sgpr_spill_count: 0
    .symbol:         _ZN9rocsolver6v33100L9copymatA1I19rocblas_complex_numIdEPS3_EEviiT0_iilPT_.kd
    .uniform_work_group_size: 1
    .uses_dynamic_stack: false
    .vgpr_count:     8
    .vgpr_spill_count: 0
    .wavefront_size: 64
  - .agpr_count:     0
    .args:
      - .offset:         0
        .size:           4
        .value_kind:     by_value
      - .offset:         4
        .size:           4
        .value_kind:     by_value
      - .address_space:  global
        .offset:         8
        .size:           8
        .value_kind:     global_buffer
      - .offset:         16
        .size:           4
        .value_kind:     by_value
      - .offset:         20
        .size:           4
        .value_kind:     by_value
      - .offset:         24
        .size:           8
        .value_kind:     by_value
      - .address_space:  global
        .offset:         32
        .size:           8
        .value_kind:     global_buffer
      - .offset:         40
        .size:           4
        .value_kind:     hidden_block_count_x
      - .offset:         44
        .size:           4
        .value_kind:     hidden_block_count_y
      - .offset:         48
        .size:           4
        .value_kind:     hidden_block_count_z
      - .offset:         52
        .size:           2
        .value_kind:     hidden_group_size_x
      - .offset:         54
        .size:           2
        .value_kind:     hidden_group_size_y
      - .offset:         56
        .size:           2
        .value_kind:     hidden_group_size_z
      - .offset:         58
        .size:           2
        .value_kind:     hidden_remainder_x
      - .offset:         60
        .size:           2
        .value_kind:     hidden_remainder_y
      - .offset:         62
        .size:           2
        .value_kind:     hidden_remainder_z
      - .offset:         80
        .size:           8
        .value_kind:     hidden_global_offset_x
      - .offset:         88
        .size:           8
        .value_kind:     hidden_global_offset_y
      - .offset:         96
        .size:           8
        .value_kind:     hidden_global_offset_z
      - .offset:         104
        .size:           2
        .value_kind:     hidden_grid_dims
    .group_segment_fixed_size: 0
    .kernarg_segment_align: 8
    .kernarg_segment_size: 296
    .language:       OpenCL C
    .language_version:
      - 2
      - 0
    .max_flat_workgroup_size: 1024
    .name:           _ZN9rocsolver6v33100L8addmatA1I19rocblas_complex_numIdEPS3_EEviiT0_iilPT_
    .private_segment_fixed_size: 0
    .sgpr_count:     19
    .sgpr_spill_count: 0
    .symbol:         _ZN9rocsolver6v33100L8addmatA1I19rocblas_complex_numIdEPS3_EEviiT0_iilPT_.kd
    .uniform_work_group_size: 1
    .uses_dynamic_stack: false
    .vgpr_count:     12
    .vgpr_spill_count: 0
    .wavefront_size: 64
  - .agpr_count:     0
    .args:
      - .offset:         0
        .size:           4
        .value_kind:     by_value
      - .offset:         4
        .size:           4
        .value_kind:     by_value
      - .address_space:  global
        .offset:         8
        .size:           8
        .value_kind:     global_buffer
      - .offset:         16
        .size:           4
        .value_kind:     by_value
      - .offset:         20
        .size:           4
        .value_kind:     by_value
      - .offset:         24
        .size:           8
        .value_kind:     by_value
      - .address_space:  global
        .offset:         32
        .size:           8
        .value_kind:     global_buffer
      - .offset:         40
        .size:           4
        .value_kind:     by_value
      - .offset:         44
        .size:           4
        .value_kind:     by_value
      - .offset:         48
        .size:           8
        .value_kind:     by_value
      - .offset:         56
        .size:           1
        .value_kind:     by_value
      - .offset:         60
        .size:           4
        .value_kind:     by_value
      - .offset:         64
        .size:           4
        .value_kind:     by_value
      - .offset:         72
        .size:           4
        .value_kind:     hidden_block_count_x
      - .offset:         76
        .size:           4
        .value_kind:     hidden_block_count_y
      - .offset:         80
        .size:           4
        .value_kind:     hidden_block_count_z
      - .offset:         84
        .size:           2
        .value_kind:     hidden_group_size_x
      - .offset:         86
        .size:           2
        .value_kind:     hidden_group_size_y
      - .offset:         88
        .size:           2
        .value_kind:     hidden_group_size_z
      - .offset:         90
        .size:           2
        .value_kind:     hidden_remainder_x
      - .offset:         92
        .size:           2
        .value_kind:     hidden_remainder_y
      - .offset:         94
        .size:           2
        .value_kind:     hidden_remainder_z
      - .offset:         112
        .size:           8
        .value_kind:     hidden_global_offset_x
      - .offset:         120
        .size:           8
        .value_kind:     hidden_global_offset_y
      - .offset:         128
        .size:           8
        .value_kind:     hidden_global_offset_z
      - .offset:         136
        .size:           2
        .value_kind:     hidden_grid_dims
    .group_segment_fixed_size: 0
    .kernarg_segment_align: 8
    .kernarg_segment_size: 328
    .language:       OpenCL C
    .language_version:
      - 2
      - 0
    .max_flat_workgroup_size: 1024
    .name:           _ZN9rocsolver6v33100L8copy_matI19rocblas_complex_numIdEPS3_S4_NS0_7no_maskEEEviiT0_iilT1_iilT2_13rocblas_fill_17rocblas_diagonal_
    .private_segment_fixed_size: 0
    .sgpr_count:     24
    .sgpr_spill_count: 0
    .symbol:         _ZN9rocsolver6v33100L8copy_matI19rocblas_complex_numIdEPS3_S4_NS0_7no_maskEEEviiT0_iilT1_iilT2_13rocblas_fill_17rocblas_diagonal_.kd
    .uniform_work_group_size: 1
    .uses_dynamic_stack: false
    .vgpr_count:     8
    .vgpr_spill_count: 0
    .wavefront_size: 64
  - .agpr_count:     0
    .args:
      - .offset:         0
        .size:           4
        .value_kind:     by_value
      - .offset:         4
        .size:           4
        .value_kind:     by_value
      - .address_space:  global
        .offset:         8
        .size:           8
        .value_kind:     global_buffer
      - .offset:         16
        .size:           8
        .value_kind:     by_value
      - .offset:         24
        .size:           4
        .value_kind:     by_value
      - .offset:         32
        .size:           8
        .value_kind:     by_value
      - .address_space:  global
        .offset:         40
        .size:           8
        .value_kind:     global_buffer
      - .offset:         48
        .size:           8
        .value_kind:     by_value
      - .address_space:  global
        .offset:         56
        .size:           8
        .value_kind:     global_buffer
      - .offset:         64
        .size:           8
        .value_kind:     by_value
    .group_segment_fixed_size: 0
    .kernarg_segment_align: 8
    .kernarg_segment_size: 72
    .language:       OpenCL C
    .language_version:
      - 2
      - 0
    .max_flat_workgroup_size: 256
    .name:           _ZN9rocsolver6v33100L18geqr2_kernel_smallILi256E19rocblas_complex_numIdEidPS3_EEvT1_S5_T3_lS5_lPT2_lPT0_l
    .private_segment_fixed_size: 0
    .sgpr_count:     56
    .sgpr_spill_count: 0
    .symbol:         _ZN9rocsolver6v33100L18geqr2_kernel_smallILi256E19rocblas_complex_numIdEidPS3_EEvT1_S5_T3_lS5_lPT2_lPT0_l.kd
    .uniform_work_group_size: 1
    .uses_dynamic_stack: false
    .vgpr_count:     40
    .vgpr_spill_count: 0
    .wavefront_size: 64
  - .agpr_count:     0
    .args:
      - .address_space:  global
        .offset:         0
        .size:           8
        .value_kind:     global_buffer
      - .offset:         8
        .size:           8
        .value_kind:     by_value
      - .offset:         16
        .size:           8
        .value_kind:     by_value
      - .address_space:  global
        .offset:         24
        .size:           8
        .value_kind:     global_buffer
      - .offset:         32
        .size:           8
        .value_kind:     by_value
      - .offset:         40
        .size:           4
        .value_kind:     by_value
      - .offset:         48
        .size:           8
        .value_kind:     by_value
      - .offset:         56
        .size:           4
        .value_kind:     by_value
      - .offset:         64
        .size:           4
        .value_kind:     hidden_block_count_x
      - .offset:         68
        .size:           4
        .value_kind:     hidden_block_count_y
      - .offset:         72
        .size:           4
        .value_kind:     hidden_block_count_z
      - .offset:         76
        .size:           2
        .value_kind:     hidden_group_size_x
      - .offset:         78
        .size:           2
        .value_kind:     hidden_group_size_y
      - .offset:         80
        .size:           2
        .value_kind:     hidden_group_size_z
      - .offset:         82
        .size:           2
        .value_kind:     hidden_remainder_x
      - .offset:         84
        .size:           2
        .value_kind:     hidden_remainder_y
      - .offset:         86
        .size:           2
        .value_kind:     hidden_remainder_z
      - .offset:         104
        .size:           8
        .value_kind:     hidden_global_offset_x
      - .offset:         112
        .size:           8
        .value_kind:     hidden_global_offset_y
      - .offset:         120
        .size:           8
        .value_kind:     hidden_global_offset_z
      - .offset:         128
        .size:           2
        .value_kind:     hidden_grid_dims
    .group_segment_fixed_size: 0
    .kernarg_segment_align: 8
    .kernarg_segment_size: 320
    .language:       OpenCL C
    .language_version:
      - 2
      - 0
    .max_flat_workgroup_size: 1024
    .name:           _ZN9rocsolver6v33100L12restore_diagI19rocblas_complex_numIdEidPS3_EEvPT1_llT2_lT0_lS8_
    .private_segment_fixed_size: 0
    .sgpr_count:     20
    .sgpr_spill_count: 0
    .symbol:         _ZN9rocsolver6v33100L12restore_diagI19rocblas_complex_numIdEidPS3_EEvPT1_llT2_lT0_lS8_.kd
    .uniform_work_group_size: 1
    .uses_dynamic_stack: false
    .vgpr_count:     6
    .vgpr_spill_count: 0
    .wavefront_size: 64
  - .agpr_count:     0
    .args:
      - .offset:         0
        .size:           4
        .value_kind:     by_value
      - .address_space:  global
        .offset:         8
        .size:           8
        .value_kind:     global_buffer
      - .offset:         16
        .size:           8
        .value_kind:     by_value
      - .address_space:  global
        .offset:         24
        .size:           8
        .value_kind:     global_buffer
      - .offset:         32
        .size:           4
        .value_kind:     by_value
      - .offset:         40
        .size:           8
        .value_kind:     by_value
      - .address_space:  global
        .offset:         48
        .size:           8
        .value_kind:     global_buffer
      - .offset:         56
        .size:           4
        .value_kind:     by_value
      - .offset:         64
        .size:           8
        .value_kind:     by_value
      - .offset:         72
        .size:           4
        .value_kind:     by_value
      - .offset:         80
        .size:           4
        .value_kind:     hidden_block_count_x
      - .offset:         84
        .size:           4
        .value_kind:     hidden_block_count_y
      - .offset:         88
        .size:           4
        .value_kind:     hidden_block_count_z
      - .offset:         92
        .size:           2
        .value_kind:     hidden_group_size_x
      - .offset:         94
        .size:           2
        .value_kind:     hidden_group_size_y
      - .offset:         96
        .size:           2
        .value_kind:     hidden_group_size_z
      - .offset:         98
        .size:           2
        .value_kind:     hidden_remainder_x
      - .offset:         100
        .size:           2
        .value_kind:     hidden_remainder_y
      - .offset:         102
        .size:           2
        .value_kind:     hidden_remainder_z
      - .offset:         120
        .size:           8
        .value_kind:     hidden_global_offset_x
      - .offset:         128
        .size:           8
        .value_kind:     hidden_global_offset_y
      - .offset:         136
        .size:           8
        .value_kind:     hidden_global_offset_z
      - .offset:         144
        .size:           2
        .value_kind:     hidden_grid_dims
    .group_segment_fixed_size: 0
    .kernarg_segment_align: 8
    .kernarg_segment_size: 336
    .language:       OpenCL C
    .language_version:
      - 2
      - 0
    .max_flat_workgroup_size: 1024
    .name:           _ZN9rocsolver6v33100L16gesdd_flip_signsI19rocblas_complex_numIdEdEEviPT0_lPT_ilS7_ili
    .private_segment_fixed_size: 0
    .sgpr_count:     47
    .sgpr_spill_count: 0
    .symbol:         _ZN9rocsolver6v33100L16gesdd_flip_signsI19rocblas_complex_numIdEdEEviPT0_lPT_ilS7_ili.kd
    .uniform_work_group_size: 1
    .uses_dynamic_stack: false
    .vgpr_count:     14
    .vgpr_spill_count: 0
    .wavefront_size: 64
  - .agpr_count:     0
    .args:
      - .offset:         0
        .size:           4
        .value_kind:     by_value
      - .offset:         4
        .size:           4
        .value_kind:     by_value
      - .offset:         8
        .size:           4
        .value_kind:     by_value
      - .address_space:  global
        .offset:         16
        .size:           8
        .value_kind:     global_buffer
      - .offset:         24
        .size:           4
        .value_kind:     by_value
      - .offset:         28
        .size:           4
        .value_kind:     by_value
      - .offset:         32
        .size:           8
        .value_kind:     by_value
      - .offset:         40
        .size:           4
        .value_kind:     hidden_block_count_x
      - .offset:         44
        .size:           4
        .value_kind:     hidden_block_count_y
      - .offset:         48
        .size:           4
        .value_kind:     hidden_block_count_z
      - .offset:         52
        .size:           2
        .value_kind:     hidden_group_size_x
      - .offset:         54
        .size:           2
        .value_kind:     hidden_group_size_y
      - .offset:         56
        .size:           2
        .value_kind:     hidden_group_size_z
      - .offset:         58
        .size:           2
        .value_kind:     hidden_remainder_x
      - .offset:         60
        .size:           2
        .value_kind:     hidden_remainder_y
      - .offset:         62
        .size:           2
        .value_kind:     hidden_remainder_z
      - .offset:         80
        .size:           8
        .value_kind:     hidden_global_offset_x
      - .offset:         88
        .size:           8
        .value_kind:     hidden_global_offset_y
      - .offset:         96
        .size:           8
        .value_kind:     hidden_global_offset_z
      - .offset:         104
        .size:           2
        .value_kind:     hidden_grid_dims
    .group_segment_fixed_size: 0
    .kernarg_segment_align: 8
    .kernarg_segment_size: 296
    .language:       OpenCL C
    .language_version:
      - 2
      - 0
    .max_flat_workgroup_size: 1024
    .name:           _ZN9rocsolver6v33100L16org2r_init_identI19rocblas_complex_numIdEPS3_EEviiiT0_iil
    .private_segment_fixed_size: 0
    .sgpr_count:     20
    .sgpr_spill_count: 0
    .symbol:         _ZN9rocsolver6v33100L16org2r_init_identI19rocblas_complex_numIdEPS3_EEviiiT0_iil.kd
    .uniform_work_group_size: 1
    .uses_dynamic_stack: false
    .vgpr_count:     6
    .vgpr_spill_count: 0
    .wavefront_size: 64
  - .agpr_count:     0
    .args:
      - .offset:         0
        .size:           4
        .value_kind:     by_value
      - .offset:         4
        .size:           4
        .value_kind:     by_value
      - .address_space:  global
        .offset:         8
        .size:           8
        .value_kind:     global_buffer
      - .offset:         16
        .size:           4
        .value_kind:     by_value
      - .offset:         20
        .size:           4
        .value_kind:     by_value
      - .offset:         24
        .size:           8
        .value_kind:     by_value
      - .address_space:  global
        .offset:         32
        .size:           8
        .value_kind:     global_buffer
      - .offset:         40
        .size:           8
        .value_kind:     by_value
    .group_segment_fixed_size: 0
    .kernarg_segment_align: 8
    .kernarg_segment_size: 48
    .language:       OpenCL C
    .language_version:
      - 2
      - 0
    .max_flat_workgroup_size: 1024
    .name:           _ZN9rocsolver6v33100L12subtract_tauI19rocblas_complex_numIdEPS3_EEviiT0_iilPT_l
    .private_segment_fixed_size: 0
    .sgpr_count:     20
    .sgpr_spill_count: 0
    .symbol:         _ZN9rocsolver6v33100L12subtract_tauI19rocblas_complex_numIdEPS3_EEviiT0_iilPT_l.kd
    .uniform_work_group_size: 1
    .uses_dynamic_stack: false
    .vgpr_count:     5
    .vgpr_spill_count: 0
    .wavefront_size: 64
  - .agpr_count:     0
    .args:
      - .offset:         0
        .size:           4
        .value_kind:     by_value
      - .address_space:  global
        .offset:         8
        .size:           8
        .value_kind:     global_buffer
      - .offset:         16
        .size:           8
        .value_kind:     by_value
      - .offset:         24
        .size:           4
        .value_kind:     hidden_block_count_x
      - .offset:         28
        .size:           4
        .value_kind:     hidden_block_count_y
      - .offset:         32
        .size:           4
        .value_kind:     hidden_block_count_z
      - .offset:         36
        .size:           2
        .value_kind:     hidden_group_size_x
      - .offset:         38
        .size:           2
        .value_kind:     hidden_group_size_y
      - .offset:         40
        .size:           2
        .value_kind:     hidden_group_size_z
      - .offset:         42
        .size:           2
        .value_kind:     hidden_remainder_x
      - .offset:         44
        .size:           2
        .value_kind:     hidden_remainder_y
      - .offset:         46
        .size:           2
        .value_kind:     hidden_remainder_z
      - .offset:         64
        .size:           8
        .value_kind:     hidden_global_offset_x
      - .offset:         72
        .size:           8
        .value_kind:     hidden_global_offset_y
      - .offset:         80
        .size:           8
        .value_kind:     hidden_global_offset_z
      - .offset:         88
        .size:           2
        .value_kind:     hidden_grid_dims
    .group_segment_fixed_size: 0
    .kernarg_segment_align: 8
    .kernarg_segment_size: 280
    .language:       OpenCL C
    .language_version:
      - 2
      - 0
    .max_flat_workgroup_size: 1024
    .name:           _ZN9rocsolver6v33100L6restauI19rocblas_complex_numIdEEEviPT_l
    .private_segment_fixed_size: 0
    .sgpr_count:     12
    .sgpr_spill_count: 0
    .symbol:         _ZN9rocsolver6v33100L6restauI19rocblas_complex_numIdEEEviPT_l.kd
    .uniform_work_group_size: 1
    .uses_dynamic_stack: false
    .vgpr_count:     6
    .vgpr_spill_count: 0
    .wavefront_size: 64
  - .agpr_count:     0
    .args:
      - .offset:         0
        .size:           4
        .value_kind:     by_value
      - .offset:         4
        .size:           4
        .value_kind:     by_value
      - .offset:         8
        .size:           4
        .value_kind:     by_value
      - .address_space:  global
        .offset:         16
        .size:           8
        .value_kind:     global_buffer
      - .offset:         24
        .size:           4
        .value_kind:     by_value
      - .offset:         28
        .size:           4
        .value_kind:     by_value
      - .offset:         32
        .size:           8
        .value_kind:     by_value
      - .address_space:  global
        .offset:         40
        .size:           8
        .value_kind:     global_buffer
      - .offset:         48
        .size:           4
        .value_kind:     by_value
      - .offset:         52
        .size:           4
        .value_kind:     by_value
      - .offset:         56
        .size:           8
        .value_kind:     by_value
      - .offset:         64
        .size:           1
        .value_kind:     by_value
      - .offset:         68
        .size:           4
        .value_kind:     by_value
      - .offset:         72
        .size:           4
        .value_kind:     by_value
      - .offset:         80
        .size:           4
        .value_kind:     hidden_block_count_x
      - .offset:         84
        .size:           4
        .value_kind:     hidden_block_count_y
      - .offset:         88
        .size:           4
        .value_kind:     hidden_block_count_z
      - .offset:         92
        .size:           2
        .value_kind:     hidden_group_size_x
      - .offset:         94
        .size:           2
        .value_kind:     hidden_group_size_y
      - .offset:         96
        .size:           2
        .value_kind:     hidden_group_size_z
      - .offset:         98
        .size:           2
        .value_kind:     hidden_remainder_x
      - .offset:         100
        .size:           2
        .value_kind:     hidden_remainder_y
      - .offset:         102
        .size:           2
        .value_kind:     hidden_remainder_z
      - .offset:         120
        .size:           8
        .value_kind:     hidden_global_offset_x
      - .offset:         128
        .size:           8
        .value_kind:     hidden_global_offset_y
      - .offset:         136
        .size:           8
        .value_kind:     hidden_global_offset_z
      - .offset:         144
        .size:           2
        .value_kind:     hidden_grid_dims
    .group_segment_fixed_size: 0
    .kernarg_segment_align: 8
    .kernarg_segment_size: 336
    .language:       OpenCL C
    .language_version:
      - 2
      - 0
    .max_flat_workgroup_size: 1024
    .name:           _ZN9rocsolver6v33100L14copy_trans_matI19rocblas_complex_numIdES3_PS3_S4_NS0_7no_maskEEEv18rocblas_operation_iiT1_iilT2_iilT3_13rocblas_fill_17rocblas_diagonal_
    .private_segment_fixed_size: 0
    .sgpr_count:     28
    .sgpr_spill_count: 0
    .symbol:         _ZN9rocsolver6v33100L14copy_trans_matI19rocblas_complex_numIdES3_PS3_S4_NS0_7no_maskEEEv18rocblas_operation_iiT1_iilT2_iilT3_13rocblas_fill_17rocblas_diagonal_.kd
    .uniform_work_group_size: 1
    .uses_dynamic_stack: false
    .vgpr_count:     12
    .vgpr_spill_count: 0
    .wavefront_size: 64
  - .agpr_count:     0
    .args:
      - .offset:         0
        .size:           4
        .value_kind:     by_value
      - .offset:         4
        .size:           4
        .value_kind:     by_value
      - .offset:         8
        .size:           4
        .value_kind:     by_value
      - .address_space:  global
        .offset:         16
        .size:           8
        .value_kind:     global_buffer
      - .offset:         24
        .size:           4
        .value_kind:     by_value
      - .offset:         28
        .size:           4
        .value_kind:     by_value
      - .offset:         32
        .size:           8
        .value_kind:     by_value
      - .offset:         40
        .size:           4
        .value_kind:     hidden_block_count_x
      - .offset:         44
        .size:           4
        .value_kind:     hidden_block_count_y
      - .offset:         48
        .size:           4
        .value_kind:     hidden_block_count_z
      - .offset:         52
        .size:           2
        .value_kind:     hidden_group_size_x
      - .offset:         54
        .size:           2
        .value_kind:     hidden_group_size_y
      - .offset:         56
        .size:           2
        .value_kind:     hidden_group_size_z
      - .offset:         58
        .size:           2
        .value_kind:     hidden_remainder_x
      - .offset:         60
        .size:           2
        .value_kind:     hidden_remainder_y
      - .offset:         62
        .size:           2
        .value_kind:     hidden_remainder_z
      - .offset:         80
        .size:           8
        .value_kind:     hidden_global_offset_x
      - .offset:         88
        .size:           8
        .value_kind:     hidden_global_offset_y
      - .offset:         96
        .size:           8
        .value_kind:     hidden_global_offset_z
      - .offset:         104
        .size:           2
        .value_kind:     hidden_grid_dims
    .group_segment_fixed_size: 0
    .kernarg_segment_align: 8
    .kernarg_segment_size: 296
    .language:       OpenCL C
    .language_version:
      - 2
      - 0
    .max_flat_workgroup_size: 1024
    .name:           _ZN9rocsolver6v33100L16orgl2_init_identI19rocblas_complex_numIdEPS3_EEviiiT0_iil
    .private_segment_fixed_size: 0
    .sgpr_count:     20
    .sgpr_spill_count: 0
    .symbol:         _ZN9rocsolver6v33100L16orgl2_init_identI19rocblas_complex_numIdEPS3_EEviiiT0_iil.kd
    .uniform_work_group_size: 1
    .uses_dynamic_stack: false
    .vgpr_count:     6
    .vgpr_spill_count: 0
    .wavefront_size: 64
amdhsa.target:   amdgcn-amd-amdhsa--gfx90a
amdhsa.version:
  - 1
  - 2
...

	.end_amdgpu_metadata
